;; amdgpu-corpus repo=ggml-org/llama.cpp kind=compiled arch=gfx90a opt=O3
	.text
	.amdgcn_target "amdgcn-amd-amdhsa--gfx90a"
	.amdhsa_code_object_version 6
	.p2align	2                               ; -- Begin function __ockl_printf_append_string_n
	.type	__ockl_printf_append_string_n,@function
__ockl_printf_append_string_n:          ; @__ockl_printf_append_string_n
; %bb.0:
	s_waitcnt vmcnt(0) expcnt(0) lgkmcnt(0)
	v_mov_b32_e32 v7, v3
	v_mov_b32_e32 v6, v2
	;; [unrolled: 1-line block ×3, first 2 shown]
	s_mov_b64 s[6:7], 0
	v_cmp_ne_u64_e32 vcc, 0, v[6:7]
	v_mbcnt_lo_u32_b32 v2, -1, 0
	s_and_saveexec_b64 s[4:5], vcc
	s_xor_b64 s[10:11], exec, s[4:5]
	s_cbranch_execz .LBB0_86
; %bb.1:
	s_load_dwordx2 s[12:13], s[8:9], 0x50
	v_and_b32_e32 v28, 2, v3
	s_mov_b32 s22, 0
	v_mov_b32_e32 v31, 0
	v_and_b32_e32 v0, -3, v3
	v_mbcnt_hi_u32_b32 v32, -1, v2
	s_movk_i32 s23, 0xff1f
	v_mov_b32_e32 v10, 2
	v_mov_b32_e32 v11, 1
	s_branch .LBB0_3
.LBB0_2:                                ;   in Loop: Header=BB0_3 Depth=1
	s_or_b64 exec, exec, s[16:17]
	v_sub_co_u32_e32 v4, vcc, v4, v34
	v_subb_co_u32_e32 v5, vcc, v5, v35, vcc
	v_cmp_eq_u64_e32 vcc, 0, v[4:5]
	s_or_b64 s[6:7], vcc, s[6:7]
	v_add_co_u32_e32 v6, vcc, v6, v34
	v_addc_co_u32_e32 v7, vcc, v7, v35, vcc
	s_andn2_b64 exec, exec, s[6:7]
	s_cbranch_execz .LBB0_85
.LBB0_3:                                ; =>This Loop Header: Depth=1
                                        ;     Child Loop BB0_6 Depth 2
                                        ;     Child Loop BB0_14 Depth 2
	;; [unrolled: 1-line block ×11, first 2 shown]
	v_cmp_gt_u64_e32 vcc, 56, v[4:5]
	v_cndmask_b32_e32 v35, 0, v5, vcc
	v_cndmask_b32_e32 v34, 56, v4, vcc
	v_cmp_gt_u64_e32 vcc, 8, v[4:5]
                                        ; implicit-def: $vgpr2_vgpr3
                                        ; implicit-def: $sgpr14
	s_and_saveexec_b64 s[4:5], vcc
	s_xor_b64 s[4:5], exec, s[4:5]
	s_cbranch_execz .LBB0_9
; %bb.4:                                ;   in Loop: Header=BB0_3 Depth=1
	s_mov_b64 s[16:17], 0
	v_cmp_ne_u64_e32 vcc, 0, v[4:5]
	s_waitcnt vmcnt(0)
	v_pk_mov_b32 v[2:3], 0, 0
	s_and_saveexec_b64 s[14:15], vcc
	s_cbranch_execz .LBB0_8
; %bb.5:                                ;   in Loop: Header=BB0_3 Depth=1
	v_lshlrev_b64 v[8:9], 3, v[34:35]
	v_pk_mov_b32 v[2:3], 0, 0
	v_pk_mov_b32 v[12:13], v[6:7], v[6:7] op_sel:[0,1]
	s_mov_b64 s[18:19], 0
.LBB0_6:                                ;   Parent Loop BB0_3 Depth=1
                                        ; =>  This Inner Loop Header: Depth=2
	flat_load_ubyte v9, v[12:13]
	v_mov_b32_e32 v15, s22
	v_add_co_u32_e32 v12, vcc, 1, v12
	v_addc_co_u32_e32 v13, vcc, 0, v13, vcc
	s_waitcnt vmcnt(0) lgkmcnt(0)
	v_and_b32_e32 v14, 0xffff, v9
	v_lshlrev_b64 v[14:15], s18, v[14:15]
	s_add_u32 s18, s18, 8
	s_addc_u32 s19, s19, 0
	v_cmp_eq_u32_e32 vcc, s18, v8
	v_or_b32_e32 v3, v15, v3
	s_or_b64 s[16:17], vcc, s[16:17]
	v_or_b32_e32 v2, v14, v2
	s_andn2_b64 exec, exec, s[16:17]
	s_cbranch_execnz .LBB0_6
; %bb.7:                                ;   in Loop: Header=BB0_3 Depth=1
	s_or_b64 exec, exec, s[16:17]
.LBB0_8:                                ;   in Loop: Header=BB0_3 Depth=1
	s_or_b64 exec, exec, s[14:15]
	s_mov_b32 s14, 0
.LBB0_9:                                ;   in Loop: Header=BB0_3 Depth=1
	s_or_saveexec_b64 s[4:5], s[4:5]
	v_mov_b32_e32 v14, s14
	v_pk_mov_b32 v[8:9], v[6:7], v[6:7] op_sel:[0,1]
	s_xor_b64 exec, exec, s[4:5]
	s_cbranch_execz .LBB0_11
; %bb.10:                               ;   in Loop: Header=BB0_3 Depth=1
	s_waitcnt vmcnt(0)
	flat_load_dwordx2 v[2:3], v[6:7]
	v_add_u32_e32 v14, -8, v34
	s_waitcnt vmcnt(0) lgkmcnt(0)
	v_and_b32_e32 v8, 0xff, v3
	v_and_b32_e32 v9, 0xff00, v3
	;; [unrolled: 1-line block ×4, first 2 shown]
	v_or_b32_e32 v8, v8, v9
	v_or3_b32 v3, v8, v12, v3
	v_add_co_u32_e32 v8, vcc, 8, v6
	v_or3_b32 v2, v2, 0, 0
	v_addc_co_u32_e32 v9, vcc, 0, v7, vcc
.LBB0_11:                               ;   in Loop: Header=BB0_3 Depth=1
	s_or_b64 exec, exec, s[4:5]
	v_cmp_gt_u32_e32 vcc, 8, v14
                                        ; implicit-def: $vgpr12_vgpr13
                                        ; implicit-def: $sgpr14
	s_and_saveexec_b64 s[4:5], vcc
	s_xor_b64 s[4:5], exec, s[4:5]
	s_cbranch_execz .LBB0_17
; %bb.12:                               ;   in Loop: Header=BB0_3 Depth=1
	v_cmp_ne_u32_e32 vcc, 0, v14
	v_pk_mov_b32 v[12:13], 0, 0
	s_and_saveexec_b64 s[14:15], vcc
	s_cbranch_execz .LBB0_16
; %bb.13:                               ;   in Loop: Header=BB0_3 Depth=1
	s_mov_b64 s[16:17], 0
	v_pk_mov_b32 v[12:13], 0, 0
	s_mov_b64 s[18:19], 0
	s_mov_b64 s[20:21], 0
.LBB0_14:                               ;   Parent Loop BB0_3 Depth=1
                                        ; =>  This Inner Loop Header: Depth=2
	v_mov_b32_e32 v15, s21
	v_add_co_u32_e32 v16, vcc, s20, v8
	v_addc_co_u32_e32 v17, vcc, v9, v15, vcc
	flat_load_ubyte v15, v[16:17]
	s_add_u32 s20, s20, 1
	v_mov_b32_e32 v17, s22
	s_addc_u32 s21, s21, 0
	v_cmp_eq_u32_e32 vcc, s20, v14
	s_waitcnt vmcnt(0) lgkmcnt(0)
	v_and_b32_e32 v16, 0xffff, v15
	v_lshlrev_b64 v[16:17], s18, v[16:17]
	s_add_u32 s18, s18, 8
	s_addc_u32 s19, s19, 0
	v_or_b32_e32 v13, v17, v13
	s_or_b64 s[16:17], vcc, s[16:17]
	v_or_b32_e32 v12, v16, v12
	s_andn2_b64 exec, exec, s[16:17]
	s_cbranch_execnz .LBB0_14
; %bb.15:                               ;   in Loop: Header=BB0_3 Depth=1
	s_or_b64 exec, exec, s[16:17]
.LBB0_16:                               ;   in Loop: Header=BB0_3 Depth=1
	s_or_b64 exec, exec, s[14:15]
	s_mov_b32 s14, 0
                                        ; implicit-def: $vgpr14
.LBB0_17:                               ;   in Loop: Header=BB0_3 Depth=1
	s_or_saveexec_b64 s[4:5], s[4:5]
	v_mov_b32_e32 v16, s14
	s_xor_b64 exec, exec, s[4:5]
	s_cbranch_execz .LBB0_19
; %bb.18:                               ;   in Loop: Header=BB0_3 Depth=1
	flat_load_dwordx2 v[12:13], v[8:9]
	v_add_u32_e32 v16, -8, v14
	v_add_co_u32_e32 v8, vcc, 8, v8
	v_addc_co_u32_e32 v9, vcc, 0, v9, vcc
	s_waitcnt vmcnt(0) lgkmcnt(0)
	v_and_b32_e32 v14, 0xff, v13
	v_and_b32_e32 v15, 0xff00, v13
	;; [unrolled: 1-line block ×4, first 2 shown]
	v_or_b32_e32 v14, v14, v15
	v_or3_b32 v12, v12, 0, 0
	v_or3_b32 v13, v14, v17, v13
.LBB0_19:                               ;   in Loop: Header=BB0_3 Depth=1
	s_or_b64 exec, exec, s[4:5]
	v_cmp_gt_u32_e32 vcc, 8, v16
                                        ; implicit-def: $sgpr14
	s_and_saveexec_b64 s[4:5], vcc
	s_xor_b64 s[4:5], exec, s[4:5]
	s_cbranch_execz .LBB0_25
; %bb.20:                               ;   in Loop: Header=BB0_3 Depth=1
	v_cmp_ne_u32_e32 vcc, 0, v16
	v_pk_mov_b32 v[14:15], 0, 0
	s_and_saveexec_b64 s[14:15], vcc
	s_cbranch_execz .LBB0_24
; %bb.21:                               ;   in Loop: Header=BB0_3 Depth=1
	s_mov_b64 s[16:17], 0
	v_pk_mov_b32 v[14:15], 0, 0
	s_mov_b64 s[18:19], 0
	s_mov_b64 s[20:21], 0
.LBB0_22:                               ;   Parent Loop BB0_3 Depth=1
                                        ; =>  This Inner Loop Header: Depth=2
	v_mov_b32_e32 v17, s21
	v_add_co_u32_e32 v18, vcc, s20, v8
	v_addc_co_u32_e32 v19, vcc, v9, v17, vcc
	flat_load_ubyte v17, v[18:19]
	s_add_u32 s20, s20, 1
	v_mov_b32_e32 v19, s22
	s_addc_u32 s21, s21, 0
	v_cmp_eq_u32_e32 vcc, s20, v16
	s_waitcnt vmcnt(0) lgkmcnt(0)
	v_and_b32_e32 v18, 0xffff, v17
	v_lshlrev_b64 v[18:19], s18, v[18:19]
	s_add_u32 s18, s18, 8
	s_addc_u32 s19, s19, 0
	v_or_b32_e32 v15, v19, v15
	s_or_b64 s[16:17], vcc, s[16:17]
	v_or_b32_e32 v14, v18, v14
	s_andn2_b64 exec, exec, s[16:17]
	s_cbranch_execnz .LBB0_22
; %bb.23:                               ;   in Loop: Header=BB0_3 Depth=1
	s_or_b64 exec, exec, s[16:17]
.LBB0_24:                               ;   in Loop: Header=BB0_3 Depth=1
	s_or_b64 exec, exec, s[14:15]
	s_mov_b32 s14, 0
                                        ; implicit-def: $vgpr16
.LBB0_25:                               ;   in Loop: Header=BB0_3 Depth=1
	s_or_saveexec_b64 s[4:5], s[4:5]
	v_mov_b32_e32 v18, s14
	s_xor_b64 exec, exec, s[4:5]
	s_cbranch_execz .LBB0_27
; %bb.26:                               ;   in Loop: Header=BB0_3 Depth=1
	flat_load_dwordx2 v[14:15], v[8:9]
	v_add_u32_e32 v18, -8, v16
	v_add_co_u32_e32 v8, vcc, 8, v8
	v_addc_co_u32_e32 v9, vcc, 0, v9, vcc
	s_waitcnt vmcnt(0) lgkmcnt(0)
	v_and_b32_e32 v16, 0xff, v15
	v_and_b32_e32 v17, 0xff00, v15
	;; [unrolled: 1-line block ×4, first 2 shown]
	v_or_b32_e32 v16, v16, v17
	v_or3_b32 v14, v14, 0, 0
	v_or3_b32 v15, v16, v19, v15
.LBB0_27:                               ;   in Loop: Header=BB0_3 Depth=1
	s_or_b64 exec, exec, s[4:5]
	v_cmp_gt_u32_e32 vcc, 8, v18
                                        ; implicit-def: $vgpr16_vgpr17
                                        ; implicit-def: $sgpr14
	s_and_saveexec_b64 s[4:5], vcc
	s_xor_b64 s[4:5], exec, s[4:5]
	s_cbranch_execz .LBB0_33
; %bb.28:                               ;   in Loop: Header=BB0_3 Depth=1
	v_cmp_ne_u32_e32 vcc, 0, v18
	v_pk_mov_b32 v[16:17], 0, 0
	s_and_saveexec_b64 s[14:15], vcc
	s_cbranch_execz .LBB0_32
; %bb.29:                               ;   in Loop: Header=BB0_3 Depth=1
	s_mov_b64 s[16:17], 0
	v_pk_mov_b32 v[16:17], 0, 0
	s_mov_b64 s[18:19], 0
	s_mov_b64 s[20:21], 0
.LBB0_30:                               ;   Parent Loop BB0_3 Depth=1
                                        ; =>  This Inner Loop Header: Depth=2
	v_mov_b32_e32 v19, s21
	v_add_co_u32_e32 v20, vcc, s20, v8
	v_addc_co_u32_e32 v21, vcc, v9, v19, vcc
	flat_load_ubyte v19, v[20:21]
	s_add_u32 s20, s20, 1
	v_mov_b32_e32 v21, s22
	s_addc_u32 s21, s21, 0
	v_cmp_eq_u32_e32 vcc, s20, v18
	s_waitcnt vmcnt(0) lgkmcnt(0)
	v_and_b32_e32 v20, 0xffff, v19
	v_lshlrev_b64 v[20:21], s18, v[20:21]
	s_add_u32 s18, s18, 8
	s_addc_u32 s19, s19, 0
	v_or_b32_e32 v17, v21, v17
	s_or_b64 s[16:17], vcc, s[16:17]
	v_or_b32_e32 v16, v20, v16
	s_andn2_b64 exec, exec, s[16:17]
	s_cbranch_execnz .LBB0_30
; %bb.31:                               ;   in Loop: Header=BB0_3 Depth=1
	s_or_b64 exec, exec, s[16:17]
.LBB0_32:                               ;   in Loop: Header=BB0_3 Depth=1
	s_or_b64 exec, exec, s[14:15]
	s_mov_b32 s14, 0
                                        ; implicit-def: $vgpr18
.LBB0_33:                               ;   in Loop: Header=BB0_3 Depth=1
	s_or_saveexec_b64 s[4:5], s[4:5]
	v_mov_b32_e32 v20, s14
	s_xor_b64 exec, exec, s[4:5]
	s_cbranch_execz .LBB0_35
; %bb.34:                               ;   in Loop: Header=BB0_3 Depth=1
	flat_load_dwordx2 v[16:17], v[8:9]
	v_add_u32_e32 v20, -8, v18
	v_add_co_u32_e32 v8, vcc, 8, v8
	v_addc_co_u32_e32 v9, vcc, 0, v9, vcc
	s_waitcnt vmcnt(0) lgkmcnt(0)
	v_and_b32_e32 v18, 0xff, v17
	v_and_b32_e32 v19, 0xff00, v17
	;; [unrolled: 1-line block ×4, first 2 shown]
	v_or_b32_e32 v18, v18, v19
	v_or3_b32 v16, v16, 0, 0
	v_or3_b32 v17, v18, v21, v17
.LBB0_35:                               ;   in Loop: Header=BB0_3 Depth=1
	s_or_b64 exec, exec, s[4:5]
	v_cmp_gt_u32_e32 vcc, 8, v20
                                        ; implicit-def: $sgpr14
	s_and_saveexec_b64 s[4:5], vcc
	s_xor_b64 s[4:5], exec, s[4:5]
	s_cbranch_execz .LBB0_41
; %bb.36:                               ;   in Loop: Header=BB0_3 Depth=1
	v_cmp_ne_u32_e32 vcc, 0, v20
	v_pk_mov_b32 v[18:19], 0, 0
	s_and_saveexec_b64 s[14:15], vcc
	s_cbranch_execz .LBB0_40
; %bb.37:                               ;   in Loop: Header=BB0_3 Depth=1
	s_mov_b64 s[16:17], 0
	v_pk_mov_b32 v[18:19], 0, 0
	s_mov_b64 s[18:19], 0
	s_mov_b64 s[20:21], 0
.LBB0_38:                               ;   Parent Loop BB0_3 Depth=1
                                        ; =>  This Inner Loop Header: Depth=2
	v_mov_b32_e32 v21, s21
	v_add_co_u32_e32 v22, vcc, s20, v8
	v_addc_co_u32_e32 v23, vcc, v9, v21, vcc
	flat_load_ubyte v21, v[22:23]
	s_add_u32 s20, s20, 1
	v_mov_b32_e32 v23, s22
	s_addc_u32 s21, s21, 0
	v_cmp_eq_u32_e32 vcc, s20, v20
	s_waitcnt vmcnt(0) lgkmcnt(0)
	v_and_b32_e32 v22, 0xffff, v21
	v_lshlrev_b64 v[22:23], s18, v[22:23]
	s_add_u32 s18, s18, 8
	s_addc_u32 s19, s19, 0
	v_or_b32_e32 v19, v23, v19
	s_or_b64 s[16:17], vcc, s[16:17]
	v_or_b32_e32 v18, v22, v18
	s_andn2_b64 exec, exec, s[16:17]
	s_cbranch_execnz .LBB0_38
; %bb.39:                               ;   in Loop: Header=BB0_3 Depth=1
	s_or_b64 exec, exec, s[16:17]
.LBB0_40:                               ;   in Loop: Header=BB0_3 Depth=1
	s_or_b64 exec, exec, s[14:15]
	s_mov_b32 s14, 0
                                        ; implicit-def: $vgpr20
.LBB0_41:                               ;   in Loop: Header=BB0_3 Depth=1
	s_or_saveexec_b64 s[4:5], s[4:5]
	v_mov_b32_e32 v22, s14
	s_xor_b64 exec, exec, s[4:5]
	s_cbranch_execz .LBB0_43
; %bb.42:                               ;   in Loop: Header=BB0_3 Depth=1
	flat_load_dwordx2 v[18:19], v[8:9]
	v_add_u32_e32 v22, -8, v20
	v_add_co_u32_e32 v8, vcc, 8, v8
	v_addc_co_u32_e32 v9, vcc, 0, v9, vcc
	s_waitcnt vmcnt(0) lgkmcnt(0)
	v_and_b32_e32 v20, 0xff, v19
	v_and_b32_e32 v21, 0xff00, v19
	v_and_b32_e32 v23, 0xff0000, v19
	v_and_b32_e32 v19, 0xff000000, v19
	v_or_b32_e32 v20, v20, v21
	v_or3_b32 v18, v18, 0, 0
	v_or3_b32 v19, v20, v23, v19
.LBB0_43:                               ;   in Loop: Header=BB0_3 Depth=1
	s_or_b64 exec, exec, s[4:5]
	v_cmp_gt_u32_e32 vcc, 8, v22
                                        ; implicit-def: $vgpr20_vgpr21
                                        ; implicit-def: $sgpr14
	s_and_saveexec_b64 s[4:5], vcc
	s_xor_b64 s[4:5], exec, s[4:5]
	s_cbranch_execz .LBB0_49
; %bb.44:                               ;   in Loop: Header=BB0_3 Depth=1
	v_cmp_ne_u32_e32 vcc, 0, v22
	v_pk_mov_b32 v[20:21], 0, 0
	s_and_saveexec_b64 s[14:15], vcc
	s_cbranch_execz .LBB0_48
; %bb.45:                               ;   in Loop: Header=BB0_3 Depth=1
	s_mov_b64 s[16:17], 0
	v_pk_mov_b32 v[20:21], 0, 0
	s_mov_b64 s[18:19], 0
	s_mov_b64 s[20:21], 0
.LBB0_46:                               ;   Parent Loop BB0_3 Depth=1
                                        ; =>  This Inner Loop Header: Depth=2
	v_mov_b32_e32 v23, s21
	v_add_co_u32_e32 v24, vcc, s20, v8
	v_addc_co_u32_e32 v25, vcc, v9, v23, vcc
	flat_load_ubyte v23, v[24:25]
	s_add_u32 s20, s20, 1
	v_mov_b32_e32 v25, s22
	s_addc_u32 s21, s21, 0
	v_cmp_eq_u32_e32 vcc, s20, v22
	s_waitcnt vmcnt(0) lgkmcnt(0)
	v_and_b32_e32 v24, 0xffff, v23
	v_lshlrev_b64 v[24:25], s18, v[24:25]
	s_add_u32 s18, s18, 8
	s_addc_u32 s19, s19, 0
	v_or_b32_e32 v21, v25, v21
	s_or_b64 s[16:17], vcc, s[16:17]
	v_or_b32_e32 v20, v24, v20
	s_andn2_b64 exec, exec, s[16:17]
	s_cbranch_execnz .LBB0_46
; %bb.47:                               ;   in Loop: Header=BB0_3 Depth=1
	s_or_b64 exec, exec, s[16:17]
.LBB0_48:                               ;   in Loop: Header=BB0_3 Depth=1
	s_or_b64 exec, exec, s[14:15]
	s_mov_b32 s14, 0
                                        ; implicit-def: $vgpr22
.LBB0_49:                               ;   in Loop: Header=BB0_3 Depth=1
	s_or_saveexec_b64 s[4:5], s[4:5]
	v_mov_b32_e32 v24, s14
	s_xor_b64 exec, exec, s[4:5]
	s_cbranch_execz .LBB0_51
; %bb.50:                               ;   in Loop: Header=BB0_3 Depth=1
	flat_load_dwordx2 v[20:21], v[8:9]
	v_add_u32_e32 v24, -8, v22
	v_add_co_u32_e32 v8, vcc, 8, v8
	v_addc_co_u32_e32 v9, vcc, 0, v9, vcc
	s_waitcnt vmcnt(0) lgkmcnt(0)
	v_and_b32_e32 v22, 0xff, v21
	v_and_b32_e32 v23, 0xff00, v21
	;; [unrolled: 1-line block ×4, first 2 shown]
	v_or_b32_e32 v22, v22, v23
	v_or3_b32 v20, v20, 0, 0
	v_or3_b32 v21, v22, v25, v21
.LBB0_51:                               ;   in Loop: Header=BB0_3 Depth=1
	s_or_b64 exec, exec, s[4:5]
	v_cmp_gt_u32_e32 vcc, 8, v24
	s_and_saveexec_b64 s[4:5], vcc
	s_xor_b64 s[4:5], exec, s[4:5]
	s_cbranch_execz .LBB0_57
; %bb.52:                               ;   in Loop: Header=BB0_3 Depth=1
	v_cmp_ne_u32_e32 vcc, 0, v24
	v_pk_mov_b32 v[22:23], 0, 0
	s_and_saveexec_b64 s[14:15], vcc
	s_cbranch_execz .LBB0_56
; %bb.53:                               ;   in Loop: Header=BB0_3 Depth=1
	s_mov_b64 s[16:17], 0
	v_pk_mov_b32 v[22:23], 0, 0
	s_mov_b64 s[18:19], 0
.LBB0_54:                               ;   Parent Loop BB0_3 Depth=1
                                        ; =>  This Inner Loop Header: Depth=2
	flat_load_ubyte v25, v[8:9]
	v_mov_b32_e32 v27, s22
	v_add_co_u32_e32 v8, vcc, 1, v8
	v_add_u32_e32 v24, -1, v24
	v_addc_co_u32_e32 v9, vcc, 0, v9, vcc
	v_cmp_eq_u32_e32 vcc, 0, v24
	s_waitcnt vmcnt(0) lgkmcnt(0)
	v_and_b32_e32 v26, 0xffff, v25
	v_lshlrev_b64 v[26:27], s18, v[26:27]
	s_add_u32 s18, s18, 8
	s_addc_u32 s19, s19, 0
	v_or_b32_e32 v23, v27, v23
	s_or_b64 s[16:17], vcc, s[16:17]
	v_or_b32_e32 v22, v26, v22
	s_andn2_b64 exec, exec, s[16:17]
	s_cbranch_execnz .LBB0_54
; %bb.55:                               ;   in Loop: Header=BB0_3 Depth=1
	s_or_b64 exec, exec, s[16:17]
.LBB0_56:                               ;   in Loop: Header=BB0_3 Depth=1
	s_or_b64 exec, exec, s[14:15]
                                        ; implicit-def: $vgpr8_vgpr9
.LBB0_57:                               ;   in Loop: Header=BB0_3 Depth=1
	s_andn2_saveexec_b64 s[4:5], s[4:5]
	s_cbranch_execz .LBB0_59
; %bb.58:                               ;   in Loop: Header=BB0_3 Depth=1
	flat_load_dwordx2 v[8:9], v[8:9]
	s_waitcnt vmcnt(0) lgkmcnt(0)
	v_and_b32_e32 v22, 0xff, v9
	v_and_b32_e32 v23, 0xff00, v9
	;; [unrolled: 1-line block ×4, first 2 shown]
	v_or_b32_e32 v22, v22, v23
	v_or3_b32 v23, v22, v24, v9
	v_or3_b32 v22, v8, 0, 0
.LBB0_59:                               ;   in Loop: Header=BB0_3 Depth=1
	s_or_b64 exec, exec, s[4:5]
	v_readfirstlane_b32 s4, v32
	v_cmp_eq_u32_e64 s[4:5], s4, v32
	v_pk_mov_b32 v[8:9], 0, 0
	s_and_saveexec_b64 s[14:15], s[4:5]
	s_cbranch_execz .LBB0_65
; %bb.60:                               ;   in Loop: Header=BB0_3 Depth=1
	s_waitcnt lgkmcnt(0)
	global_load_dwordx2 v[26:27], v31, s[12:13] offset:24 glc
	s_waitcnt vmcnt(0)
	buffer_invl2
	buffer_wbinvl1_vol
	global_load_dwordx2 v[8:9], v31, s[12:13] offset:40
	global_load_dwordx2 v[24:25], v31, s[12:13]
	s_waitcnt vmcnt(1)
	v_and_b32_e32 v8, v8, v26
	v_and_b32_e32 v9, v9, v27
	v_mul_lo_u32 v9, v9, 24
	v_mul_hi_u32 v29, v8, 24
	v_mul_lo_u32 v8, v8, 24
	v_add_u32_e32 v9, v29, v9
	s_waitcnt vmcnt(0)
	v_add_co_u32_e32 v8, vcc, v24, v8
	v_addc_co_u32_e32 v9, vcc, v25, v9, vcc
	global_load_dwordx2 v[24:25], v[8:9], off glc
	s_waitcnt vmcnt(0)
	global_atomic_cmpswap_x2 v[8:9], v31, v[24:27], s[12:13] offset:24 glc
	s_waitcnt vmcnt(0)
	buffer_invl2
	buffer_wbinvl1_vol
	v_cmp_ne_u64_e32 vcc, v[8:9], v[26:27]
	s_and_saveexec_b64 s[16:17], vcc
	s_cbranch_execz .LBB0_64
; %bb.61:                               ;   in Loop: Header=BB0_3 Depth=1
	s_mov_b64 s[18:19], 0
.LBB0_62:                               ;   Parent Loop BB0_3 Depth=1
                                        ; =>  This Inner Loop Header: Depth=2
	s_sleep 1
	global_load_dwordx2 v[24:25], v31, s[12:13] offset:40
	global_load_dwordx2 v[36:37], v31, s[12:13]
	v_pk_mov_b32 v[26:27], v[8:9], v[8:9] op_sel:[0,1]
	s_waitcnt vmcnt(1)
	v_and_b32_e32 v8, v24, v26
	s_waitcnt vmcnt(0)
	v_mad_u64_u32 v[8:9], s[20:21], v8, 24, v[36:37]
	v_and_b32_e32 v25, v25, v27
	v_mov_b32_e32 v24, v9
	v_mad_u64_u32 v[24:25], s[20:21], v25, 24, v[24:25]
	v_mov_b32_e32 v9, v24
	global_load_dwordx2 v[24:25], v[8:9], off glc
	s_waitcnt vmcnt(0)
	global_atomic_cmpswap_x2 v[8:9], v31, v[24:27], s[12:13] offset:24 glc
	s_waitcnt vmcnt(0)
	buffer_invl2
	buffer_wbinvl1_vol
	v_cmp_eq_u64_e32 vcc, v[8:9], v[26:27]
	s_or_b64 s[18:19], vcc, s[18:19]
	s_andn2_b64 exec, exec, s[18:19]
	s_cbranch_execnz .LBB0_62
; %bb.63:                               ;   in Loop: Header=BB0_3 Depth=1
	s_or_b64 exec, exec, s[18:19]
.LBB0_64:                               ;   in Loop: Header=BB0_3 Depth=1
	s_or_b64 exec, exec, s[16:17]
.LBB0_65:                               ;   in Loop: Header=BB0_3 Depth=1
	s_or_b64 exec, exec, s[14:15]
	s_waitcnt lgkmcnt(0)
	global_load_dwordx2 v[36:37], v31, s[12:13] offset:40
	global_load_dwordx4 v[24:27], v31, s[12:13]
	v_readfirstlane_b32 s14, v8
	v_readfirstlane_b32 s15, v9
	s_mov_b64 s[16:17], exec
	s_waitcnt vmcnt(1)
	v_readfirstlane_b32 s18, v36
	v_readfirstlane_b32 s19, v37
	s_and_b64 s[18:19], s[14:15], s[18:19]
	s_mul_i32 s20, s19, 24
	s_mul_hi_u32 s21, s18, 24
	s_mul_i32 s24, s18, 24
	s_add_i32 s20, s21, s20
	v_mov_b32_e32 v8, s20
	s_waitcnt vmcnt(0)
	v_add_co_u32_e32 v36, vcc, s24, v24
	v_addc_co_u32_e32 v37, vcc, v25, v8, vcc
	s_and_saveexec_b64 s[20:21], s[4:5]
	s_cbranch_execz .LBB0_67
; %bb.66:                               ;   in Loop: Header=BB0_3 Depth=1
	v_pk_mov_b32 v[8:9], s[16:17], s[16:17] op_sel:[0,1]
	global_store_dwordx4 v[36:37], v[8:11], off offset:8
.LBB0_67:                               ;   in Loop: Header=BB0_3 Depth=1
	s_or_b64 exec, exec, s[20:21]
	s_lshl_b64 s[16:17], s[18:19], 12
	v_mov_b32_e32 v9, s17
	v_add_co_u32_e32 v8, vcc, s16, v26
	v_addc_co_u32_e32 v9, vcc, v27, v9, vcc
	v_or_b32_e32 v26, 0, v1
	v_cmp_lt_u64_e32 vcc, 56, v[4:5]
	v_or_b32_e32 v27, v0, v28
	v_cndmask_b32_e32 v1, v26, v1, vcc
	v_lshl_add_u32 v26, v34, 2, 28
	v_cndmask_b32_e32 v0, v27, v0, vcc
	v_and_b32_e32 v26, 0x1e0, v26
	v_and_or_b32 v0, v0, s23, v26
	v_lshlrev_b32_e32 v26, 6, v32
	v_readfirstlane_b32 s16, v8
	v_readfirstlane_b32 s17, v9
	s_nop 4
	global_store_dwordx4 v26, v[0:3], s[16:17]
	global_store_dwordx4 v26, v[12:15], s[16:17] offset:16
	global_store_dwordx4 v26, v[16:19], s[16:17] offset:32
	;; [unrolled: 1-line block ×3, first 2 shown]
	s_and_saveexec_b64 s[16:17], s[4:5]
	s_cbranch_execz .LBB0_75
; %bb.68:                               ;   in Loop: Header=BB0_3 Depth=1
	global_load_dwordx2 v[16:17], v31, s[12:13] offset:32 glc
	global_load_dwordx2 v[0:1], v31, s[12:13] offset:40
	v_mov_b32_e32 v14, s14
	v_mov_b32_e32 v15, s15
	s_waitcnt vmcnt(0)
	v_readfirstlane_b32 s18, v0
	v_readfirstlane_b32 s19, v1
	s_and_b64 s[18:19], s[18:19], s[14:15]
	s_mul_i32 s19, s19, 24
	s_mul_hi_u32 s20, s18, 24
	s_mul_i32 s18, s18, 24
	s_add_i32 s19, s20, s19
	v_mov_b32_e32 v0, s19
	v_add_co_u32_e32 v12, vcc, s18, v24
	v_addc_co_u32_e32 v13, vcc, v25, v0, vcc
	global_store_dwordx2 v[12:13], v[16:17], off
	buffer_wbl2
	s_waitcnt vmcnt(0)
	global_atomic_cmpswap_x2 v[2:3], v31, v[14:17], s[12:13] offset:32 glc
	s_waitcnt vmcnt(0)
	v_cmp_ne_u64_e32 vcc, v[2:3], v[16:17]
	s_and_saveexec_b64 s[18:19], vcc
	s_cbranch_execz .LBB0_71
; %bb.69:                               ;   in Loop: Header=BB0_3 Depth=1
	s_mov_b64 s[20:21], 0
.LBB0_70:                               ;   Parent Loop BB0_3 Depth=1
                                        ; =>  This Inner Loop Header: Depth=2
	s_sleep 1
	global_store_dwordx2 v[12:13], v[2:3], off
	v_mov_b32_e32 v0, s14
	v_mov_b32_e32 v1, s15
	buffer_wbl2
	s_waitcnt vmcnt(0)
	global_atomic_cmpswap_x2 v[0:1], v31, v[0:3], s[12:13] offset:32 glc
	s_waitcnt vmcnt(0)
	v_cmp_eq_u64_e32 vcc, v[0:1], v[2:3]
	s_or_b64 s[20:21], vcc, s[20:21]
	v_pk_mov_b32 v[2:3], v[0:1], v[0:1] op_sel:[0,1]
	s_andn2_b64 exec, exec, s[20:21]
	s_cbranch_execnz .LBB0_70
.LBB0_71:                               ;   in Loop: Header=BB0_3 Depth=1
	s_or_b64 exec, exec, s[18:19]
	global_load_dwordx2 v[0:1], v31, s[12:13] offset:16
	s_mov_b64 s[20:21], exec
	v_mbcnt_lo_u32_b32 v2, s20, 0
	v_mbcnt_hi_u32_b32 v2, s21, v2
	v_cmp_eq_u32_e32 vcc, 0, v2
	s_and_saveexec_b64 s[18:19], vcc
	s_cbranch_execz .LBB0_73
; %bb.72:                               ;   in Loop: Header=BB0_3 Depth=1
	s_bcnt1_i32_b64 s20, s[20:21]
	v_mov_b32_e32 v30, s20
	buffer_wbl2
	s_waitcnt vmcnt(0)
	global_atomic_add_x2 v[0:1], v[30:31], off offset:8
.LBB0_73:                               ;   in Loop: Header=BB0_3 Depth=1
	s_or_b64 exec, exec, s[18:19]
	s_waitcnt vmcnt(0)
	global_load_dwordx2 v[2:3], v[0:1], off offset:16
	s_waitcnt vmcnt(0)
	v_cmp_eq_u64_e32 vcc, 0, v[2:3]
	s_cbranch_vccnz .LBB0_75
; %bb.74:                               ;   in Loop: Header=BB0_3 Depth=1
	global_load_dword v30, v[0:1], off offset:24
	s_waitcnt vmcnt(0)
	v_and_b32_e32 v0, 0xffffff, v30
	v_readfirstlane_b32 m0, v0
	buffer_wbl2
	global_store_dwordx2 v[2:3], v[30:31], off
	s_sendmsg sendmsg(MSG_INTERRUPT)
.LBB0_75:                               ;   in Loop: Header=BB0_3 Depth=1
	s_or_b64 exec, exec, s[16:17]
	v_add_co_u32_e32 v0, vcc, v8, v26
	v_addc_co_u32_e32 v1, vcc, 0, v9, vcc
	s_branch .LBB0_79
.LBB0_76:                               ;   in Loop: Header=BB0_79 Depth=2
	s_or_b64 exec, exec, s[16:17]
	v_readfirstlane_b32 s16, v2
	s_cmp_eq_u32 s16, 0
	s_cbranch_scc1 .LBB0_78
; %bb.77:                               ;   in Loop: Header=BB0_79 Depth=2
	s_sleep 1
	s_cbranch_execnz .LBB0_79
	s_branch .LBB0_81
.LBB0_78:                               ;   in Loop: Header=BB0_3 Depth=1
	s_branch .LBB0_81
.LBB0_79:                               ;   Parent Loop BB0_3 Depth=1
                                        ; =>  This Inner Loop Header: Depth=2
	v_mov_b32_e32 v2, 1
	s_and_saveexec_b64 s[16:17], s[4:5]
	s_cbranch_execz .LBB0_76
; %bb.80:                               ;   in Loop: Header=BB0_79 Depth=2
	global_load_dword v2, v[36:37], off offset:20 glc
	s_waitcnt vmcnt(0)
	buffer_invl2
	buffer_wbinvl1_vol
	v_and_b32_e32 v2, 1, v2
	s_branch .LBB0_76
.LBB0_81:                               ;   in Loop: Header=BB0_3 Depth=1
	global_load_dwordx4 v[0:3], v[0:1], off
	s_and_saveexec_b64 s[16:17], s[4:5]
	s_cbranch_execz .LBB0_2
; %bb.82:                               ;   in Loop: Header=BB0_3 Depth=1
	global_load_dwordx2 v[2:3], v31, s[12:13] offset:40
	global_load_dwordx2 v[8:9], v31, s[12:13] offset:24 glc
	global_load_dwordx2 v[16:17], v31, s[12:13]
	v_mov_b32_e32 v13, s15
	s_waitcnt vmcnt(2)
	v_add_co_u32_e32 v15, vcc, 1, v2
	v_addc_co_u32_e32 v18, vcc, 0, v3, vcc
	v_add_co_u32_e32 v12, vcc, s14, v15
	v_addc_co_u32_e32 v13, vcc, v18, v13, vcc
	v_cmp_eq_u64_e32 vcc, 0, v[12:13]
	v_cndmask_b32_e32 v13, v13, v18, vcc
	v_cndmask_b32_e32 v12, v12, v15, vcc
	v_and_b32_e32 v3, v13, v3
	v_and_b32_e32 v2, v12, v2
	v_mul_lo_u32 v3, v3, 24
	v_mul_hi_u32 v15, v2, 24
	v_mul_lo_u32 v2, v2, 24
	v_add_u32_e32 v3, v15, v3
	s_waitcnt vmcnt(0)
	v_add_co_u32_e32 v2, vcc, v16, v2
	v_addc_co_u32_e32 v3, vcc, v17, v3, vcc
	v_mov_b32_e32 v14, v8
	global_store_dwordx2 v[2:3], v[8:9], off
	v_mov_b32_e32 v15, v9
	buffer_wbl2
	s_waitcnt vmcnt(0)
	global_atomic_cmpswap_x2 v[14:15], v31, v[12:15], s[12:13] offset:24 glc
	s_waitcnt vmcnt(0)
	v_cmp_ne_u64_e32 vcc, v[14:15], v[8:9]
	s_and_b64 exec, exec, vcc
	s_cbranch_execz .LBB0_2
; %bb.83:                               ;   in Loop: Header=BB0_3 Depth=1
	s_mov_b64 s[4:5], 0
.LBB0_84:                               ;   Parent Loop BB0_3 Depth=1
                                        ; =>  This Inner Loop Header: Depth=2
	s_sleep 1
	global_store_dwordx2 v[2:3], v[14:15], off
	buffer_wbl2
	s_waitcnt vmcnt(0)
	global_atomic_cmpswap_x2 v[8:9], v31, v[12:15], s[12:13] offset:24 glc
	s_waitcnt vmcnt(0)
	v_cmp_eq_u64_e32 vcc, v[8:9], v[14:15]
	s_or_b64 s[4:5], vcc, s[4:5]
	v_pk_mov_b32 v[14:15], v[8:9], v[8:9] op_sel:[0,1]
	s_andn2_b64 exec, exec, s[4:5]
	s_cbranch_execnz .LBB0_84
	s_branch .LBB0_2
.LBB0_85:
	s_or_b64 exec, exec, s[6:7]
                                        ; implicit-def: $vgpr3
                                        ; implicit-def: $vgpr2
.LBB0_86:
	s_andn2_saveexec_b64 s[6:7], s[10:11]
	s_cbranch_execz .LBB0_109
; %bb.87:
	s_load_dwordx2 s[8:9], s[8:9], 0x50
	s_waitcnt vmcnt(0)
	v_mbcnt_hi_u32_b32 v10, -1, v2
	v_readfirstlane_b32 s4, v10
	v_cmp_eq_u32_e64 s[4:5], s4, v10
	v_pk_mov_b32 v[8:9], 0, 0
	s_and_saveexec_b64 s[10:11], s[4:5]
	s_cbranch_execz .LBB0_93
; %bb.88:
	v_mov_b32_e32 v0, 0
	s_waitcnt lgkmcnt(0)
	global_load_dwordx2 v[6:7], v0, s[8:9] offset:24 glc
	s_waitcnt vmcnt(0)
	buffer_invl2
	buffer_wbinvl1_vol
	global_load_dwordx2 v[4:5], v0, s[8:9] offset:40
	global_load_dwordx2 v[8:9], v0, s[8:9]
	s_waitcnt vmcnt(1)
	v_and_b32_e32 v2, v4, v6
	v_and_b32_e32 v4, v5, v7
	v_mul_lo_u32 v4, v4, 24
	v_mul_hi_u32 v5, v2, 24
	v_mul_lo_u32 v2, v2, 24
	v_add_u32_e32 v5, v5, v4
	s_waitcnt vmcnt(0)
	v_add_co_u32_e32 v4, vcc, v8, v2
	v_addc_co_u32_e32 v5, vcc, v9, v5, vcc
	global_load_dwordx2 v[4:5], v[4:5], off glc
	s_waitcnt vmcnt(0)
	global_atomic_cmpswap_x2 v[8:9], v0, v[4:7], s[8:9] offset:24 glc
	s_waitcnt vmcnt(0)
	buffer_invl2
	buffer_wbinvl1_vol
	v_cmp_ne_u64_e32 vcc, v[8:9], v[6:7]
	s_and_saveexec_b64 s[12:13], vcc
	s_cbranch_execz .LBB0_92
; %bb.89:
	s_mov_b64 s[14:15], 0
.LBB0_90:                               ; =>This Inner Loop Header: Depth=1
	s_sleep 1
	global_load_dwordx2 v[4:5], v0, s[8:9] offset:40
	global_load_dwordx2 v[12:13], v0, s[8:9]
	v_pk_mov_b32 v[6:7], v[8:9], v[8:9] op_sel:[0,1]
	s_waitcnt vmcnt(1)
	v_and_b32_e32 v2, v4, v6
	v_and_b32_e32 v8, v5, v7
	s_waitcnt vmcnt(0)
	v_mad_u64_u32 v[4:5], s[16:17], v2, 24, v[12:13]
	v_mov_b32_e32 v2, v5
	v_mad_u64_u32 v[8:9], s[16:17], v8, 24, v[2:3]
	v_mov_b32_e32 v5, v8
	global_load_dwordx2 v[4:5], v[4:5], off glc
	s_waitcnt vmcnt(0)
	global_atomic_cmpswap_x2 v[8:9], v0, v[4:7], s[8:9] offset:24 glc
	s_waitcnt vmcnt(0)
	buffer_invl2
	buffer_wbinvl1_vol
	v_cmp_eq_u64_e32 vcc, v[8:9], v[6:7]
	s_or_b64 s[14:15], vcc, s[14:15]
	s_andn2_b64 exec, exec, s[14:15]
	s_cbranch_execnz .LBB0_90
; %bb.91:
	s_or_b64 exec, exec, s[14:15]
.LBB0_92:
	s_or_b64 exec, exec, s[12:13]
.LBB0_93:
	s_or_b64 exec, exec, s[10:11]
	v_mov_b32_e32 v2, 0
	s_waitcnt lgkmcnt(0)
	global_load_dwordx2 v[12:13], v2, s[8:9] offset:40
	global_load_dwordx4 v[4:7], v2, s[8:9]
	v_readfirstlane_b32 s10, v8
	v_readfirstlane_b32 s11, v9
	s_mov_b64 s[12:13], exec
	s_waitcnt vmcnt(1)
	v_readfirstlane_b32 s14, v12
	v_readfirstlane_b32 s15, v13
	s_and_b64 s[14:15], s[10:11], s[14:15]
	s_mul_i32 s16, s15, 24
	s_mul_hi_u32 s17, s14, 24
	s_mul_i32 s18, s14, 24
	s_add_i32 s16, s17, s16
	v_mov_b32_e32 v0, s16
	s_waitcnt vmcnt(0)
	v_add_co_u32_e32 v8, vcc, s18, v4
	v_addc_co_u32_e32 v9, vcc, v5, v0, vcc
	s_and_saveexec_b64 s[16:17], s[4:5]
	s_cbranch_execz .LBB0_95
; %bb.94:
	v_pk_mov_b32 v[12:13], s[12:13], s[12:13] op_sel:[0,1]
	v_mov_b32_e32 v14, 2
	v_mov_b32_e32 v15, 1
	global_store_dwordx4 v[8:9], v[12:15], off offset:8
.LBB0_95:
	s_or_b64 exec, exec, s[16:17]
	s_lshl_b64 s[12:13], s[14:15], 12
	v_mov_b32_e32 v0, s13
	v_add_co_u32_e32 v12, vcc, s12, v6
	s_movk_i32 s12, 0xff1f
	v_addc_co_u32_e32 v11, vcc, v7, v0, vcc
	v_and_or_b32 v0, v3, s12, 32
	s_mov_b32 s12, 0
	v_lshlrev_b32_e32 v10, 6, v10
	v_mov_b32_e32 v3, v2
	v_readfirstlane_b32 s16, v12
	v_readfirstlane_b32 s17, v11
	s_mov_b32 s13, s12
	v_add_co_u32_e32 v6, vcc, v12, v10
	s_mov_b32 s14, s12
	s_mov_b32 s15, s12
	s_nop 0
	global_store_dwordx4 v10, v[0:3], s[16:17]
	v_addc_co_u32_e32 v7, vcc, 0, v11, vcc
	v_pk_mov_b32 v[0:1], s[12:13], s[12:13] op_sel:[0,1]
	v_pk_mov_b32 v[2:3], s[14:15], s[14:15] op_sel:[0,1]
	global_store_dwordx4 v10, v[0:3], s[16:17] offset:16
	global_store_dwordx4 v10, v[0:3], s[16:17] offset:32
	;; [unrolled: 1-line block ×3, first 2 shown]
	s_and_saveexec_b64 s[12:13], s[4:5]
	s_cbranch_execz .LBB0_103
; %bb.96:
	v_mov_b32_e32 v10, 0
	global_load_dwordx2 v[14:15], v10, s[8:9] offset:32 glc
	global_load_dwordx2 v[0:1], v10, s[8:9] offset:40
	v_mov_b32_e32 v12, s10
	v_mov_b32_e32 v13, s11
	s_waitcnt vmcnt(0)
	v_and_b32_e32 v0, s10, v0
	v_and_b32_e32 v1, s11, v1
	v_mul_lo_u32 v1, v1, 24
	v_mul_hi_u32 v2, v0, 24
	v_mul_lo_u32 v0, v0, 24
	v_add_u32_e32 v1, v2, v1
	v_add_co_u32_e32 v4, vcc, v4, v0
	v_addc_co_u32_e32 v5, vcc, v5, v1, vcc
	global_store_dwordx2 v[4:5], v[14:15], off
	buffer_wbl2
	s_waitcnt vmcnt(0)
	global_atomic_cmpswap_x2 v[2:3], v10, v[12:15], s[8:9] offset:32 glc
	s_waitcnt vmcnt(0)
	v_cmp_ne_u64_e32 vcc, v[2:3], v[14:15]
	s_and_saveexec_b64 s[14:15], vcc
	s_cbranch_execz .LBB0_99
; %bb.97:
	s_mov_b64 s[16:17], 0
.LBB0_98:                               ; =>This Inner Loop Header: Depth=1
	s_sleep 1
	global_store_dwordx2 v[4:5], v[2:3], off
	v_mov_b32_e32 v0, s10
	v_mov_b32_e32 v1, s11
	buffer_wbl2
	s_waitcnt vmcnt(0)
	global_atomic_cmpswap_x2 v[0:1], v10, v[0:3], s[8:9] offset:32 glc
	s_waitcnt vmcnt(0)
	v_cmp_eq_u64_e32 vcc, v[0:1], v[2:3]
	s_or_b64 s[16:17], vcc, s[16:17]
	v_pk_mov_b32 v[2:3], v[0:1], v[0:1] op_sel:[0,1]
	s_andn2_b64 exec, exec, s[16:17]
	s_cbranch_execnz .LBB0_98
.LBB0_99:
	s_or_b64 exec, exec, s[14:15]
	v_mov_b32_e32 v3, 0
	global_load_dwordx2 v[0:1], v3, s[8:9] offset:16
	s_mov_b64 s[14:15], exec
	v_mbcnt_lo_u32_b32 v2, s14, 0
	v_mbcnt_hi_u32_b32 v2, s15, v2
	v_cmp_eq_u32_e32 vcc, 0, v2
	s_and_saveexec_b64 s[16:17], vcc
	s_cbranch_execz .LBB0_101
; %bb.100:
	s_bcnt1_i32_b64 s14, s[14:15]
	v_mov_b32_e32 v2, s14
	buffer_wbl2
	s_waitcnt vmcnt(0)
	global_atomic_add_x2 v[0:1], v[2:3], off offset:8
.LBB0_101:
	s_or_b64 exec, exec, s[16:17]
	s_waitcnt vmcnt(0)
	global_load_dwordx2 v[2:3], v[0:1], off offset:16
	s_waitcnt vmcnt(0)
	v_cmp_eq_u64_e32 vcc, 0, v[2:3]
	s_cbranch_vccnz .LBB0_103
; %bb.102:
	global_load_dword v0, v[0:1], off offset:24
	v_mov_b32_e32 v1, 0
	buffer_wbl2
	s_waitcnt vmcnt(0)
	global_store_dwordx2 v[2:3], v[0:1], off
	v_and_b32_e32 v0, 0xffffff, v0
	v_readfirstlane_b32 m0, v0
	s_sendmsg sendmsg(MSG_INTERRUPT)
.LBB0_103:
	s_or_b64 exec, exec, s[12:13]
	s_branch .LBB0_107
.LBB0_104:                              ;   in Loop: Header=BB0_107 Depth=1
	s_or_b64 exec, exec, s[12:13]
	v_readfirstlane_b32 s12, v0
	s_cmp_eq_u32 s12, 0
	s_cbranch_scc1 .LBB0_106
; %bb.105:                              ;   in Loop: Header=BB0_107 Depth=1
	s_sleep 1
	s_cbranch_execnz .LBB0_107
	s_branch .LBB0_110
.LBB0_106:
	s_branch .LBB0_110
.LBB0_107:                              ; =>This Inner Loop Header: Depth=1
	v_mov_b32_e32 v0, 1
	s_and_saveexec_b64 s[12:13], s[4:5]
	s_cbranch_execz .LBB0_104
; %bb.108:                              ;   in Loop: Header=BB0_107 Depth=1
	global_load_dword v0, v[8:9], off offset:20 glc
	s_waitcnt vmcnt(0)
	buffer_invl2
	buffer_wbinvl1_vol
	v_and_b32_e32 v0, 1, v0
	s_branch .LBB0_104
.LBB0_109:
	s_or_b64 exec, exec, s[6:7]
	s_waitcnt vmcnt(0) lgkmcnt(0)
	s_setpc_b64 s[30:31]
.LBB0_110:
	global_load_dwordx2 v[0:1], v[6:7], off
	s_and_saveexec_b64 s[12:13], s[4:5]
	s_cbranch_execz .LBB0_113
; %bb.111:
	v_mov_b32_e32 v8, 0
	global_load_dwordx2 v[6:7], v8, s[8:9] offset:40
	global_load_dwordx2 v[10:11], v8, s[8:9] offset:24 glc
	global_load_dwordx2 v[12:13], v8, s[8:9]
	v_mov_b32_e32 v3, s11
	s_mov_b64 s[4:5], 0
	s_waitcnt vmcnt(2)
	v_add_co_u32_e32 v5, vcc, 1, v6
	v_addc_co_u32_e32 v9, vcc, 0, v7, vcc
	v_add_co_u32_e32 v2, vcc, s10, v5
	v_addc_co_u32_e32 v3, vcc, v9, v3, vcc
	v_cmp_eq_u64_e32 vcc, 0, v[2:3]
	v_cndmask_b32_e32 v3, v3, v9, vcc
	v_cndmask_b32_e32 v2, v2, v5, vcc
	v_and_b32_e32 v5, v3, v7
	v_and_b32_e32 v6, v2, v6
	v_mul_lo_u32 v5, v5, 24
	v_mul_hi_u32 v7, v6, 24
	v_mul_lo_u32 v6, v6, 24
	v_add_u32_e32 v5, v7, v5
	s_waitcnt vmcnt(0)
	v_add_co_u32_e32 v6, vcc, v12, v6
	v_addc_co_u32_e32 v7, vcc, v13, v5, vcc
	v_mov_b32_e32 v4, v10
	global_store_dwordx2 v[6:7], v[10:11], off
	v_mov_b32_e32 v5, v11
	buffer_wbl2
	s_waitcnt vmcnt(0)
	global_atomic_cmpswap_x2 v[4:5], v8, v[2:5], s[8:9] offset:24 glc
	s_waitcnt vmcnt(0)
	v_cmp_ne_u64_e32 vcc, v[4:5], v[10:11]
	s_and_b64 exec, exec, vcc
	s_cbranch_execz .LBB0_113
.LBB0_112:                              ; =>This Inner Loop Header: Depth=1
	s_sleep 1
	global_store_dwordx2 v[6:7], v[4:5], off
	buffer_wbl2
	s_waitcnt vmcnt(0)
	global_atomic_cmpswap_x2 v[10:11], v8, v[2:5], s[8:9] offset:24 glc
	s_waitcnt vmcnt(0)
	v_cmp_eq_u64_e32 vcc, v[10:11], v[4:5]
	s_or_b64 s[4:5], vcc, s[4:5]
	v_pk_mov_b32 v[4:5], v[10:11], v[10:11] op_sel:[0,1]
	s_andn2_b64 exec, exec, s[4:5]
	s_cbranch_execnz .LBB0_112
.LBB0_113:
	s_or_b64 exec, exec, s[12:13]
	s_or_b64 exec, exec, s[6:7]
	s_waitcnt vmcnt(0) lgkmcnt(0)
	s_setpc_b64 s[30:31]
.Lfunc_end0:
	.size	__ockl_printf_append_string_n, .Lfunc_end0-__ockl_printf_append_string_n
                                        ; -- End function
	.section	.AMDGPU.csdata,"",@progbits
; Function info:
; codeLenInByte = 4376
; NumSgprs: 36
; NumVgprs: 38
; NumAgprs: 0
; TotalNumVgprs: 38
; ScratchSize: 0
; MemoryBound: 0
	.text
	.p2align	2                               ; -- Begin function __ockl_printf_append_args
	.type	__ockl_printf_append_args,@function
__ockl_printf_append_args:              ; @__ockl_printf_append_args
; %bb.0:
	s_waitcnt vmcnt(0) expcnt(0) lgkmcnt(0)
	s_load_dwordx2 s[6:7], s[8:9], 0x50
	v_mbcnt_lo_u32_b32 v5, -1, 0
	v_mbcnt_hi_u32_b32 v5, -1, v5
	v_readfirstlane_b32 s4, v5
	v_cmp_eq_u32_e64 s[4:5], s4, v5
	v_pk_mov_b32 v[10:11], 0, 0
	s_and_saveexec_b64 s[8:9], s[4:5]
	s_cbranch_execz .LBB1_6
; %bb.1:
	v_mov_b32_e32 v6, 0
	s_waitcnt lgkmcnt(0)
	global_load_dwordx2 v[12:13], v6, s[6:7] offset:24 glc
	s_waitcnt vmcnt(0)
	buffer_invl2
	buffer_wbinvl1_vol
	global_load_dwordx2 v[8:9], v6, s[6:7] offset:40
	global_load_dwordx2 v[10:11], v6, s[6:7]
	s_waitcnt vmcnt(1)
	v_and_b32_e32 v7, v8, v12
	v_and_b32_e32 v8, v9, v13
	v_mul_lo_u32 v8, v8, 24
	v_mul_hi_u32 v9, v7, 24
	v_mul_lo_u32 v7, v7, 24
	v_add_u32_e32 v9, v9, v8
	s_waitcnt vmcnt(0)
	v_add_co_u32_e32 v8, vcc, v10, v7
	v_addc_co_u32_e32 v9, vcc, v11, v9, vcc
	global_load_dwordx2 v[10:11], v[8:9], off glc
	s_waitcnt vmcnt(0)
	global_atomic_cmpswap_x2 v[10:11], v6, v[10:13], s[6:7] offset:24 glc
	s_waitcnt vmcnt(0)
	buffer_invl2
	buffer_wbinvl1_vol
	v_cmp_ne_u64_e32 vcc, v[10:11], v[12:13]
	s_and_saveexec_b64 s[10:11], vcc
	s_cbranch_execz .LBB1_5
; %bb.2:
	s_mov_b64 s[12:13], 0
.LBB1_3:                                ; =>This Inner Loop Header: Depth=1
	s_sleep 1
	global_load_dwordx2 v[8:9], v6, s[6:7] offset:40
	global_load_dwordx2 v[14:15], v6, s[6:7]
	v_pk_mov_b32 v[12:13], v[10:11], v[10:11] op_sel:[0,1]
	s_waitcnt vmcnt(1)
	v_and_b32_e32 v8, v8, v12
	v_and_b32_e32 v7, v9, v13
	s_waitcnt vmcnt(0)
	v_mad_u64_u32 v[8:9], s[14:15], v8, 24, v[14:15]
	v_mov_b32_e32 v10, v9
	v_mad_u64_u32 v[10:11], s[14:15], v7, 24, v[10:11]
	v_mov_b32_e32 v9, v10
	global_load_dwordx2 v[10:11], v[8:9], off glc
	s_waitcnt vmcnt(0)
	global_atomic_cmpswap_x2 v[10:11], v6, v[10:13], s[6:7] offset:24 glc
	s_waitcnt vmcnt(0)
	buffer_invl2
	buffer_wbinvl1_vol
	v_cmp_eq_u64_e32 vcc, v[10:11], v[12:13]
	s_or_b64 s[12:13], vcc, s[12:13]
	s_andn2_b64 exec, exec, s[12:13]
	s_cbranch_execnz .LBB1_3
; %bb.4:
	s_or_b64 exec, exec, s[12:13]
.LBB1_5:
	s_or_b64 exec, exec, s[10:11]
.LBB1_6:
	s_or_b64 exec, exec, s[8:9]
	v_mov_b32_e32 v14, 0
	s_waitcnt lgkmcnt(0)
	global_load_dwordx2 v[12:13], v14, s[6:7] offset:40
	global_load_dwordx4 v[6:9], v14, s[6:7]
	v_readfirstlane_b32 s8, v10
	v_readfirstlane_b32 s9, v11
	s_mov_b64 s[10:11], exec
	s_waitcnt vmcnt(1)
	v_readfirstlane_b32 s12, v12
	v_readfirstlane_b32 s13, v13
	s_and_b64 s[12:13], s[8:9], s[12:13]
	s_mul_i32 s14, s13, 24
	s_mul_hi_u32 s15, s12, 24
	s_mul_i32 s16, s12, 24
	s_add_i32 s14, s15, s14
	v_mov_b32_e32 v11, s14
	s_waitcnt vmcnt(0)
	v_add_co_u32_e32 v10, vcc, s16, v6
	v_addc_co_u32_e32 v11, vcc, v7, v11, vcc
	s_and_saveexec_b64 s[14:15], s[4:5]
	s_cbranch_execz .LBB1_8
; %bb.7:
	v_pk_mov_b32 v[12:13], s[10:11], s[10:11] op_sel:[0,1]
	v_mov_b32_e32 v14, 2
	v_mov_b32_e32 v15, 1
	global_store_dwordx4 v[10:11], v[12:15], off offset:8
.LBB1_8:
	s_or_b64 exec, exec, s[14:15]
	s_lshl_b64 s[10:11], s[12:13], 12
	v_mov_b32_e32 v12, s11
	v_add_co_u32_e32 v8, vcc, s10, v8
	v_addc_co_u32_e32 v9, vcc, v9, v12, vcc
	v_or_b32_e32 v12, 2, v0
	v_cmp_eq_u32_e32 vcc, 0, v4
	s_mov_b32 s12, 0
	v_cndmask_b32_e32 v0, v12, v0, vcc
	s_movk_i32 s10, 0xff1f
	v_and_or_b32 v0, v0, s10, 32
	v_lshlrev_b32_e32 v4, 6, v5
	v_readfirstlane_b32 s10, v8
	v_readfirstlane_b32 s11, v9
	s_mov_b32 s13, s12
	s_mov_b32 s14, s12
	;; [unrolled: 1-line block ×3, first 2 shown]
	s_nop 1
	global_store_dwordx4 v4, v[0:3], s[10:11]
	s_nop 0
	v_pk_mov_b32 v[0:1], s[12:13], s[12:13] op_sel:[0,1]
	v_pk_mov_b32 v[2:3], s[14:15], s[14:15] op_sel:[0,1]
	global_store_dwordx4 v4, v[0:3], s[10:11] offset:16
	global_store_dwordx4 v4, v[0:3], s[10:11] offset:32
	;; [unrolled: 1-line block ×3, first 2 shown]
	s_and_saveexec_b64 s[10:11], s[4:5]
	s_cbranch_execz .LBB1_16
; %bb.9:
	v_mov_b32_e32 v8, 0
	global_load_dwordx2 v[14:15], v8, s[6:7] offset:32 glc
	global_load_dwordx2 v[0:1], v8, s[6:7] offset:40
	v_mov_b32_e32 v12, s8
	v_mov_b32_e32 v13, s9
	s_waitcnt vmcnt(0)
	v_and_b32_e32 v0, s8, v0
	v_and_b32_e32 v1, s9, v1
	v_mul_lo_u32 v1, v1, 24
	v_mul_hi_u32 v2, v0, 24
	v_mul_lo_u32 v0, v0, 24
	v_add_u32_e32 v1, v2, v1
	v_add_co_u32_e32 v4, vcc, v6, v0
	v_addc_co_u32_e32 v5, vcc, v7, v1, vcc
	global_store_dwordx2 v[4:5], v[14:15], off
	buffer_wbl2
	s_waitcnt vmcnt(0)
	global_atomic_cmpswap_x2 v[2:3], v8, v[12:15], s[6:7] offset:32 glc
	s_waitcnt vmcnt(0)
	v_cmp_ne_u64_e32 vcc, v[2:3], v[14:15]
	s_and_saveexec_b64 s[12:13], vcc
	s_cbranch_execz .LBB1_12
; %bb.10:
	s_mov_b64 s[14:15], 0
.LBB1_11:                               ; =>This Inner Loop Header: Depth=1
	s_sleep 1
	global_store_dwordx2 v[4:5], v[2:3], off
	v_mov_b32_e32 v0, s8
	v_mov_b32_e32 v1, s9
	buffer_wbl2
	s_waitcnt vmcnt(0)
	global_atomic_cmpswap_x2 v[0:1], v8, v[0:3], s[6:7] offset:32 glc
	s_waitcnt vmcnt(0)
	v_cmp_eq_u64_e32 vcc, v[0:1], v[2:3]
	s_or_b64 s[14:15], vcc, s[14:15]
	v_pk_mov_b32 v[2:3], v[0:1], v[0:1] op_sel:[0,1]
	s_andn2_b64 exec, exec, s[14:15]
	s_cbranch_execnz .LBB1_11
.LBB1_12:
	s_or_b64 exec, exec, s[12:13]
	v_mov_b32_e32 v3, 0
	global_load_dwordx2 v[0:1], v3, s[6:7] offset:16
	s_mov_b64 s[12:13], exec
	v_mbcnt_lo_u32_b32 v2, s12, 0
	v_mbcnt_hi_u32_b32 v2, s13, v2
	v_cmp_eq_u32_e32 vcc, 0, v2
	s_and_saveexec_b64 s[14:15], vcc
	s_cbranch_execz .LBB1_14
; %bb.13:
	s_bcnt1_i32_b64 s12, s[12:13]
	v_mov_b32_e32 v2, s12
	buffer_wbl2
	s_waitcnt vmcnt(0)
	global_atomic_add_x2 v[0:1], v[2:3], off offset:8
.LBB1_14:
	s_or_b64 exec, exec, s[14:15]
	s_waitcnt vmcnt(0)
	global_load_dwordx2 v[2:3], v[0:1], off offset:16
	s_waitcnt vmcnt(0)
	v_cmp_eq_u64_e32 vcc, 0, v[2:3]
	s_cbranch_vccnz .LBB1_16
; %bb.15:
	global_load_dword v0, v[0:1], off offset:24
	v_mov_b32_e32 v1, 0
	buffer_wbl2
	s_waitcnt vmcnt(0)
	global_store_dwordx2 v[2:3], v[0:1], off
	v_and_b32_e32 v0, 0xffffff, v0
	v_readfirstlane_b32 m0, v0
	s_sendmsg sendmsg(MSG_INTERRUPT)
.LBB1_16:
	s_or_b64 exec, exec, s[10:11]
	s_branch .LBB1_20
.LBB1_17:                               ;   in Loop: Header=BB1_20 Depth=1
	s_or_b64 exec, exec, s[10:11]
	v_readfirstlane_b32 s10, v0
	s_cmp_eq_u32 s10, 0
	s_cbranch_scc1 .LBB1_19
; %bb.18:                               ;   in Loop: Header=BB1_20 Depth=1
	s_sleep 1
	s_cbranch_execnz .LBB1_20
	s_branch .LBB1_22
.LBB1_19:
	s_branch .LBB1_22
.LBB1_20:                               ; =>This Inner Loop Header: Depth=1
	v_mov_b32_e32 v0, 1
	s_and_saveexec_b64 s[10:11], s[4:5]
	s_cbranch_execz .LBB1_17
; %bb.21:                               ;   in Loop: Header=BB1_20 Depth=1
	global_load_dword v0, v[10:11], off offset:20 glc
	s_waitcnt vmcnt(0)
	buffer_invl2
	buffer_wbinvl1_vol
	v_and_b32_e32 v0, 1, v0
	s_branch .LBB1_17
.LBB1_22:
	s_and_saveexec_b64 s[10:11], s[4:5]
	s_cbranch_execz .LBB1_25
; %bb.23:
	v_mov_b32_e32 v6, 0
	global_load_dwordx2 v[4:5], v6, s[6:7] offset:40
	global_load_dwordx2 v[8:9], v6, s[6:7] offset:24 glc
	global_load_dwordx2 v[10:11], v6, s[6:7]
	v_mov_b32_e32 v1, s9
	s_mov_b64 s[4:5], 0
	s_waitcnt vmcnt(2)
	v_add_co_u32_e32 v3, vcc, 1, v4
	v_addc_co_u32_e32 v7, vcc, 0, v5, vcc
	v_add_co_u32_e32 v0, vcc, s8, v3
	v_addc_co_u32_e32 v1, vcc, v7, v1, vcc
	v_cmp_eq_u64_e32 vcc, 0, v[0:1]
	v_cndmask_b32_e32 v1, v1, v7, vcc
	v_cndmask_b32_e32 v0, v0, v3, vcc
	v_and_b32_e32 v3, v1, v5
	v_and_b32_e32 v4, v0, v4
	v_mul_lo_u32 v3, v3, 24
	v_mul_hi_u32 v5, v4, 24
	v_mul_lo_u32 v4, v4, 24
	v_add_u32_e32 v3, v5, v3
	s_waitcnt vmcnt(0)
	v_add_co_u32_e32 v4, vcc, v10, v4
	v_addc_co_u32_e32 v5, vcc, v11, v3, vcc
	v_mov_b32_e32 v2, v8
	global_store_dwordx2 v[4:5], v[8:9], off
	v_mov_b32_e32 v3, v9
	buffer_wbl2
	s_waitcnt vmcnt(0)
	global_atomic_cmpswap_x2 v[2:3], v6, v[0:3], s[6:7] offset:24 glc
	s_waitcnt vmcnt(0)
	v_cmp_ne_u64_e32 vcc, v[2:3], v[8:9]
	s_and_b64 exec, exec, vcc
	s_cbranch_execz .LBB1_25
.LBB1_24:                               ; =>This Inner Loop Header: Depth=1
	s_sleep 1
	global_store_dwordx2 v[4:5], v[2:3], off
	buffer_wbl2
	s_waitcnt vmcnt(0)
	global_atomic_cmpswap_x2 v[8:9], v6, v[0:3], s[6:7] offset:24 glc
	s_waitcnt vmcnt(0)
	v_cmp_eq_u64_e32 vcc, v[8:9], v[2:3]
	s_or_b64 s[4:5], vcc, s[4:5]
	v_pk_mov_b32 v[2:3], v[8:9], v[8:9] op_sel:[0,1]
	s_andn2_b64 exec, exec, s[4:5]
	s_cbranch_execnz .LBB1_24
.LBB1_25:
	s_or_b64 exec, exec, s[10:11]
	s_waitcnt vmcnt(0) lgkmcnt(0)
	s_setpc_b64 s[30:31]
.Lfunc_end1:
	.size	__ockl_printf_append_args, .Lfunc_end1-__ockl_printf_append_args
                                        ; -- End function
	.section	.AMDGPU.csdata,"",@progbits
; Function info:
; codeLenInByte = 1284
; NumSgprs: 36
; NumVgprs: 16
; NumAgprs: 0
; TotalNumVgprs: 16
; ScratchSize: 0
; MemoryBound: 0
	.text
	.p2align	2                               ; -- Begin function _ZL14no_device_codePKciS0_iS0_
	.type	_ZL14no_device_codePKciS0_iS0_,@function
_ZL14no_device_codePKciS0_iS0_:         ; @_ZL14no_device_codePKciS0_iS0_
; %bb.0:
	s_waitcnt vmcnt(0) expcnt(0) lgkmcnt(0)
	s_mov_b32 s25, s33
	s_mov_b32 s33, s32
	s_or_saveexec_b64 s[4:5], -1
	buffer_store_dword v40, off, s[0:3], s33 ; 4-byte Folded Spill
	s_mov_b64 exec, s[4:5]
	v_writelane_b32 v40, s30, 0
	s_addk_i32 s32, 0x400
	v_writelane_b32 v40, s31, 1
	s_load_dwordx2 s[6:7], s[8:9], 0x50
	v_mov_b32_e32 v3, v2
	v_mov_b32_e32 v2, v1
	v_mbcnt_lo_u32_b32 v1, -1, 0
	v_mbcnt_hi_u32_b32 v39, -1, v1
	v_readfirstlane_b32 s4, v39
	s_mov_b64 s[26:27], s[8:9]
	v_cmp_eq_u32_e64 s[4:5], s4, v39
	v_pk_mov_b32 v[10:11], 0, 0
	s_and_saveexec_b64 s[10:11], s[4:5]
	s_cbranch_execz .LBB2_6
; %bb.1:
	v_mov_b32_e32 v1, 0
	s_waitcnt lgkmcnt(0)
	global_load_dwordx2 v[6:7], v1, s[6:7] offset:24 glc
	s_waitcnt vmcnt(0)
	buffer_invl2
	buffer_wbinvl1_vol
	global_load_dwordx2 v[4:5], v1, s[6:7] offset:40
	global_load_dwordx2 v[8:9], v1, s[6:7]
	s_waitcnt vmcnt(1)
	v_and_b32_e32 v4, v4, v6
	v_and_b32_e32 v5, v5, v7
	v_mul_lo_u32 v5, v5, 24
	v_mul_hi_u32 v10, v4, 24
	v_mul_lo_u32 v4, v4, 24
	v_add_u32_e32 v5, v10, v5
	s_waitcnt vmcnt(0)
	v_add_co_u32_e32 v4, vcc, v8, v4
	v_addc_co_u32_e32 v5, vcc, v9, v5, vcc
	global_load_dwordx2 v[4:5], v[4:5], off glc
	s_waitcnt vmcnt(0)
	global_atomic_cmpswap_x2 v[10:11], v1, v[4:7], s[6:7] offset:24 glc
	s_waitcnt vmcnt(0)
	buffer_invl2
	buffer_wbinvl1_vol
	v_cmp_ne_u64_e32 vcc, v[10:11], v[6:7]
	s_and_saveexec_b64 s[12:13], vcc
	s_cbranch_execz .LBB2_5
; %bb.2:
	s_mov_b64 s[14:15], 0
.LBB2_3:                                ; =>This Inner Loop Header: Depth=1
	s_sleep 1
	global_load_dwordx2 v[4:5], v1, s[6:7] offset:40
	global_load_dwordx2 v[8:9], v1, s[6:7]
	v_pk_mov_b32 v[6:7], v[10:11], v[10:11] op_sel:[0,1]
	s_waitcnt vmcnt(1)
	v_and_b32_e32 v4, v4, v6
	v_and_b32_e32 v10, v5, v7
	s_waitcnt vmcnt(0)
	v_mad_u64_u32 v[4:5], s[16:17], v4, 24, v[8:9]
	v_mov_b32_e32 v8, v5
	v_mad_u64_u32 v[8:9], s[16:17], v10, 24, v[8:9]
	v_mov_b32_e32 v5, v8
	global_load_dwordx2 v[4:5], v[4:5], off glc
	s_waitcnt vmcnt(0)
	global_atomic_cmpswap_x2 v[10:11], v1, v[4:7], s[6:7] offset:24 glc
	s_waitcnt vmcnt(0)
	buffer_invl2
	buffer_wbinvl1_vol
	v_cmp_eq_u64_e32 vcc, v[10:11], v[6:7]
	s_or_b64 s[14:15], vcc, s[14:15]
	s_andn2_b64 exec, exec, s[14:15]
	s_cbranch_execnz .LBB2_3
; %bb.4:
	s_or_b64 exec, exec, s[14:15]
.LBB2_5:
	s_or_b64 exec, exec, s[12:13]
.LBB2_6:
	s_or_b64 exec, exec, s[10:11]
	v_mov_b32_e32 v9, 0
	s_waitcnt lgkmcnt(0)
	global_load_dwordx2 v[12:13], v9, s[6:7] offset:40
	global_load_dwordx4 v[4:7], v9, s[6:7]
	v_readfirstlane_b32 s10, v10
	v_readfirstlane_b32 s11, v11
	s_mov_b64 s[12:13], exec
	s_waitcnt vmcnt(1)
	v_readfirstlane_b32 s14, v12
	v_readfirstlane_b32 s15, v13
	s_and_b64 s[14:15], s[10:11], s[14:15]
	s_mul_i32 s16, s15, 24
	s_mul_hi_u32 s17, s14, 24
	s_mul_i32 s18, s14, 24
	s_add_i32 s16, s17, s16
	v_mov_b32_e32 v1, s16
	s_waitcnt vmcnt(0)
	v_add_co_u32_e32 v12, vcc, s18, v4
	v_addc_co_u32_e32 v13, vcc, v5, v1, vcc
	s_and_saveexec_b64 s[16:17], s[4:5]
	s_cbranch_execz .LBB2_8
; %bb.7:
	v_pk_mov_b32 v[14:15], s[12:13], s[12:13] op_sel:[0,1]
	v_mov_b32_e32 v16, 2
	v_mov_b32_e32 v17, 1
	global_store_dwordx4 v[12:13], v[14:17], off offset:8
.LBB2_8:
	s_or_b64 exec, exec, s[16:17]
	s_lshl_b64 s[12:13], s[14:15], 12
	v_mov_b32_e32 v1, s13
	v_add_co_u32_e32 v6, vcc, s12, v6
	v_addc_co_u32_e32 v1, vcc, v7, v1, vcc
	s_mov_b32 s12, 0
	v_lshlrev_b32_e32 v38, 6, v39
	v_mov_b32_e32 v8, 33
	v_mov_b32_e32 v10, v9
	;; [unrolled: 1-line block ×3, first 2 shown]
	v_readfirstlane_b32 s16, v6
	v_readfirstlane_b32 s17, v1
	s_mov_b32 s13, s12
	v_add_co_u32_e32 v14, vcc, v6, v38
	s_mov_b32 s14, s12
	s_mov_b32 s15, s12
	s_nop 0
	global_store_dwordx4 v38, v[8:11], s[16:17]
	v_pk_mov_b32 v[6:7], s[12:13], s[12:13] op_sel:[0,1]
	v_addc_co_u32_e32 v15, vcc, 0, v1, vcc
	v_pk_mov_b32 v[8:9], s[14:15], s[14:15] op_sel:[0,1]
	global_store_dwordx4 v38, v[6:9], s[16:17] offset:16
	global_store_dwordx4 v38, v[6:9], s[16:17] offset:32
	;; [unrolled: 1-line block ×3, first 2 shown]
	s_and_saveexec_b64 s[12:13], s[4:5]
	s_cbranch_execz .LBB2_16
; %bb.9:
	v_mov_b32_e32 v1, 0
	global_load_dwordx2 v[18:19], v1, s[6:7] offset:32 glc
	global_load_dwordx2 v[6:7], v1, s[6:7] offset:40
	v_mov_b32_e32 v16, s10
	v_mov_b32_e32 v17, s11
	s_waitcnt vmcnt(0)
	v_and_b32_e32 v6, s10, v6
	v_and_b32_e32 v7, s11, v7
	v_mul_lo_u32 v7, v7, 24
	v_mul_hi_u32 v8, v6, 24
	v_mul_lo_u32 v6, v6, 24
	v_add_u32_e32 v7, v8, v7
	v_add_co_u32_e32 v8, vcc, v4, v6
	v_addc_co_u32_e32 v9, vcc, v5, v7, vcc
	global_store_dwordx2 v[8:9], v[18:19], off
	buffer_wbl2
	s_waitcnt vmcnt(0)
	global_atomic_cmpswap_x2 v[6:7], v1, v[16:19], s[6:7] offset:32 glc
	s_waitcnt vmcnt(0)
	v_cmp_ne_u64_e32 vcc, v[6:7], v[18:19]
	s_and_saveexec_b64 s[14:15], vcc
	s_cbranch_execz .LBB2_12
; %bb.10:
	s_mov_b64 s[16:17], 0
.LBB2_11:                               ; =>This Inner Loop Header: Depth=1
	s_sleep 1
	global_store_dwordx2 v[8:9], v[6:7], off
	v_mov_b32_e32 v4, s10
	v_mov_b32_e32 v5, s11
	buffer_wbl2
	s_waitcnt vmcnt(0)
	global_atomic_cmpswap_x2 v[4:5], v1, v[4:7], s[6:7] offset:32 glc
	s_waitcnt vmcnt(0)
	v_cmp_eq_u64_e32 vcc, v[4:5], v[6:7]
	s_or_b64 s[16:17], vcc, s[16:17]
	v_pk_mov_b32 v[6:7], v[4:5], v[4:5] op_sel:[0,1]
	s_andn2_b64 exec, exec, s[16:17]
	s_cbranch_execnz .LBB2_11
.LBB2_12:
	s_or_b64 exec, exec, s[14:15]
	v_mov_b32_e32 v7, 0
	global_load_dwordx2 v[4:5], v7, s[6:7] offset:16
	s_mov_b64 s[14:15], exec
	v_mbcnt_lo_u32_b32 v1, s14, 0
	v_mbcnt_hi_u32_b32 v1, s15, v1
	v_cmp_eq_u32_e32 vcc, 0, v1
	s_and_saveexec_b64 s[16:17], vcc
	s_cbranch_execz .LBB2_14
; %bb.13:
	s_bcnt1_i32_b64 s14, s[14:15]
	v_mov_b32_e32 v6, s14
	buffer_wbl2
	s_waitcnt vmcnt(0)
	global_atomic_add_x2 v[4:5], v[6:7], off offset:8
.LBB2_14:
	s_or_b64 exec, exec, s[16:17]
	s_waitcnt vmcnt(0)
	global_load_dwordx2 v[6:7], v[4:5], off offset:16
	s_waitcnt vmcnt(0)
	v_cmp_eq_u64_e32 vcc, 0, v[6:7]
	s_cbranch_vccnz .LBB2_16
; %bb.15:
	global_load_dword v4, v[4:5], off offset:24
	v_mov_b32_e32 v5, 0
	s_waitcnt vmcnt(0)
	v_and_b32_e32 v1, 0xffffff, v4
	v_readfirstlane_b32 m0, v1
	buffer_wbl2
	global_store_dwordx2 v[6:7], v[4:5], off
	s_sendmsg sendmsg(MSG_INTERRUPT)
.LBB2_16:
	s_or_b64 exec, exec, s[12:13]
	s_branch .LBB2_20
.LBB2_17:                               ;   in Loop: Header=BB2_20 Depth=1
	s_or_b64 exec, exec, s[12:13]
	v_readfirstlane_b32 s12, v1
	s_cmp_eq_u32 s12, 0
	s_cbranch_scc1 .LBB2_19
; %bb.18:                               ;   in Loop: Header=BB2_20 Depth=1
	s_sleep 1
	s_cbranch_execnz .LBB2_20
	s_branch .LBB2_22
.LBB2_19:
	s_branch .LBB2_22
.LBB2_20:                               ; =>This Inner Loop Header: Depth=1
	v_mov_b32_e32 v1, 1
	s_and_saveexec_b64 s[12:13], s[4:5]
	s_cbranch_execz .LBB2_17
; %bb.21:                               ;   in Loop: Header=BB2_20 Depth=1
	global_load_dword v1, v[12:13], off offset:20 glc
	s_waitcnt vmcnt(0)
	buffer_invl2
	buffer_wbinvl1_vol
	v_and_b32_e32 v1, 1, v1
	s_branch .LBB2_17
.LBB2_22:
	global_load_dwordx2 v[8:9], v[14:15], off
	s_and_saveexec_b64 s[12:13], s[4:5]
	s_cbranch_execz .LBB2_25
; %bb.23:
	v_mov_b32_e32 v1, 0
	global_load_dwordx2 v[10:11], v1, s[6:7] offset:40
	global_load_dwordx2 v[12:13], v1, s[6:7] offset:24 glc
	global_load_dwordx2 v[14:15], v1, s[6:7]
	v_mov_b32_e32 v5, s11
	s_mov_b64 s[4:5], 0
	s_waitcnt vmcnt(2)
	v_add_co_u32_e32 v7, vcc, 1, v10
	v_addc_co_u32_e32 v16, vcc, 0, v11, vcc
	v_add_co_u32_e32 v4, vcc, s10, v7
	v_addc_co_u32_e32 v5, vcc, v16, v5, vcc
	v_cmp_eq_u64_e32 vcc, 0, v[4:5]
	v_cndmask_b32_e32 v5, v5, v16, vcc
	v_cndmask_b32_e32 v4, v4, v7, vcc
	v_and_b32_e32 v7, v5, v11
	v_and_b32_e32 v10, v4, v10
	v_mul_lo_u32 v7, v7, 24
	v_mul_hi_u32 v11, v10, 24
	v_mul_lo_u32 v10, v10, 24
	v_add_u32_e32 v7, v11, v7
	s_waitcnt vmcnt(0)
	v_add_co_u32_e32 v10, vcc, v14, v10
	v_addc_co_u32_e32 v11, vcc, v15, v7, vcc
	v_mov_b32_e32 v6, v12
	global_store_dwordx2 v[10:11], v[12:13], off
	v_mov_b32_e32 v7, v13
	buffer_wbl2
	s_waitcnt vmcnt(0)
	global_atomic_cmpswap_x2 v[6:7], v1, v[4:7], s[6:7] offset:24 glc
	s_waitcnt vmcnt(0)
	v_cmp_ne_u64_e32 vcc, v[6:7], v[12:13]
	s_and_b64 exec, exec, vcc
	s_cbranch_execz .LBB2_25
.LBB2_24:                               ; =>This Inner Loop Header: Depth=1
	s_sleep 1
	global_store_dwordx2 v[10:11], v[6:7], off
	buffer_wbl2
	s_waitcnt vmcnt(0)
	global_atomic_cmpswap_x2 v[12:13], v1, v[4:7], s[6:7] offset:24 glc
	s_waitcnt vmcnt(0)
	v_cmp_eq_u64_e32 vcc, v[12:13], v[6:7]
	s_or_b64 s[4:5], vcc, s[4:5]
	v_pk_mov_b32 v[6:7], v[12:13], v[12:13] op_sel:[0,1]
	s_andn2_b64 exec, exec, s[4:5]
	s_cbranch_execnz .LBB2_24
.LBB2_25:
	s_or_b64 exec, exec, s[12:13]
	s_getpc_b64 s[10:11]
	s_add_u32 s10, s10, .str.2@rel32@lo+4
	s_addc_u32 s11, s11, .str.2@rel32@hi+12
	s_cmp_lg_u64 s[10:11], 0
	s_cbranch_scc0 .LBB2_109
; %bb.26:
	s_waitcnt vmcnt(0)
	v_and_b32_e32 v30, 2, v8
	v_mov_b32_e32 v33, 0
	v_and_b32_e32 v4, -3, v8
	v_mov_b32_e32 v5, v9
	s_mov_b64 s[12:13], 0x4d
	v_mov_b32_e32 v12, 2
	v_mov_b32_e32 v13, 1
	s_branch .LBB2_28
.LBB2_27:                               ;   in Loop: Header=BB2_28 Depth=1
	s_or_b64 exec, exec, s[18:19]
	s_sub_u32 s12, s12, s14
	s_subb_u32 s13, s13, s15
	s_add_u32 s10, s10, s14
	s_addc_u32 s11, s11, s15
	s_cmp_lg_u64 s[12:13], 0
	s_cbranch_scc0 .LBB2_110
.LBB2_28:                               ; =>This Loop Header: Depth=1
                                        ;     Child Loop BB2_31 Depth 2
                                        ;     Child Loop BB2_38 Depth 2
	;; [unrolled: 1-line block ×11, first 2 shown]
	v_cmp_lt_u64_e64 s[4:5], s[12:13], 56
	s_and_b64 s[4:5], s[4:5], exec
	v_cmp_gt_u64_e64 s[4:5], s[12:13], 7
	s_cselect_b32 s15, s13, 0
	s_cselect_b32 s14, s12, 56
	s_and_b64 vcc, exec, s[4:5]
	s_cbranch_vccnz .LBB2_33
; %bb.29:                               ;   in Loop: Header=BB2_28 Depth=1
	s_mov_b64 s[4:5], 0
	s_cmp_eq_u64 s[12:13], 0
	s_waitcnt vmcnt(0)
	v_pk_mov_b32 v[6:7], 0, 0
	s_cbranch_scc1 .LBB2_32
; %bb.30:                               ;   in Loop: Header=BB2_28 Depth=1
	s_lshl_b64 s[16:17], s[14:15], 3
	s_mov_b64 s[18:19], 0
	v_pk_mov_b32 v[6:7], 0, 0
	s_mov_b64 s[20:21], s[10:11]
.LBB2_31:                               ;   Parent Loop BB2_28 Depth=1
                                        ; =>  This Inner Loop Header: Depth=2
	global_load_ubyte v1, v33, s[20:21]
	s_waitcnt vmcnt(0)
	v_and_b32_e32 v32, 0xffff, v1
	v_lshlrev_b64 v[10:11], s18, v[32:33]
	s_add_u32 s18, s18, 8
	s_addc_u32 s19, s19, 0
	s_add_u32 s20, s20, 1
	s_addc_u32 s21, s21, 0
	v_or_b32_e32 v6, v10, v6
	s_cmp_lg_u32 s16, s18
	v_or_b32_e32 v7, v11, v7
	s_cbranch_scc1 .LBB2_31
.LBB2_32:                               ;   in Loop: Header=BB2_28 Depth=1
	s_mov_b32 s20, 0
	s_andn2_b64 vcc, exec, s[4:5]
	s_mov_b64 s[4:5], s[10:11]
	s_cbranch_vccz .LBB2_34
	s_branch .LBB2_35
.LBB2_33:                               ;   in Loop: Header=BB2_28 Depth=1
                                        ; implicit-def: $vgpr6_vgpr7
                                        ; implicit-def: $sgpr20
	s_mov_b64 s[4:5], s[10:11]
.LBB2_34:                               ;   in Loop: Header=BB2_28 Depth=1
	global_load_dwordx2 v[6:7], v33, s[10:11]
	s_add_i32 s20, s14, -8
	s_add_u32 s4, s10, 8
	s_addc_u32 s5, s11, 0
.LBB2_35:                               ;   in Loop: Header=BB2_28 Depth=1
	s_cmp_gt_u32 s20, 7
	s_cbranch_scc1 .LBB2_39
; %bb.36:                               ;   in Loop: Header=BB2_28 Depth=1
	s_cmp_eq_u32 s20, 0
	s_cbranch_scc1 .LBB2_40
; %bb.37:                               ;   in Loop: Header=BB2_28 Depth=1
	s_mov_b64 s[16:17], 0
	v_pk_mov_b32 v[14:15], 0, 0
	s_mov_b64 s[18:19], 0
.LBB2_38:                               ;   Parent Loop BB2_28 Depth=1
                                        ; =>  This Inner Loop Header: Depth=2
	s_add_u32 s22, s4, s18
	s_addc_u32 s23, s5, s19
	global_load_ubyte v1, v33, s[22:23]
	s_add_u32 s18, s18, 1
	s_addc_u32 s19, s19, 0
	s_waitcnt vmcnt(0)
	v_and_b32_e32 v32, 0xffff, v1
	v_lshlrev_b64 v[10:11], s16, v[32:33]
	s_add_u32 s16, s16, 8
	s_addc_u32 s17, s17, 0
	v_or_b32_e32 v14, v10, v14
	s_cmp_lg_u32 s20, s18
	v_or_b32_e32 v15, v11, v15
	s_cbranch_scc1 .LBB2_38
	s_branch .LBB2_41
.LBB2_39:                               ;   in Loop: Header=BB2_28 Depth=1
                                        ; implicit-def: $vgpr14_vgpr15
                                        ; implicit-def: $sgpr21
	s_branch .LBB2_42
.LBB2_40:                               ;   in Loop: Header=BB2_28 Depth=1
	v_pk_mov_b32 v[14:15], 0, 0
.LBB2_41:                               ;   in Loop: Header=BB2_28 Depth=1
	s_mov_b32 s21, 0
	s_cbranch_execnz .LBB2_43
.LBB2_42:                               ;   in Loop: Header=BB2_28 Depth=1
	global_load_dwordx2 v[14:15], v33, s[4:5]
	s_add_i32 s21, s20, -8
	s_add_u32 s4, s4, 8
	s_addc_u32 s5, s5, 0
.LBB2_43:                               ;   in Loop: Header=BB2_28 Depth=1
	s_cmp_gt_u32 s21, 7
	s_cbranch_scc1 .LBB2_47
; %bb.44:                               ;   in Loop: Header=BB2_28 Depth=1
	s_cmp_eq_u32 s21, 0
	s_cbranch_scc1 .LBB2_48
; %bb.45:                               ;   in Loop: Header=BB2_28 Depth=1
	s_mov_b64 s[16:17], 0
	v_pk_mov_b32 v[16:17], 0, 0
	s_mov_b64 s[18:19], 0
.LBB2_46:                               ;   Parent Loop BB2_28 Depth=1
                                        ; =>  This Inner Loop Header: Depth=2
	s_add_u32 s22, s4, s18
	s_addc_u32 s23, s5, s19
	global_load_ubyte v1, v33, s[22:23]
	s_add_u32 s18, s18, 1
	s_addc_u32 s19, s19, 0
	s_waitcnt vmcnt(0)
	v_and_b32_e32 v32, 0xffff, v1
	v_lshlrev_b64 v[10:11], s16, v[32:33]
	s_add_u32 s16, s16, 8
	s_addc_u32 s17, s17, 0
	v_or_b32_e32 v16, v10, v16
	s_cmp_lg_u32 s21, s18
	v_or_b32_e32 v17, v11, v17
	s_cbranch_scc1 .LBB2_46
	s_branch .LBB2_49
.LBB2_47:                               ;   in Loop: Header=BB2_28 Depth=1
                                        ; implicit-def: $sgpr20
	s_branch .LBB2_50
.LBB2_48:                               ;   in Loop: Header=BB2_28 Depth=1
	v_pk_mov_b32 v[16:17], 0, 0
.LBB2_49:                               ;   in Loop: Header=BB2_28 Depth=1
	s_mov_b32 s20, 0
	s_cbranch_execnz .LBB2_51
.LBB2_50:                               ;   in Loop: Header=BB2_28 Depth=1
	global_load_dwordx2 v[16:17], v33, s[4:5]
	s_add_i32 s20, s21, -8
	s_add_u32 s4, s4, 8
	s_addc_u32 s5, s5, 0
.LBB2_51:                               ;   in Loop: Header=BB2_28 Depth=1
	s_cmp_gt_u32 s20, 7
	s_cbranch_scc1 .LBB2_55
; %bb.52:                               ;   in Loop: Header=BB2_28 Depth=1
	s_cmp_eq_u32 s20, 0
	s_cbranch_scc1 .LBB2_56
; %bb.53:                               ;   in Loop: Header=BB2_28 Depth=1
	s_mov_b64 s[16:17], 0
	v_pk_mov_b32 v[18:19], 0, 0
	s_mov_b64 s[18:19], 0
.LBB2_54:                               ;   Parent Loop BB2_28 Depth=1
                                        ; =>  This Inner Loop Header: Depth=2
	s_add_u32 s22, s4, s18
	s_addc_u32 s23, s5, s19
	global_load_ubyte v1, v33, s[22:23]
	s_add_u32 s18, s18, 1
	s_addc_u32 s19, s19, 0
	s_waitcnt vmcnt(0)
	v_and_b32_e32 v32, 0xffff, v1
	v_lshlrev_b64 v[10:11], s16, v[32:33]
	s_add_u32 s16, s16, 8
	s_addc_u32 s17, s17, 0
	v_or_b32_e32 v18, v10, v18
	s_cmp_lg_u32 s20, s18
	v_or_b32_e32 v19, v11, v19
	s_cbranch_scc1 .LBB2_54
	s_branch .LBB2_57
.LBB2_55:                               ;   in Loop: Header=BB2_28 Depth=1
                                        ; implicit-def: $vgpr18_vgpr19
                                        ; implicit-def: $sgpr21
	s_branch .LBB2_58
.LBB2_56:                               ;   in Loop: Header=BB2_28 Depth=1
	v_pk_mov_b32 v[18:19], 0, 0
.LBB2_57:                               ;   in Loop: Header=BB2_28 Depth=1
	s_mov_b32 s21, 0
	s_cbranch_execnz .LBB2_59
.LBB2_58:                               ;   in Loop: Header=BB2_28 Depth=1
	global_load_dwordx2 v[18:19], v33, s[4:5]
	s_add_i32 s21, s20, -8
	s_add_u32 s4, s4, 8
	s_addc_u32 s5, s5, 0
.LBB2_59:                               ;   in Loop: Header=BB2_28 Depth=1
	s_cmp_gt_u32 s21, 7
	s_cbranch_scc1 .LBB2_63
; %bb.60:                               ;   in Loop: Header=BB2_28 Depth=1
	s_cmp_eq_u32 s21, 0
	s_cbranch_scc1 .LBB2_64
; %bb.61:                               ;   in Loop: Header=BB2_28 Depth=1
	s_mov_b64 s[16:17], 0
	v_pk_mov_b32 v[20:21], 0, 0
	s_mov_b64 s[18:19], 0
.LBB2_62:                               ;   Parent Loop BB2_28 Depth=1
                                        ; =>  This Inner Loop Header: Depth=2
	s_add_u32 s22, s4, s18
	s_addc_u32 s23, s5, s19
	global_load_ubyte v1, v33, s[22:23]
	s_add_u32 s18, s18, 1
	s_addc_u32 s19, s19, 0
	s_waitcnt vmcnt(0)
	v_and_b32_e32 v32, 0xffff, v1
	v_lshlrev_b64 v[10:11], s16, v[32:33]
	s_add_u32 s16, s16, 8
	s_addc_u32 s17, s17, 0
	v_or_b32_e32 v20, v10, v20
	s_cmp_lg_u32 s21, s18
	v_or_b32_e32 v21, v11, v21
	s_cbranch_scc1 .LBB2_62
	s_branch .LBB2_65
.LBB2_63:                               ;   in Loop: Header=BB2_28 Depth=1
                                        ; implicit-def: $sgpr20
	s_branch .LBB2_66
.LBB2_64:                               ;   in Loop: Header=BB2_28 Depth=1
	v_pk_mov_b32 v[20:21], 0, 0
.LBB2_65:                               ;   in Loop: Header=BB2_28 Depth=1
	s_mov_b32 s20, 0
	s_cbranch_execnz .LBB2_67
.LBB2_66:                               ;   in Loop: Header=BB2_28 Depth=1
	global_load_dwordx2 v[20:21], v33, s[4:5]
	s_add_i32 s20, s21, -8
	s_add_u32 s4, s4, 8
	s_addc_u32 s5, s5, 0
.LBB2_67:                               ;   in Loop: Header=BB2_28 Depth=1
	s_cmp_gt_u32 s20, 7
	s_cbranch_scc1 .LBB2_71
; %bb.68:                               ;   in Loop: Header=BB2_28 Depth=1
	s_cmp_eq_u32 s20, 0
	s_cbranch_scc1 .LBB2_72
; %bb.69:                               ;   in Loop: Header=BB2_28 Depth=1
	s_mov_b64 s[16:17], 0
	v_pk_mov_b32 v[22:23], 0, 0
	s_mov_b64 s[18:19], 0
.LBB2_70:                               ;   Parent Loop BB2_28 Depth=1
                                        ; =>  This Inner Loop Header: Depth=2
	s_add_u32 s22, s4, s18
	s_addc_u32 s23, s5, s19
	global_load_ubyte v1, v33, s[22:23]
	s_add_u32 s18, s18, 1
	s_addc_u32 s19, s19, 0
	s_waitcnt vmcnt(0)
	v_and_b32_e32 v32, 0xffff, v1
	v_lshlrev_b64 v[10:11], s16, v[32:33]
	s_add_u32 s16, s16, 8
	s_addc_u32 s17, s17, 0
	v_or_b32_e32 v22, v10, v22
	s_cmp_lg_u32 s20, s18
	v_or_b32_e32 v23, v11, v23
	s_cbranch_scc1 .LBB2_70
	s_branch .LBB2_73
.LBB2_71:                               ;   in Loop: Header=BB2_28 Depth=1
                                        ; implicit-def: $vgpr22_vgpr23
                                        ; implicit-def: $sgpr21
	s_branch .LBB2_74
.LBB2_72:                               ;   in Loop: Header=BB2_28 Depth=1
	v_pk_mov_b32 v[22:23], 0, 0
.LBB2_73:                               ;   in Loop: Header=BB2_28 Depth=1
	s_mov_b32 s21, 0
	s_cbranch_execnz .LBB2_75
.LBB2_74:                               ;   in Loop: Header=BB2_28 Depth=1
	global_load_dwordx2 v[22:23], v33, s[4:5]
	s_add_i32 s21, s20, -8
	s_add_u32 s4, s4, 8
	s_addc_u32 s5, s5, 0
.LBB2_75:                               ;   in Loop: Header=BB2_28 Depth=1
	s_cmp_gt_u32 s21, 7
	s_cbranch_scc1 .LBB2_79
; %bb.76:                               ;   in Loop: Header=BB2_28 Depth=1
	s_cmp_eq_u32 s21, 0
	s_cbranch_scc1 .LBB2_80
; %bb.77:                               ;   in Loop: Header=BB2_28 Depth=1
	s_mov_b64 s[16:17], 0
	v_pk_mov_b32 v[24:25], 0, 0
	s_mov_b64 s[18:19], s[4:5]
.LBB2_78:                               ;   Parent Loop BB2_28 Depth=1
                                        ; =>  This Inner Loop Header: Depth=2
	global_load_ubyte v1, v33, s[18:19]
	s_add_i32 s21, s21, -1
	s_waitcnt vmcnt(0)
	v_and_b32_e32 v32, 0xffff, v1
	v_lshlrev_b64 v[10:11], s16, v[32:33]
	s_add_u32 s16, s16, 8
	s_addc_u32 s17, s17, 0
	s_add_u32 s18, s18, 1
	s_addc_u32 s19, s19, 0
	v_or_b32_e32 v24, v10, v24
	s_cmp_lg_u32 s21, 0
	v_or_b32_e32 v25, v11, v25
	s_cbranch_scc1 .LBB2_78
	s_branch .LBB2_81
.LBB2_79:                               ;   in Loop: Header=BB2_28 Depth=1
	s_branch .LBB2_82
.LBB2_80:                               ;   in Loop: Header=BB2_28 Depth=1
	v_pk_mov_b32 v[24:25], 0, 0
.LBB2_81:                               ;   in Loop: Header=BB2_28 Depth=1
	s_cbranch_execnz .LBB2_83
.LBB2_82:                               ;   in Loop: Header=BB2_28 Depth=1
	global_load_dwordx2 v[24:25], v33, s[4:5]
.LBB2_83:                               ;   in Loop: Header=BB2_28 Depth=1
	v_readfirstlane_b32 s4, v39
	v_cmp_eq_u32_e64 s[4:5], s4, v39
	v_pk_mov_b32 v[10:11], 0, 0
	s_and_saveexec_b64 s[16:17], s[4:5]
	s_cbranch_execz .LBB2_89
; %bb.84:                               ;   in Loop: Header=BB2_28 Depth=1
	global_load_dwordx2 v[28:29], v33, s[6:7] offset:24 glc
	s_waitcnt vmcnt(0)
	buffer_invl2
	buffer_wbinvl1_vol
	global_load_dwordx2 v[10:11], v33, s[6:7] offset:40
	global_load_dwordx2 v[26:27], v33, s[6:7]
	s_waitcnt vmcnt(1)
	v_and_b32_e32 v1, v10, v28
	v_and_b32_e32 v10, v11, v29
	v_mul_lo_u32 v10, v10, 24
	v_mul_hi_u32 v11, v1, 24
	v_mul_lo_u32 v1, v1, 24
	v_add_u32_e32 v11, v11, v10
	s_waitcnt vmcnt(0)
	v_add_co_u32_e32 v10, vcc, v26, v1
	v_addc_co_u32_e32 v11, vcc, v27, v11, vcc
	global_load_dwordx2 v[26:27], v[10:11], off glc
	s_waitcnt vmcnt(0)
	global_atomic_cmpswap_x2 v[10:11], v33, v[26:29], s[6:7] offset:24 glc
	s_waitcnt vmcnt(0)
	buffer_invl2
	buffer_wbinvl1_vol
	v_cmp_ne_u64_e32 vcc, v[10:11], v[28:29]
	s_and_saveexec_b64 s[18:19], vcc
	s_cbranch_execz .LBB2_88
; %bb.85:                               ;   in Loop: Header=BB2_28 Depth=1
	s_mov_b64 s[20:21], 0
.LBB2_86:                               ;   Parent Loop BB2_28 Depth=1
                                        ; =>  This Inner Loop Header: Depth=2
	s_sleep 1
	global_load_dwordx2 v[26:27], v33, s[6:7] offset:40
	global_load_dwordx2 v[34:35], v33, s[6:7]
	v_pk_mov_b32 v[28:29], v[10:11], v[10:11] op_sel:[0,1]
	s_waitcnt vmcnt(1)
	v_and_b32_e32 v10, v26, v28
	s_waitcnt vmcnt(0)
	v_mad_u64_u32 v[10:11], s[22:23], v10, 24, v[34:35]
	v_and_b32_e32 v1, v27, v29
	v_mov_b32_e32 v26, v11
	v_mad_u64_u32 v[26:27], s[22:23], v1, 24, v[26:27]
	v_mov_b32_e32 v11, v26
	global_load_dwordx2 v[26:27], v[10:11], off glc
	s_waitcnt vmcnt(0)
	global_atomic_cmpswap_x2 v[10:11], v33, v[26:29], s[6:7] offset:24 glc
	s_waitcnt vmcnt(0)
	buffer_invl2
	buffer_wbinvl1_vol
	v_cmp_eq_u64_e32 vcc, v[10:11], v[28:29]
	s_or_b64 s[20:21], vcc, s[20:21]
	s_andn2_b64 exec, exec, s[20:21]
	s_cbranch_execnz .LBB2_86
; %bb.87:                               ;   in Loop: Header=BB2_28 Depth=1
	s_or_b64 exec, exec, s[20:21]
.LBB2_88:                               ;   in Loop: Header=BB2_28 Depth=1
	s_or_b64 exec, exec, s[18:19]
.LBB2_89:                               ;   in Loop: Header=BB2_28 Depth=1
	s_or_b64 exec, exec, s[16:17]
	global_load_dwordx2 v[34:35], v33, s[6:7] offset:40
	global_load_dwordx4 v[26:29], v33, s[6:7]
	v_readfirstlane_b32 s16, v10
	v_readfirstlane_b32 s17, v11
	s_mov_b64 s[18:19], exec
	s_waitcnt vmcnt(1)
	v_readfirstlane_b32 s20, v34
	v_readfirstlane_b32 s21, v35
	s_and_b64 s[20:21], s[16:17], s[20:21]
	s_mul_i32 s22, s21, 24
	s_mul_hi_u32 s23, s20, 24
	s_mul_i32 s24, s20, 24
	s_add_i32 s22, s23, s22
	v_mov_b32_e32 v1, s22
	s_waitcnt vmcnt(0)
	v_add_co_u32_e32 v34, vcc, s24, v26
	v_addc_co_u32_e32 v35, vcc, v27, v1, vcc
	s_and_saveexec_b64 s[22:23], s[4:5]
	s_cbranch_execz .LBB2_91
; %bb.90:                               ;   in Loop: Header=BB2_28 Depth=1
	v_pk_mov_b32 v[10:11], s[18:19], s[18:19] op_sel:[0,1]
	global_store_dwordx4 v[34:35], v[10:13], off offset:8
.LBB2_91:                               ;   in Loop: Header=BB2_28 Depth=1
	s_or_b64 exec, exec, s[22:23]
	s_lshl_b64 s[18:19], s[20:21], 12
	v_mov_b32_e32 v1, s19
	v_add_co_u32_e32 v10, vcc, s18, v28
	v_addc_co_u32_e32 v1, vcc, v29, v1, vcc
	v_or_b32_e32 v28, v4, v30
	v_cmp_gt_u64_e64 vcc, s[12:13], 56
	s_lshl_b32 s18, s14, 2
	v_cndmask_b32_e32 v4, v28, v4, vcc
	s_add_i32 s18, s18, 28
	v_or_b32_e32 v11, 0, v5
	s_and_b32 s18, s18, 0x1e0
	v_and_b32_e32 v4, 0xffffff1f, v4
	v_cndmask_b32_e32 v5, v11, v5, vcc
	v_or_b32_e32 v4, s18, v4
	v_readfirstlane_b32 s18, v10
	v_readfirstlane_b32 s19, v1
	s_nop 4
	global_store_dwordx4 v38, v[4:7], s[18:19]
	global_store_dwordx4 v38, v[14:17], s[18:19] offset:16
	global_store_dwordx4 v38, v[18:21], s[18:19] offset:32
	;; [unrolled: 1-line block ×3, first 2 shown]
	s_and_saveexec_b64 s[18:19], s[4:5]
	s_cbranch_execz .LBB2_99
; %bb.92:                               ;   in Loop: Header=BB2_28 Depth=1
	global_load_dwordx2 v[18:19], v33, s[6:7] offset:32 glc
	global_load_dwordx2 v[4:5], v33, s[6:7] offset:40
	v_mov_b32_e32 v16, s16
	v_mov_b32_e32 v17, s17
	s_waitcnt vmcnt(0)
	v_readfirstlane_b32 s20, v4
	v_readfirstlane_b32 s21, v5
	s_and_b64 s[20:21], s[20:21], s[16:17]
	s_mul_i32 s21, s21, 24
	s_mul_hi_u32 s22, s20, 24
	s_mul_i32 s20, s20, 24
	s_add_i32 s21, s22, s21
	v_mov_b32_e32 v4, s21
	v_add_co_u32_e32 v14, vcc, s20, v26
	v_addc_co_u32_e32 v15, vcc, v27, v4, vcc
	global_store_dwordx2 v[14:15], v[18:19], off
	buffer_wbl2
	s_waitcnt vmcnt(0)
	global_atomic_cmpswap_x2 v[6:7], v33, v[16:19], s[6:7] offset:32 glc
	s_waitcnt vmcnt(0)
	v_cmp_ne_u64_e32 vcc, v[6:7], v[18:19]
	s_and_saveexec_b64 s[20:21], vcc
	s_cbranch_execz .LBB2_95
; %bb.93:                               ;   in Loop: Header=BB2_28 Depth=1
	s_mov_b64 s[22:23], 0
.LBB2_94:                               ;   Parent Loop BB2_28 Depth=1
                                        ; =>  This Inner Loop Header: Depth=2
	s_sleep 1
	global_store_dwordx2 v[14:15], v[6:7], off
	v_mov_b32_e32 v4, s16
	v_mov_b32_e32 v5, s17
	buffer_wbl2
	s_waitcnt vmcnt(0)
	global_atomic_cmpswap_x2 v[4:5], v33, v[4:7], s[6:7] offset:32 glc
	s_waitcnt vmcnt(0)
	v_cmp_eq_u64_e32 vcc, v[4:5], v[6:7]
	s_or_b64 s[22:23], vcc, s[22:23]
	v_pk_mov_b32 v[6:7], v[4:5], v[4:5] op_sel:[0,1]
	s_andn2_b64 exec, exec, s[22:23]
	s_cbranch_execnz .LBB2_94
.LBB2_95:                               ;   in Loop: Header=BB2_28 Depth=1
	s_or_b64 exec, exec, s[20:21]
	global_load_dwordx2 v[4:5], v33, s[6:7] offset:16
	s_mov_b64 s[22:23], exec
	v_mbcnt_lo_u32_b32 v6, s22, 0
	v_mbcnt_hi_u32_b32 v6, s23, v6
	v_cmp_eq_u32_e32 vcc, 0, v6
	s_and_saveexec_b64 s[20:21], vcc
	s_cbranch_execz .LBB2_97
; %bb.96:                               ;   in Loop: Header=BB2_28 Depth=1
	s_bcnt1_i32_b64 s22, s[22:23]
	v_mov_b32_e32 v32, s22
	buffer_wbl2
	s_waitcnt vmcnt(0)
	global_atomic_add_x2 v[4:5], v[32:33], off offset:8
.LBB2_97:                               ;   in Loop: Header=BB2_28 Depth=1
	s_or_b64 exec, exec, s[20:21]
	s_waitcnt vmcnt(0)
	global_load_dwordx2 v[6:7], v[4:5], off offset:16
	s_waitcnt vmcnt(0)
	v_cmp_eq_u64_e32 vcc, 0, v[6:7]
	s_cbranch_vccnz .LBB2_99
; %bb.98:                               ;   in Loop: Header=BB2_28 Depth=1
	global_load_dword v32, v[4:5], off offset:24
	s_waitcnt vmcnt(0)
	v_and_b32_e32 v4, 0xffffff, v32
	v_readfirstlane_b32 m0, v4
	buffer_wbl2
	global_store_dwordx2 v[6:7], v[32:33], off
	s_sendmsg sendmsg(MSG_INTERRUPT)
.LBB2_99:                               ;   in Loop: Header=BB2_28 Depth=1
	s_or_b64 exec, exec, s[18:19]
	v_add_co_u32_e32 v4, vcc, v10, v38
	v_addc_co_u32_e32 v5, vcc, 0, v1, vcc
	s_branch .LBB2_103
.LBB2_100:                              ;   in Loop: Header=BB2_103 Depth=2
	s_or_b64 exec, exec, s[18:19]
	v_readfirstlane_b32 s18, v1
	s_cmp_eq_u32 s18, 0
	s_cbranch_scc1 .LBB2_102
; %bb.101:                              ;   in Loop: Header=BB2_103 Depth=2
	s_sleep 1
	s_cbranch_execnz .LBB2_103
	s_branch .LBB2_105
.LBB2_102:                              ;   in Loop: Header=BB2_28 Depth=1
	s_branch .LBB2_105
.LBB2_103:                              ;   Parent Loop BB2_28 Depth=1
                                        ; =>  This Inner Loop Header: Depth=2
	v_mov_b32_e32 v1, 1
	s_and_saveexec_b64 s[18:19], s[4:5]
	s_cbranch_execz .LBB2_100
; %bb.104:                              ;   in Loop: Header=BB2_103 Depth=2
	global_load_dword v1, v[34:35], off offset:20 glc
	s_waitcnt vmcnt(0)
	buffer_invl2
	buffer_wbinvl1_vol
	v_and_b32_e32 v1, 1, v1
	s_branch .LBB2_100
.LBB2_105:                              ;   in Loop: Header=BB2_28 Depth=1
	global_load_dwordx4 v[4:7], v[4:5], off
	s_and_saveexec_b64 s[18:19], s[4:5]
	s_cbranch_execz .LBB2_27
; %bb.106:                              ;   in Loop: Header=BB2_28 Depth=1
	global_load_dwordx2 v[6:7], v33, s[6:7] offset:40
	global_load_dwordx2 v[10:11], v33, s[6:7] offset:24 glc
	global_load_dwordx2 v[18:19], v33, s[6:7]
	v_mov_b32_e32 v1, s17
	s_waitcnt vmcnt(2)
	v_add_co_u32_e32 v17, vcc, 1, v6
	v_addc_co_u32_e32 v20, vcc, 0, v7, vcc
	v_add_co_u32_e32 v14, vcc, s16, v17
	v_addc_co_u32_e32 v15, vcc, v20, v1, vcc
	v_cmp_eq_u64_e32 vcc, 0, v[14:15]
	v_cndmask_b32_e32 v15, v15, v20, vcc
	v_cndmask_b32_e32 v14, v14, v17, vcc
	v_and_b32_e32 v1, v15, v7
	v_and_b32_e32 v6, v14, v6
	v_mul_lo_u32 v1, v1, 24
	v_mul_hi_u32 v7, v6, 24
	v_mul_lo_u32 v6, v6, 24
	v_add_u32_e32 v1, v7, v1
	s_waitcnt vmcnt(0)
	v_add_co_u32_e32 v6, vcc, v18, v6
	v_addc_co_u32_e32 v7, vcc, v19, v1, vcc
	v_mov_b32_e32 v16, v10
	global_store_dwordx2 v[6:7], v[10:11], off
	v_mov_b32_e32 v17, v11
	buffer_wbl2
	s_waitcnt vmcnt(0)
	global_atomic_cmpswap_x2 v[16:17], v33, v[14:17], s[6:7] offset:24 glc
	s_waitcnt vmcnt(0)
	v_cmp_ne_u64_e32 vcc, v[16:17], v[10:11]
	s_and_b64 exec, exec, vcc
	s_cbranch_execz .LBB2_27
; %bb.107:                              ;   in Loop: Header=BB2_28 Depth=1
	s_mov_b64 s[4:5], 0
.LBB2_108:                              ;   Parent Loop BB2_28 Depth=1
                                        ; =>  This Inner Loop Header: Depth=2
	s_sleep 1
	global_store_dwordx2 v[6:7], v[16:17], off
	buffer_wbl2
	s_waitcnt vmcnt(0)
	global_atomic_cmpswap_x2 v[10:11], v33, v[14:17], s[6:7] offset:24 glc
	s_waitcnt vmcnt(0)
	v_cmp_eq_u64_e32 vcc, v[10:11], v[16:17]
	s_or_b64 s[4:5], vcc, s[4:5]
	v_pk_mov_b32 v[16:17], v[10:11], v[10:11] op_sel:[0,1]
	s_andn2_b64 exec, exec, s[4:5]
	s_cbranch_execnz .LBB2_108
	s_branch .LBB2_27
.LBB2_109:
                                        ; implicit-def: $vgpr4_vgpr5
	s_cbranch_execnz .LBB2_111
	s_branch .LBB2_137
.LBB2_110:
	s_branch .LBB2_137
.LBB2_111:
	v_readfirstlane_b32 s4, v39
	v_cmp_eq_u32_e64 s[4:5], s4, v39
	v_pk_mov_b32 v[12:13], 0, 0
	s_and_saveexec_b64 s[10:11], s[4:5]
	s_cbranch_execz .LBB2_117
; %bb.112:
	v_mov_b32_e32 v1, 0
	global_load_dwordx2 v[6:7], v1, s[6:7] offset:24 glc
	s_waitcnt vmcnt(0)
	buffer_invl2
	buffer_wbinvl1_vol
	global_load_dwordx2 v[4:5], v1, s[6:7] offset:40
	global_load_dwordx2 v[10:11], v1, s[6:7]
	s_waitcnt vmcnt(1)
	v_and_b32_e32 v4, v4, v6
	v_and_b32_e32 v5, v5, v7
	v_mul_lo_u32 v5, v5, 24
	v_mul_hi_u32 v12, v4, 24
	v_mul_lo_u32 v4, v4, 24
	v_add_u32_e32 v5, v12, v5
	s_waitcnt vmcnt(0)
	v_add_co_u32_e32 v4, vcc, v10, v4
	v_addc_co_u32_e32 v5, vcc, v11, v5, vcc
	global_load_dwordx2 v[4:5], v[4:5], off glc
	s_waitcnt vmcnt(0)
	global_atomic_cmpswap_x2 v[12:13], v1, v[4:7], s[6:7] offset:24 glc
	s_waitcnt vmcnt(0)
	buffer_invl2
	buffer_wbinvl1_vol
	v_cmp_ne_u64_e32 vcc, v[12:13], v[6:7]
	s_and_saveexec_b64 s[12:13], vcc
	s_cbranch_execz .LBB2_116
; %bb.113:
	s_mov_b64 s[14:15], 0
.LBB2_114:                              ; =>This Inner Loop Header: Depth=1
	s_sleep 1
	global_load_dwordx2 v[4:5], v1, s[6:7] offset:40
	global_load_dwordx2 v[10:11], v1, s[6:7]
	v_pk_mov_b32 v[6:7], v[12:13], v[12:13] op_sel:[0,1]
	s_waitcnt vmcnt(1)
	v_and_b32_e32 v4, v4, v6
	v_and_b32_e32 v12, v5, v7
	s_waitcnt vmcnt(0)
	v_mad_u64_u32 v[4:5], s[16:17], v4, 24, v[10:11]
	v_mov_b32_e32 v10, v5
	v_mad_u64_u32 v[10:11], s[16:17], v12, 24, v[10:11]
	v_mov_b32_e32 v5, v10
	global_load_dwordx2 v[4:5], v[4:5], off glc
	s_waitcnt vmcnt(0)
	global_atomic_cmpswap_x2 v[12:13], v1, v[4:7], s[6:7] offset:24 glc
	s_waitcnt vmcnt(0)
	buffer_invl2
	buffer_wbinvl1_vol
	v_cmp_eq_u64_e32 vcc, v[12:13], v[6:7]
	s_or_b64 s[14:15], vcc, s[14:15]
	s_andn2_b64 exec, exec, s[14:15]
	s_cbranch_execnz .LBB2_114
; %bb.115:
	s_or_b64 exec, exec, s[14:15]
.LBB2_116:
	s_or_b64 exec, exec, s[12:13]
.LBB2_117:
	s_or_b64 exec, exec, s[10:11]
	v_mov_b32_e32 v10, 0
	global_load_dwordx2 v[14:15], v10, s[6:7] offset:40
	global_load_dwordx4 v[4:7], v10, s[6:7]
	v_readfirstlane_b32 s10, v12
	v_readfirstlane_b32 s11, v13
	s_mov_b64 s[12:13], exec
	s_waitcnt vmcnt(1)
	v_readfirstlane_b32 s14, v14
	v_readfirstlane_b32 s15, v15
	s_and_b64 s[14:15], s[10:11], s[14:15]
	s_mul_i32 s16, s15, 24
	s_mul_hi_u32 s17, s14, 24
	s_mul_i32 s18, s14, 24
	s_add_i32 s16, s17, s16
	v_mov_b32_e32 v1, s16
	s_waitcnt vmcnt(0)
	v_add_co_u32_e32 v12, vcc, s18, v4
	v_addc_co_u32_e32 v13, vcc, v5, v1, vcc
	s_and_saveexec_b64 s[16:17], s[4:5]
	s_cbranch_execz .LBB2_119
; %bb.118:
	v_pk_mov_b32 v[14:15], s[12:13], s[12:13] op_sel:[0,1]
	v_mov_b32_e32 v16, 2
	v_mov_b32_e32 v17, 1
	global_store_dwordx4 v[12:13], v[14:17], off offset:8
.LBB2_119:
	s_or_b64 exec, exec, s[16:17]
	s_lshl_b64 s[12:13], s[14:15], 12
	v_mov_b32_e32 v1, s13
	v_add_co_u32_e32 v6, vcc, s12, v6
	s_movk_i32 s12, 0xff1f
	v_addc_co_u32_e32 v1, vcc, v7, v1, vcc
	v_and_or_b32 v8, v8, s12, 32
	s_mov_b32 s12, 0
	v_mov_b32_e32 v11, v10
	v_readfirstlane_b32 s16, v6
	v_readfirstlane_b32 s17, v1
	s_mov_b32 s13, s12
	v_add_co_u32_e32 v14, vcc, v6, v38
	s_mov_b32 s14, s12
	s_mov_b32 s15, s12
	s_nop 0
	global_store_dwordx4 v38, v[8:11], s[16:17]
	v_pk_mov_b32 v[6:7], s[12:13], s[12:13] op_sel:[0,1]
	v_addc_co_u32_e32 v15, vcc, 0, v1, vcc
	v_pk_mov_b32 v[8:9], s[14:15], s[14:15] op_sel:[0,1]
	global_store_dwordx4 v38, v[6:9], s[16:17] offset:16
	global_store_dwordx4 v38, v[6:9], s[16:17] offset:32
	;; [unrolled: 1-line block ×3, first 2 shown]
	s_and_saveexec_b64 s[12:13], s[4:5]
	s_cbranch_execz .LBB2_127
; %bb.120:
	v_mov_b32_e32 v1, 0
	global_load_dwordx2 v[18:19], v1, s[6:7] offset:32 glc
	global_load_dwordx2 v[6:7], v1, s[6:7] offset:40
	v_mov_b32_e32 v16, s10
	v_mov_b32_e32 v17, s11
	s_waitcnt vmcnt(0)
	v_readfirstlane_b32 s14, v6
	v_readfirstlane_b32 s15, v7
	s_and_b64 s[14:15], s[14:15], s[10:11]
	s_mul_i32 s15, s15, 24
	s_mul_hi_u32 s16, s14, 24
	s_mul_i32 s14, s14, 24
	s_add_i32 s15, s16, s15
	v_mov_b32_e32 v6, s15
	v_add_co_u32_e32 v8, vcc, s14, v4
	v_addc_co_u32_e32 v9, vcc, v5, v6, vcc
	global_store_dwordx2 v[8:9], v[18:19], off
	buffer_wbl2
	s_waitcnt vmcnt(0)
	global_atomic_cmpswap_x2 v[6:7], v1, v[16:19], s[6:7] offset:32 glc
	s_waitcnt vmcnt(0)
	v_cmp_ne_u64_e32 vcc, v[6:7], v[18:19]
	s_and_saveexec_b64 s[14:15], vcc
	s_cbranch_execz .LBB2_123
; %bb.121:
	s_mov_b64 s[16:17], 0
.LBB2_122:                              ; =>This Inner Loop Header: Depth=1
	s_sleep 1
	global_store_dwordx2 v[8:9], v[6:7], off
	v_mov_b32_e32 v4, s10
	v_mov_b32_e32 v5, s11
	buffer_wbl2
	s_waitcnt vmcnt(0)
	global_atomic_cmpswap_x2 v[4:5], v1, v[4:7], s[6:7] offset:32 glc
	s_waitcnt vmcnt(0)
	v_cmp_eq_u64_e32 vcc, v[4:5], v[6:7]
	s_or_b64 s[16:17], vcc, s[16:17]
	v_pk_mov_b32 v[6:7], v[4:5], v[4:5] op_sel:[0,1]
	s_andn2_b64 exec, exec, s[16:17]
	s_cbranch_execnz .LBB2_122
.LBB2_123:
	s_or_b64 exec, exec, s[14:15]
	v_mov_b32_e32 v7, 0
	global_load_dwordx2 v[4:5], v7, s[6:7] offset:16
	s_mov_b64 s[14:15], exec
	v_mbcnt_lo_u32_b32 v1, s14, 0
	v_mbcnt_hi_u32_b32 v1, s15, v1
	v_cmp_eq_u32_e32 vcc, 0, v1
	s_and_saveexec_b64 s[16:17], vcc
	s_cbranch_execz .LBB2_125
; %bb.124:
	s_bcnt1_i32_b64 s14, s[14:15]
	v_mov_b32_e32 v6, s14
	buffer_wbl2
	s_waitcnt vmcnt(0)
	global_atomic_add_x2 v[4:5], v[6:7], off offset:8
.LBB2_125:
	s_or_b64 exec, exec, s[16:17]
	s_waitcnt vmcnt(0)
	global_load_dwordx2 v[6:7], v[4:5], off offset:16
	s_waitcnt vmcnt(0)
	v_cmp_eq_u64_e32 vcc, 0, v[6:7]
	s_cbranch_vccnz .LBB2_127
; %bb.126:
	global_load_dword v4, v[4:5], off offset:24
	v_mov_b32_e32 v5, 0
	s_waitcnt vmcnt(0)
	v_and_b32_e32 v1, 0xffffff, v4
	v_readfirstlane_b32 m0, v1
	buffer_wbl2
	global_store_dwordx2 v[6:7], v[4:5], off
	s_sendmsg sendmsg(MSG_INTERRUPT)
.LBB2_127:
	s_or_b64 exec, exec, s[12:13]
	s_branch .LBB2_131
.LBB2_128:                              ;   in Loop: Header=BB2_131 Depth=1
	s_or_b64 exec, exec, s[12:13]
	v_readfirstlane_b32 s12, v1
	s_cmp_eq_u32 s12, 0
	s_cbranch_scc1 .LBB2_130
; %bb.129:                              ;   in Loop: Header=BB2_131 Depth=1
	s_sleep 1
	s_cbranch_execnz .LBB2_131
	s_branch .LBB2_133
.LBB2_130:
	s_branch .LBB2_133
.LBB2_131:                              ; =>This Inner Loop Header: Depth=1
	v_mov_b32_e32 v1, 1
	s_and_saveexec_b64 s[12:13], s[4:5]
	s_cbranch_execz .LBB2_128
; %bb.132:                              ;   in Loop: Header=BB2_131 Depth=1
	global_load_dword v1, v[12:13], off offset:20 glc
	s_waitcnt vmcnt(0)
	buffer_invl2
	buffer_wbinvl1_vol
	v_and_b32_e32 v1, 1, v1
	s_branch .LBB2_128
.LBB2_133:
	global_load_dwordx2 v[4:5], v[14:15], off
	s_and_saveexec_b64 s[12:13], s[4:5]
	s_cbranch_execz .LBB2_136
; %bb.134:
	v_mov_b32_e32 v1, 0
	global_load_dwordx2 v[10:11], v1, s[6:7] offset:40
	global_load_dwordx2 v[12:13], v1, s[6:7] offset:24 glc
	global_load_dwordx2 v[14:15], v1, s[6:7]
	v_mov_b32_e32 v7, s11
	s_mov_b64 s[4:5], 0
	s_waitcnt vmcnt(2)
	v_add_co_u32_e32 v9, vcc, 1, v10
	v_addc_co_u32_e32 v16, vcc, 0, v11, vcc
	v_add_co_u32_e32 v6, vcc, s10, v9
	v_addc_co_u32_e32 v7, vcc, v16, v7, vcc
	v_cmp_eq_u64_e32 vcc, 0, v[6:7]
	v_cndmask_b32_e32 v7, v7, v16, vcc
	v_cndmask_b32_e32 v6, v6, v9, vcc
	v_and_b32_e32 v9, v7, v11
	v_and_b32_e32 v10, v6, v10
	v_mul_lo_u32 v9, v9, 24
	v_mul_hi_u32 v11, v10, 24
	v_mul_lo_u32 v10, v10, 24
	v_add_u32_e32 v9, v11, v9
	s_waitcnt vmcnt(0)
	v_add_co_u32_e32 v10, vcc, v14, v10
	v_addc_co_u32_e32 v11, vcc, v15, v9, vcc
	v_mov_b32_e32 v8, v12
	global_store_dwordx2 v[10:11], v[12:13], off
	v_mov_b32_e32 v9, v13
	buffer_wbl2
	s_waitcnt vmcnt(0)
	global_atomic_cmpswap_x2 v[8:9], v1, v[6:9], s[6:7] offset:24 glc
	s_waitcnt vmcnt(0)
	v_cmp_ne_u64_e32 vcc, v[8:9], v[12:13]
	s_and_b64 exec, exec, vcc
	s_cbranch_execz .LBB2_136
.LBB2_135:                              ; =>This Inner Loop Header: Depth=1
	s_sleep 1
	global_store_dwordx2 v[10:11], v[8:9], off
	buffer_wbl2
	s_waitcnt vmcnt(0)
	global_atomic_cmpswap_x2 v[12:13], v1, v[6:9], s[6:7] offset:24 glc
	s_waitcnt vmcnt(0)
	v_cmp_eq_u64_e32 vcc, v[12:13], v[8:9]
	s_or_b64 s[4:5], vcc, s[4:5]
	v_pk_mov_b32 v[8:9], v[12:13], v[12:13] op_sel:[0,1]
	s_andn2_b64 exec, exec, s[4:5]
	s_cbranch_execnz .LBB2_135
.LBB2_136:
	s_or_b64 exec, exec, s[12:13]
.LBB2_137:
	s_getpc_b64 s[10:11]
	s_add_u32 s10, s10, .str@rel32@lo+4
	s_addc_u32 s11, s11, .str@rel32@hi+12
	s_cmp_lg_u64 s[10:11], 0
	s_cselect_b64 s[4:5], -1, 0
	s_cmp_eq_u64 s[10:11], 0
	s_mov_b64 s[10:11], 0
	s_cbranch_scc1 .LBB2_141
; %bb.138:
	v_mov_b32_e32 v1, 0
	s_getpc_b64 s[10:11]
	s_add_u32 s10, s10, .str@rel32@lo+3
	s_addc_u32 s11, s11, .str@rel32@hi+11
.LBB2_139:                              ; =>This Inner Loop Header: Depth=1
	global_load_ubyte v6, v1, s[10:11] offset:1
	s_add_u32 s12, s10, 1
	s_addc_u32 s13, s11, 0
	s_mov_b64 s[10:11], s[12:13]
	s_waitcnt vmcnt(0)
	v_cmp_ne_u16_e32 vcc, 0, v6
	s_cbranch_vccnz .LBB2_139
; %bb.140:
	s_getpc_b64 s[10:11]
	s_add_u32 s10, s10, .str@rel32@lo+4
	s_addc_u32 s11, s11, .str@rel32@hi+12
	s_sub_u32 s10, s12, s10
	s_subb_u32 s11, s13, s11
	s_add_u32 s10, s10, 1
	s_addc_u32 s11, s11, 0
.LBB2_141:
	s_and_b64 vcc, exec, s[4:5]
	s_cbranch_vccz .LBB2_225
; %bb.142:
	s_waitcnt vmcnt(0)
	v_and_b32_e32 v32, 2, v4
	v_mov_b32_e32 v35, 0
	v_and_b32_e32 v6, -3, v4
	v_mov_b32_e32 v7, v5
	v_mov_b32_e32 v10, 2
	;; [unrolled: 1-line block ×3, first 2 shown]
	s_getpc_b64 s[12:13]
	s_add_u32 s12, s12, .str@rel32@lo+4
	s_addc_u32 s13, s13, .str@rel32@hi+12
	s_branch .LBB2_144
.LBB2_143:                              ;   in Loop: Header=BB2_144 Depth=1
	s_or_b64 exec, exec, s[18:19]
	s_sub_u32 s10, s10, s14
	s_subb_u32 s11, s11, s15
	s_add_u32 s12, s12, s14
	s_addc_u32 s13, s13, s15
	s_cmp_lg_u64 s[10:11], 0
	s_cbranch_scc0 .LBB2_226
.LBB2_144:                              ; =>This Loop Header: Depth=1
                                        ;     Child Loop BB2_147 Depth 2
                                        ;     Child Loop BB2_154 Depth 2
	;; [unrolled: 1-line block ×11, first 2 shown]
	v_cmp_lt_u64_e64 s[4:5], s[10:11], 56
	s_and_b64 s[4:5], s[4:5], exec
	v_cmp_gt_u64_e64 s[4:5], s[10:11], 7
	s_cselect_b32 s15, s11, 0
	s_cselect_b32 s14, s10, 56
	s_and_b64 vcc, exec, s[4:5]
	s_cbranch_vccnz .LBB2_149
; %bb.145:                              ;   in Loop: Header=BB2_144 Depth=1
	s_mov_b64 s[4:5], 0
	s_cmp_eq_u64 s[10:11], 0
	v_pk_mov_b32 v[14:15], 0, 0
	s_cbranch_scc1 .LBB2_148
; %bb.146:                              ;   in Loop: Header=BB2_144 Depth=1
	s_lshl_b64 s[16:17], s[14:15], 3
	s_mov_b64 s[18:19], 0
	v_pk_mov_b32 v[14:15], 0, 0
	s_mov_b64 s[20:21], s[12:13]
.LBB2_147:                              ;   Parent Loop BB2_144 Depth=1
                                        ; =>  This Inner Loop Header: Depth=2
	global_load_ubyte v1, v35, s[20:21]
	s_waitcnt vmcnt(0)
	v_and_b32_e32 v34, 0xffff, v1
	v_lshlrev_b64 v[8:9], s18, v[34:35]
	s_add_u32 s18, s18, 8
	s_addc_u32 s19, s19, 0
	s_add_u32 s20, s20, 1
	s_addc_u32 s21, s21, 0
	v_or_b32_e32 v14, v8, v14
	s_cmp_lg_u32 s16, s18
	v_or_b32_e32 v15, v9, v15
	s_cbranch_scc1 .LBB2_147
.LBB2_148:                              ;   in Loop: Header=BB2_144 Depth=1
	s_mov_b32 s20, 0
	s_andn2_b64 vcc, exec, s[4:5]
	s_mov_b64 s[4:5], s[12:13]
	s_cbranch_vccz .LBB2_150
	s_branch .LBB2_151
.LBB2_149:                              ;   in Loop: Header=BB2_144 Depth=1
                                        ; implicit-def: $vgpr14_vgpr15
                                        ; implicit-def: $sgpr20
	s_mov_b64 s[4:5], s[12:13]
.LBB2_150:                              ;   in Loop: Header=BB2_144 Depth=1
	global_load_dwordx2 v[14:15], v35, s[12:13]
	s_add_i32 s20, s14, -8
	s_add_u32 s4, s12, 8
	s_addc_u32 s5, s13, 0
.LBB2_151:                              ;   in Loop: Header=BB2_144 Depth=1
	s_cmp_gt_u32 s20, 7
	s_cbranch_scc1 .LBB2_155
; %bb.152:                              ;   in Loop: Header=BB2_144 Depth=1
	s_cmp_eq_u32 s20, 0
	s_cbranch_scc1 .LBB2_156
; %bb.153:                              ;   in Loop: Header=BB2_144 Depth=1
	s_mov_b64 s[16:17], 0
	v_pk_mov_b32 v[16:17], 0, 0
	s_mov_b64 s[18:19], 0
.LBB2_154:                              ;   Parent Loop BB2_144 Depth=1
                                        ; =>  This Inner Loop Header: Depth=2
	s_add_u32 s22, s4, s18
	s_addc_u32 s23, s5, s19
	global_load_ubyte v1, v35, s[22:23]
	s_add_u32 s18, s18, 1
	s_addc_u32 s19, s19, 0
	s_waitcnt vmcnt(0)
	v_and_b32_e32 v34, 0xffff, v1
	v_lshlrev_b64 v[8:9], s16, v[34:35]
	s_add_u32 s16, s16, 8
	s_addc_u32 s17, s17, 0
	v_or_b32_e32 v16, v8, v16
	s_cmp_lg_u32 s20, s18
	v_or_b32_e32 v17, v9, v17
	s_cbranch_scc1 .LBB2_154
	s_branch .LBB2_157
.LBB2_155:                              ;   in Loop: Header=BB2_144 Depth=1
                                        ; implicit-def: $vgpr16_vgpr17
                                        ; implicit-def: $sgpr21
	s_branch .LBB2_158
.LBB2_156:                              ;   in Loop: Header=BB2_144 Depth=1
	v_pk_mov_b32 v[16:17], 0, 0
.LBB2_157:                              ;   in Loop: Header=BB2_144 Depth=1
	s_mov_b32 s21, 0
	s_cbranch_execnz .LBB2_159
.LBB2_158:                              ;   in Loop: Header=BB2_144 Depth=1
	global_load_dwordx2 v[16:17], v35, s[4:5]
	s_add_i32 s21, s20, -8
	s_add_u32 s4, s4, 8
	s_addc_u32 s5, s5, 0
.LBB2_159:                              ;   in Loop: Header=BB2_144 Depth=1
	s_cmp_gt_u32 s21, 7
	s_cbranch_scc1 .LBB2_163
; %bb.160:                              ;   in Loop: Header=BB2_144 Depth=1
	s_cmp_eq_u32 s21, 0
	s_cbranch_scc1 .LBB2_164
; %bb.161:                              ;   in Loop: Header=BB2_144 Depth=1
	s_mov_b64 s[16:17], 0
	v_pk_mov_b32 v[18:19], 0, 0
	s_mov_b64 s[18:19], 0
.LBB2_162:                              ;   Parent Loop BB2_144 Depth=1
                                        ; =>  This Inner Loop Header: Depth=2
	s_add_u32 s22, s4, s18
	s_addc_u32 s23, s5, s19
	global_load_ubyte v1, v35, s[22:23]
	s_add_u32 s18, s18, 1
	s_addc_u32 s19, s19, 0
	s_waitcnt vmcnt(0)
	v_and_b32_e32 v34, 0xffff, v1
	v_lshlrev_b64 v[8:9], s16, v[34:35]
	s_add_u32 s16, s16, 8
	s_addc_u32 s17, s17, 0
	v_or_b32_e32 v18, v8, v18
	s_cmp_lg_u32 s21, s18
	v_or_b32_e32 v19, v9, v19
	s_cbranch_scc1 .LBB2_162
	s_branch .LBB2_165
.LBB2_163:                              ;   in Loop: Header=BB2_144 Depth=1
                                        ; implicit-def: $sgpr20
	s_branch .LBB2_166
.LBB2_164:                              ;   in Loop: Header=BB2_144 Depth=1
	v_pk_mov_b32 v[18:19], 0, 0
.LBB2_165:                              ;   in Loop: Header=BB2_144 Depth=1
	s_mov_b32 s20, 0
	s_cbranch_execnz .LBB2_167
.LBB2_166:                              ;   in Loop: Header=BB2_144 Depth=1
	global_load_dwordx2 v[18:19], v35, s[4:5]
	s_add_i32 s20, s21, -8
	s_add_u32 s4, s4, 8
	s_addc_u32 s5, s5, 0
.LBB2_167:                              ;   in Loop: Header=BB2_144 Depth=1
	s_cmp_gt_u32 s20, 7
	s_cbranch_scc1 .LBB2_171
; %bb.168:                              ;   in Loop: Header=BB2_144 Depth=1
	s_cmp_eq_u32 s20, 0
	s_cbranch_scc1 .LBB2_172
; %bb.169:                              ;   in Loop: Header=BB2_144 Depth=1
	s_mov_b64 s[16:17], 0
	v_pk_mov_b32 v[20:21], 0, 0
	s_mov_b64 s[18:19], 0
.LBB2_170:                              ;   Parent Loop BB2_144 Depth=1
                                        ; =>  This Inner Loop Header: Depth=2
	s_add_u32 s22, s4, s18
	s_addc_u32 s23, s5, s19
	global_load_ubyte v1, v35, s[22:23]
	s_add_u32 s18, s18, 1
	s_addc_u32 s19, s19, 0
	s_waitcnt vmcnt(0)
	v_and_b32_e32 v34, 0xffff, v1
	v_lshlrev_b64 v[8:9], s16, v[34:35]
	s_add_u32 s16, s16, 8
	s_addc_u32 s17, s17, 0
	v_or_b32_e32 v20, v8, v20
	s_cmp_lg_u32 s20, s18
	v_or_b32_e32 v21, v9, v21
	s_cbranch_scc1 .LBB2_170
	s_branch .LBB2_173
.LBB2_171:                              ;   in Loop: Header=BB2_144 Depth=1
                                        ; implicit-def: $vgpr20_vgpr21
                                        ; implicit-def: $sgpr21
	s_branch .LBB2_174
.LBB2_172:                              ;   in Loop: Header=BB2_144 Depth=1
	v_pk_mov_b32 v[20:21], 0, 0
.LBB2_173:                              ;   in Loop: Header=BB2_144 Depth=1
	s_mov_b32 s21, 0
	s_cbranch_execnz .LBB2_175
.LBB2_174:                              ;   in Loop: Header=BB2_144 Depth=1
	global_load_dwordx2 v[20:21], v35, s[4:5]
	s_add_i32 s21, s20, -8
	s_add_u32 s4, s4, 8
	s_addc_u32 s5, s5, 0
.LBB2_175:                              ;   in Loop: Header=BB2_144 Depth=1
	s_cmp_gt_u32 s21, 7
	s_cbranch_scc1 .LBB2_179
; %bb.176:                              ;   in Loop: Header=BB2_144 Depth=1
	s_cmp_eq_u32 s21, 0
	s_cbranch_scc1 .LBB2_180
; %bb.177:                              ;   in Loop: Header=BB2_144 Depth=1
	s_mov_b64 s[16:17], 0
	v_pk_mov_b32 v[22:23], 0, 0
	s_mov_b64 s[18:19], 0
.LBB2_178:                              ;   Parent Loop BB2_144 Depth=1
                                        ; =>  This Inner Loop Header: Depth=2
	s_add_u32 s22, s4, s18
	s_addc_u32 s23, s5, s19
	global_load_ubyte v1, v35, s[22:23]
	s_add_u32 s18, s18, 1
	s_addc_u32 s19, s19, 0
	s_waitcnt vmcnt(0)
	v_and_b32_e32 v34, 0xffff, v1
	v_lshlrev_b64 v[8:9], s16, v[34:35]
	s_add_u32 s16, s16, 8
	s_addc_u32 s17, s17, 0
	v_or_b32_e32 v22, v8, v22
	s_cmp_lg_u32 s21, s18
	v_or_b32_e32 v23, v9, v23
	s_cbranch_scc1 .LBB2_178
	s_branch .LBB2_181
.LBB2_179:                              ;   in Loop: Header=BB2_144 Depth=1
                                        ; implicit-def: $sgpr20
	s_branch .LBB2_182
.LBB2_180:                              ;   in Loop: Header=BB2_144 Depth=1
	v_pk_mov_b32 v[22:23], 0, 0
.LBB2_181:                              ;   in Loop: Header=BB2_144 Depth=1
	s_mov_b32 s20, 0
	s_cbranch_execnz .LBB2_183
.LBB2_182:                              ;   in Loop: Header=BB2_144 Depth=1
	global_load_dwordx2 v[22:23], v35, s[4:5]
	s_add_i32 s20, s21, -8
	s_add_u32 s4, s4, 8
	s_addc_u32 s5, s5, 0
.LBB2_183:                              ;   in Loop: Header=BB2_144 Depth=1
	s_cmp_gt_u32 s20, 7
	s_cbranch_scc1 .LBB2_187
; %bb.184:                              ;   in Loop: Header=BB2_144 Depth=1
	s_cmp_eq_u32 s20, 0
	s_cbranch_scc1 .LBB2_188
; %bb.185:                              ;   in Loop: Header=BB2_144 Depth=1
	s_mov_b64 s[16:17], 0
	v_pk_mov_b32 v[24:25], 0, 0
	s_mov_b64 s[18:19], 0
.LBB2_186:                              ;   Parent Loop BB2_144 Depth=1
                                        ; =>  This Inner Loop Header: Depth=2
	s_add_u32 s22, s4, s18
	s_addc_u32 s23, s5, s19
	global_load_ubyte v1, v35, s[22:23]
	s_add_u32 s18, s18, 1
	s_addc_u32 s19, s19, 0
	s_waitcnt vmcnt(0)
	v_and_b32_e32 v34, 0xffff, v1
	v_lshlrev_b64 v[8:9], s16, v[34:35]
	s_add_u32 s16, s16, 8
	s_addc_u32 s17, s17, 0
	v_or_b32_e32 v24, v8, v24
	s_cmp_lg_u32 s20, s18
	v_or_b32_e32 v25, v9, v25
	s_cbranch_scc1 .LBB2_186
	s_branch .LBB2_189
.LBB2_187:                              ;   in Loop: Header=BB2_144 Depth=1
                                        ; implicit-def: $vgpr24_vgpr25
                                        ; implicit-def: $sgpr21
	s_branch .LBB2_190
.LBB2_188:                              ;   in Loop: Header=BB2_144 Depth=1
	v_pk_mov_b32 v[24:25], 0, 0
.LBB2_189:                              ;   in Loop: Header=BB2_144 Depth=1
	s_mov_b32 s21, 0
	s_cbranch_execnz .LBB2_191
.LBB2_190:                              ;   in Loop: Header=BB2_144 Depth=1
	global_load_dwordx2 v[24:25], v35, s[4:5]
	s_add_i32 s21, s20, -8
	s_add_u32 s4, s4, 8
	s_addc_u32 s5, s5, 0
.LBB2_191:                              ;   in Loop: Header=BB2_144 Depth=1
	s_cmp_gt_u32 s21, 7
	s_cbranch_scc1 .LBB2_195
; %bb.192:                              ;   in Loop: Header=BB2_144 Depth=1
	s_cmp_eq_u32 s21, 0
	s_cbranch_scc1 .LBB2_196
; %bb.193:                              ;   in Loop: Header=BB2_144 Depth=1
	s_mov_b64 s[16:17], 0
	v_pk_mov_b32 v[26:27], 0, 0
	s_mov_b64 s[18:19], s[4:5]
.LBB2_194:                              ;   Parent Loop BB2_144 Depth=1
                                        ; =>  This Inner Loop Header: Depth=2
	global_load_ubyte v1, v35, s[18:19]
	s_add_i32 s21, s21, -1
	s_waitcnt vmcnt(0)
	v_and_b32_e32 v34, 0xffff, v1
	v_lshlrev_b64 v[8:9], s16, v[34:35]
	s_add_u32 s16, s16, 8
	s_addc_u32 s17, s17, 0
	s_add_u32 s18, s18, 1
	s_addc_u32 s19, s19, 0
	v_or_b32_e32 v26, v8, v26
	s_cmp_lg_u32 s21, 0
	v_or_b32_e32 v27, v9, v27
	s_cbranch_scc1 .LBB2_194
	s_branch .LBB2_197
.LBB2_195:                              ;   in Loop: Header=BB2_144 Depth=1
	s_branch .LBB2_198
.LBB2_196:                              ;   in Loop: Header=BB2_144 Depth=1
	v_pk_mov_b32 v[26:27], 0, 0
.LBB2_197:                              ;   in Loop: Header=BB2_144 Depth=1
	s_cbranch_execnz .LBB2_199
.LBB2_198:                              ;   in Loop: Header=BB2_144 Depth=1
	global_load_dwordx2 v[26:27], v35, s[4:5]
.LBB2_199:                              ;   in Loop: Header=BB2_144 Depth=1
	v_readfirstlane_b32 s4, v39
	v_cmp_eq_u32_e64 s[4:5], s4, v39
	s_waitcnt vmcnt(0)
	v_pk_mov_b32 v[8:9], 0, 0
	s_and_saveexec_b64 s[16:17], s[4:5]
	s_cbranch_execz .LBB2_205
; %bb.200:                              ;   in Loop: Header=BB2_144 Depth=1
	global_load_dwordx2 v[30:31], v35, s[6:7] offset:24 glc
	s_waitcnt vmcnt(0)
	buffer_invl2
	buffer_wbinvl1_vol
	global_load_dwordx2 v[8:9], v35, s[6:7] offset:40
	global_load_dwordx2 v[12:13], v35, s[6:7]
	s_waitcnt vmcnt(1)
	v_and_b32_e32 v1, v8, v30
	v_and_b32_e32 v8, v9, v31
	v_mul_lo_u32 v8, v8, 24
	v_mul_hi_u32 v9, v1, 24
	v_mul_lo_u32 v1, v1, 24
	v_add_u32_e32 v9, v9, v8
	s_waitcnt vmcnt(0)
	v_add_co_u32_e32 v8, vcc, v12, v1
	v_addc_co_u32_e32 v9, vcc, v13, v9, vcc
	global_load_dwordx2 v[28:29], v[8:9], off glc
	s_waitcnt vmcnt(0)
	global_atomic_cmpswap_x2 v[8:9], v35, v[28:31], s[6:7] offset:24 glc
	s_waitcnt vmcnt(0)
	buffer_invl2
	buffer_wbinvl1_vol
	v_cmp_ne_u64_e32 vcc, v[8:9], v[30:31]
	s_and_saveexec_b64 s[18:19], vcc
	s_cbranch_execz .LBB2_204
; %bb.201:                              ;   in Loop: Header=BB2_144 Depth=1
	s_mov_b64 s[20:21], 0
.LBB2_202:                              ;   Parent Loop BB2_144 Depth=1
                                        ; =>  This Inner Loop Header: Depth=2
	s_sleep 1
	global_load_dwordx2 v[12:13], v35, s[6:7] offset:40
	global_load_dwordx2 v[28:29], v35, s[6:7]
	v_pk_mov_b32 v[30:31], v[8:9], v[8:9] op_sel:[0,1]
	s_waitcnt vmcnt(1)
	v_and_b32_e32 v8, v12, v30
	s_waitcnt vmcnt(0)
	v_mad_u64_u32 v[8:9], s[22:23], v8, 24, v[28:29]
	v_and_b32_e32 v1, v13, v31
	v_mov_b32_e32 v12, v9
	v_mad_u64_u32 v[12:13], s[22:23], v1, 24, v[12:13]
	v_mov_b32_e32 v9, v12
	global_load_dwordx2 v[28:29], v[8:9], off glc
	s_waitcnt vmcnt(0)
	global_atomic_cmpswap_x2 v[8:9], v35, v[28:31], s[6:7] offset:24 glc
	s_waitcnt vmcnt(0)
	buffer_invl2
	buffer_wbinvl1_vol
	v_cmp_eq_u64_e32 vcc, v[8:9], v[30:31]
	s_or_b64 s[20:21], vcc, s[20:21]
	s_andn2_b64 exec, exec, s[20:21]
	s_cbranch_execnz .LBB2_202
; %bb.203:                              ;   in Loop: Header=BB2_144 Depth=1
	s_or_b64 exec, exec, s[20:21]
.LBB2_204:                              ;   in Loop: Header=BB2_144 Depth=1
	s_or_b64 exec, exec, s[18:19]
.LBB2_205:                              ;   in Loop: Header=BB2_144 Depth=1
	s_or_b64 exec, exec, s[16:17]
	global_load_dwordx2 v[12:13], v35, s[6:7] offset:40
	global_load_dwordx4 v[28:31], v35, s[6:7]
	v_readfirstlane_b32 s16, v8
	v_readfirstlane_b32 s17, v9
	s_mov_b64 s[18:19], exec
	s_waitcnt vmcnt(1)
	v_readfirstlane_b32 s20, v12
	v_readfirstlane_b32 s21, v13
	s_and_b64 s[20:21], s[16:17], s[20:21]
	s_mul_i32 s22, s21, 24
	s_mul_hi_u32 s23, s20, 24
	s_mul_i32 s24, s20, 24
	s_add_i32 s22, s23, s22
	v_mov_b32_e32 v1, s22
	s_waitcnt vmcnt(0)
	v_add_co_u32_e32 v36, vcc, s24, v28
	v_addc_co_u32_e32 v37, vcc, v29, v1, vcc
	s_and_saveexec_b64 s[22:23], s[4:5]
	s_cbranch_execz .LBB2_207
; %bb.206:                              ;   in Loop: Header=BB2_144 Depth=1
	v_pk_mov_b32 v[8:9], s[18:19], s[18:19] op_sel:[0,1]
	global_store_dwordx4 v[36:37], v[8:11], off offset:8
.LBB2_207:                              ;   in Loop: Header=BB2_144 Depth=1
	s_or_b64 exec, exec, s[22:23]
	s_lshl_b64 s[18:19], s[20:21], 12
	v_mov_b32_e32 v1, s19
	v_add_co_u32_e32 v30, vcc, s18, v30
	v_addc_co_u32_e32 v1, vcc, v31, v1, vcc
	v_or_b32_e32 v9, v6, v32
	v_cmp_gt_u64_e64 vcc, s[10:11], 56
	s_lshl_b32 s18, s14, 2
	v_cndmask_b32_e32 v6, v9, v6, vcc
	s_add_i32 s18, s18, 28
	v_or_b32_e32 v8, 0, v7
	s_and_b32 s18, s18, 0x1e0
	v_and_b32_e32 v6, 0xffffff1f, v6
	v_cndmask_b32_e32 v13, v8, v7, vcc
	v_or_b32_e32 v12, s18, v6
	v_readfirstlane_b32 s18, v30
	v_readfirstlane_b32 s19, v1
	s_nop 4
	global_store_dwordx4 v38, v[12:15], s[18:19]
	global_store_dwordx4 v38, v[16:19], s[18:19] offset:16
	global_store_dwordx4 v38, v[20:23], s[18:19] offset:32
	;; [unrolled: 1-line block ×3, first 2 shown]
	s_and_saveexec_b64 s[18:19], s[4:5]
	s_cbranch_execz .LBB2_215
; %bb.208:                              ;   in Loop: Header=BB2_144 Depth=1
	global_load_dwordx2 v[16:17], v35, s[6:7] offset:32 glc
	global_load_dwordx2 v[6:7], v35, s[6:7] offset:40
	v_mov_b32_e32 v14, s16
	v_mov_b32_e32 v15, s17
	s_waitcnt vmcnt(0)
	v_readfirstlane_b32 s20, v6
	v_readfirstlane_b32 s21, v7
	s_and_b64 s[20:21], s[20:21], s[16:17]
	s_mul_i32 s21, s21, 24
	s_mul_hi_u32 s22, s20, 24
	s_mul_i32 s20, s20, 24
	s_add_i32 s21, s22, s21
	v_mov_b32_e32 v6, s21
	v_add_co_u32_e32 v12, vcc, s20, v28
	v_addc_co_u32_e32 v13, vcc, v29, v6, vcc
	global_store_dwordx2 v[12:13], v[16:17], off
	buffer_wbl2
	s_waitcnt vmcnt(0)
	global_atomic_cmpswap_x2 v[8:9], v35, v[14:17], s[6:7] offset:32 glc
	s_waitcnt vmcnt(0)
	v_cmp_ne_u64_e32 vcc, v[8:9], v[16:17]
	s_and_saveexec_b64 s[20:21], vcc
	s_cbranch_execz .LBB2_211
; %bb.209:                              ;   in Loop: Header=BB2_144 Depth=1
	s_mov_b64 s[22:23], 0
.LBB2_210:                              ;   Parent Loop BB2_144 Depth=1
                                        ; =>  This Inner Loop Header: Depth=2
	s_sleep 1
	global_store_dwordx2 v[12:13], v[8:9], off
	v_mov_b32_e32 v6, s16
	v_mov_b32_e32 v7, s17
	buffer_wbl2
	s_waitcnt vmcnt(0)
	global_atomic_cmpswap_x2 v[6:7], v35, v[6:9], s[6:7] offset:32 glc
	s_waitcnt vmcnt(0)
	v_cmp_eq_u64_e32 vcc, v[6:7], v[8:9]
	s_or_b64 s[22:23], vcc, s[22:23]
	v_pk_mov_b32 v[8:9], v[6:7], v[6:7] op_sel:[0,1]
	s_andn2_b64 exec, exec, s[22:23]
	s_cbranch_execnz .LBB2_210
.LBB2_211:                              ;   in Loop: Header=BB2_144 Depth=1
	s_or_b64 exec, exec, s[20:21]
	global_load_dwordx2 v[6:7], v35, s[6:7] offset:16
	s_mov_b64 s[22:23], exec
	v_mbcnt_lo_u32_b32 v8, s22, 0
	v_mbcnt_hi_u32_b32 v8, s23, v8
	v_cmp_eq_u32_e32 vcc, 0, v8
	s_and_saveexec_b64 s[20:21], vcc
	s_cbranch_execz .LBB2_213
; %bb.212:                              ;   in Loop: Header=BB2_144 Depth=1
	s_bcnt1_i32_b64 s22, s[22:23]
	v_mov_b32_e32 v34, s22
	buffer_wbl2
	s_waitcnt vmcnt(0)
	global_atomic_add_x2 v[6:7], v[34:35], off offset:8
.LBB2_213:                              ;   in Loop: Header=BB2_144 Depth=1
	s_or_b64 exec, exec, s[20:21]
	s_waitcnt vmcnt(0)
	global_load_dwordx2 v[8:9], v[6:7], off offset:16
	s_waitcnt vmcnt(0)
	v_cmp_eq_u64_e32 vcc, 0, v[8:9]
	s_cbranch_vccnz .LBB2_215
; %bb.214:                              ;   in Loop: Header=BB2_144 Depth=1
	global_load_dword v34, v[6:7], off offset:24
	s_waitcnt vmcnt(0)
	v_and_b32_e32 v6, 0xffffff, v34
	v_readfirstlane_b32 m0, v6
	buffer_wbl2
	global_store_dwordx2 v[8:9], v[34:35], off
	s_sendmsg sendmsg(MSG_INTERRUPT)
.LBB2_215:                              ;   in Loop: Header=BB2_144 Depth=1
	s_or_b64 exec, exec, s[18:19]
	v_add_co_u32_e32 v6, vcc, v30, v38
	v_addc_co_u32_e32 v7, vcc, 0, v1, vcc
	s_branch .LBB2_219
.LBB2_216:                              ;   in Loop: Header=BB2_219 Depth=2
	s_or_b64 exec, exec, s[18:19]
	v_readfirstlane_b32 s18, v1
	s_cmp_eq_u32 s18, 0
	s_cbranch_scc1 .LBB2_218
; %bb.217:                              ;   in Loop: Header=BB2_219 Depth=2
	s_sleep 1
	s_cbranch_execnz .LBB2_219
	s_branch .LBB2_221
.LBB2_218:                              ;   in Loop: Header=BB2_144 Depth=1
	s_branch .LBB2_221
.LBB2_219:                              ;   Parent Loop BB2_144 Depth=1
                                        ; =>  This Inner Loop Header: Depth=2
	v_mov_b32_e32 v1, 1
	s_and_saveexec_b64 s[18:19], s[4:5]
	s_cbranch_execz .LBB2_216
; %bb.220:                              ;   in Loop: Header=BB2_219 Depth=2
	global_load_dword v1, v[36:37], off offset:20 glc
	s_waitcnt vmcnt(0)
	buffer_invl2
	buffer_wbinvl1_vol
	v_and_b32_e32 v1, 1, v1
	s_branch .LBB2_216
.LBB2_221:                              ;   in Loop: Header=BB2_144 Depth=1
	global_load_dwordx4 v[6:9], v[6:7], off
	s_and_saveexec_b64 s[18:19], s[4:5]
	s_cbranch_execz .LBB2_143
; %bb.222:                              ;   in Loop: Header=BB2_144 Depth=1
	global_load_dwordx2 v[8:9], v35, s[6:7] offset:40
	global_load_dwordx2 v[16:17], v35, s[6:7] offset:24 glc
	global_load_dwordx2 v[18:19], v35, s[6:7]
	v_mov_b32_e32 v1, s17
	s_waitcnt vmcnt(2)
	v_add_co_u32_e32 v15, vcc, 1, v8
	v_addc_co_u32_e32 v20, vcc, 0, v9, vcc
	v_add_co_u32_e32 v12, vcc, s16, v15
	v_addc_co_u32_e32 v13, vcc, v20, v1, vcc
	v_cmp_eq_u64_e32 vcc, 0, v[12:13]
	v_cndmask_b32_e32 v13, v13, v20, vcc
	v_cndmask_b32_e32 v12, v12, v15, vcc
	v_and_b32_e32 v1, v13, v9
	v_and_b32_e32 v8, v12, v8
	v_mul_lo_u32 v1, v1, 24
	v_mul_hi_u32 v9, v8, 24
	v_mul_lo_u32 v8, v8, 24
	v_add_u32_e32 v1, v9, v1
	s_waitcnt vmcnt(0)
	v_add_co_u32_e32 v8, vcc, v18, v8
	v_addc_co_u32_e32 v9, vcc, v19, v1, vcc
	v_mov_b32_e32 v14, v16
	global_store_dwordx2 v[8:9], v[16:17], off
	v_mov_b32_e32 v15, v17
	buffer_wbl2
	s_waitcnt vmcnt(0)
	global_atomic_cmpswap_x2 v[14:15], v35, v[12:15], s[6:7] offset:24 glc
	s_waitcnt vmcnt(0)
	v_cmp_ne_u64_e32 vcc, v[14:15], v[16:17]
	s_and_b64 exec, exec, vcc
	s_cbranch_execz .LBB2_143
; %bb.223:                              ;   in Loop: Header=BB2_144 Depth=1
	s_mov_b64 s[4:5], 0
.LBB2_224:                              ;   Parent Loop BB2_144 Depth=1
                                        ; =>  This Inner Loop Header: Depth=2
	s_sleep 1
	global_store_dwordx2 v[8:9], v[14:15], off
	buffer_wbl2
	s_waitcnt vmcnt(0)
	global_atomic_cmpswap_x2 v[16:17], v35, v[12:15], s[6:7] offset:24 glc
	s_waitcnt vmcnt(0)
	v_cmp_eq_u64_e32 vcc, v[16:17], v[14:15]
	s_or_b64 s[4:5], vcc, s[4:5]
	v_pk_mov_b32 v[14:15], v[16:17], v[16:17] op_sel:[0,1]
	s_andn2_b64 exec, exec, s[4:5]
	s_cbranch_execnz .LBB2_224
	s_branch .LBB2_143
.LBB2_225:
                                        ; implicit-def: $vgpr6_vgpr7
	s_cbranch_execnz .LBB2_227
	s_branch .LBB2_253
.LBB2_226:
	s_branch .LBB2_253
.LBB2_227:
	v_readfirstlane_b32 s4, v39
	v_cmp_eq_u32_e64 s[4:5], s4, v39
	v_pk_mov_b32 v[12:13], 0, 0
	s_and_saveexec_b64 s[10:11], s[4:5]
	s_cbranch_execz .LBB2_233
; %bb.228:
	v_mov_b32_e32 v1, 0
	global_load_dwordx2 v[8:9], v1, s[6:7] offset:24 glc
	s_waitcnt vmcnt(0)
	buffer_invl2
	buffer_wbinvl1_vol
	global_load_dwordx2 v[6:7], v1, s[6:7] offset:40
	global_load_dwordx2 v[10:11], v1, s[6:7]
	s_waitcnt vmcnt(1)
	v_and_b32_e32 v6, v6, v8
	v_and_b32_e32 v7, v7, v9
	v_mul_lo_u32 v7, v7, 24
	v_mul_hi_u32 v12, v6, 24
	v_mul_lo_u32 v6, v6, 24
	v_add_u32_e32 v7, v12, v7
	s_waitcnt vmcnt(0)
	v_add_co_u32_e32 v6, vcc, v10, v6
	v_addc_co_u32_e32 v7, vcc, v11, v7, vcc
	global_load_dwordx2 v[6:7], v[6:7], off glc
	s_waitcnt vmcnt(0)
	global_atomic_cmpswap_x2 v[12:13], v1, v[6:9], s[6:7] offset:24 glc
	s_waitcnt vmcnt(0)
	buffer_invl2
	buffer_wbinvl1_vol
	v_cmp_ne_u64_e32 vcc, v[12:13], v[8:9]
	s_and_saveexec_b64 s[12:13], vcc
	s_cbranch_execz .LBB2_232
; %bb.229:
	s_mov_b64 s[14:15], 0
.LBB2_230:                              ; =>This Inner Loop Header: Depth=1
	s_sleep 1
	global_load_dwordx2 v[6:7], v1, s[6:7] offset:40
	global_load_dwordx2 v[10:11], v1, s[6:7]
	v_pk_mov_b32 v[8:9], v[12:13], v[12:13] op_sel:[0,1]
	s_waitcnt vmcnt(1)
	v_and_b32_e32 v6, v6, v8
	v_and_b32_e32 v12, v7, v9
	s_waitcnt vmcnt(0)
	v_mad_u64_u32 v[6:7], s[16:17], v6, 24, v[10:11]
	v_mov_b32_e32 v10, v7
	v_mad_u64_u32 v[10:11], s[16:17], v12, 24, v[10:11]
	v_mov_b32_e32 v7, v10
	global_load_dwordx2 v[6:7], v[6:7], off glc
	s_waitcnt vmcnt(0)
	global_atomic_cmpswap_x2 v[12:13], v1, v[6:9], s[6:7] offset:24 glc
	s_waitcnt vmcnt(0)
	buffer_invl2
	buffer_wbinvl1_vol
	v_cmp_eq_u64_e32 vcc, v[12:13], v[8:9]
	s_or_b64 s[14:15], vcc, s[14:15]
	s_andn2_b64 exec, exec, s[14:15]
	s_cbranch_execnz .LBB2_230
; %bb.231:
	s_or_b64 exec, exec, s[14:15]
.LBB2_232:
	s_or_b64 exec, exec, s[12:13]
.LBB2_233:
	s_or_b64 exec, exec, s[10:11]
	s_waitcnt vmcnt(0)
	v_mov_b32_e32 v6, 0
	global_load_dwordx2 v[14:15], v6, s[6:7] offset:40
	global_load_dwordx4 v[8:11], v6, s[6:7]
	v_readfirstlane_b32 s10, v12
	v_readfirstlane_b32 s11, v13
	s_mov_b64 s[12:13], exec
	s_waitcnt vmcnt(1)
	v_readfirstlane_b32 s14, v14
	v_readfirstlane_b32 s15, v15
	s_and_b64 s[14:15], s[10:11], s[14:15]
	s_mul_i32 s16, s15, 24
	s_mul_hi_u32 s17, s14, 24
	s_mul_i32 s18, s14, 24
	s_add_i32 s16, s17, s16
	v_mov_b32_e32 v1, s16
	s_waitcnt vmcnt(0)
	v_add_co_u32_e32 v12, vcc, s18, v8
	v_addc_co_u32_e32 v13, vcc, v9, v1, vcc
	s_and_saveexec_b64 s[16:17], s[4:5]
	s_cbranch_execz .LBB2_235
; %bb.234:
	v_pk_mov_b32 v[14:15], s[12:13], s[12:13] op_sel:[0,1]
	v_mov_b32_e32 v16, 2
	v_mov_b32_e32 v17, 1
	global_store_dwordx4 v[12:13], v[14:17], off offset:8
.LBB2_235:
	s_or_b64 exec, exec, s[16:17]
	s_lshl_b64 s[12:13], s[14:15], 12
	v_mov_b32_e32 v1, s13
	v_add_co_u32_e32 v14, vcc, s12, v10
	s_movk_i32 s12, 0xff1f
	v_addc_co_u32_e32 v1, vcc, v11, v1, vcc
	v_and_or_b32 v4, v4, s12, 32
	s_mov_b32 s12, 0
	v_mov_b32_e32 v7, v6
	v_readfirstlane_b32 s16, v14
	v_readfirstlane_b32 s17, v1
	s_mov_b32 s13, s12
	v_add_co_u32_e32 v10, vcc, v14, v38
	s_mov_b32 s14, s12
	s_mov_b32 s15, s12
	s_nop 0
	global_store_dwordx4 v38, v[4:7], s[16:17]
	v_addc_co_u32_e32 v11, vcc, 0, v1, vcc
	v_pk_mov_b32 v[4:5], s[12:13], s[12:13] op_sel:[0,1]
	v_pk_mov_b32 v[6:7], s[14:15], s[14:15] op_sel:[0,1]
	global_store_dwordx4 v38, v[4:7], s[16:17] offset:16
	global_store_dwordx4 v38, v[4:7], s[16:17] offset:32
	global_store_dwordx4 v38, v[4:7], s[16:17] offset:48
	s_and_saveexec_b64 s[12:13], s[4:5]
	s_cbranch_execz .LBB2_243
; %bb.236:
	v_mov_b32_e32 v1, 0
	global_load_dwordx2 v[16:17], v1, s[6:7] offset:32 glc
	global_load_dwordx2 v[4:5], v1, s[6:7] offset:40
	v_mov_b32_e32 v14, s10
	v_mov_b32_e32 v15, s11
	s_waitcnt vmcnt(0)
	v_readfirstlane_b32 s14, v4
	v_readfirstlane_b32 s15, v5
	s_and_b64 s[14:15], s[14:15], s[10:11]
	s_mul_i32 s15, s15, 24
	s_mul_hi_u32 s16, s14, 24
	s_mul_i32 s14, s14, 24
	s_add_i32 s15, s16, s15
	v_mov_b32_e32 v4, s15
	v_add_co_u32_e32 v8, vcc, s14, v8
	v_addc_co_u32_e32 v9, vcc, v9, v4, vcc
	global_store_dwordx2 v[8:9], v[16:17], off
	buffer_wbl2
	s_waitcnt vmcnt(0)
	global_atomic_cmpswap_x2 v[6:7], v1, v[14:17], s[6:7] offset:32 glc
	s_waitcnt vmcnt(0)
	v_cmp_ne_u64_e32 vcc, v[6:7], v[16:17]
	s_and_saveexec_b64 s[14:15], vcc
	s_cbranch_execz .LBB2_239
; %bb.237:
	s_mov_b64 s[16:17], 0
.LBB2_238:                              ; =>This Inner Loop Header: Depth=1
	s_sleep 1
	global_store_dwordx2 v[8:9], v[6:7], off
	v_mov_b32_e32 v4, s10
	v_mov_b32_e32 v5, s11
	buffer_wbl2
	s_waitcnt vmcnt(0)
	global_atomic_cmpswap_x2 v[4:5], v1, v[4:7], s[6:7] offset:32 glc
	s_waitcnt vmcnt(0)
	v_cmp_eq_u64_e32 vcc, v[4:5], v[6:7]
	s_or_b64 s[16:17], vcc, s[16:17]
	v_pk_mov_b32 v[6:7], v[4:5], v[4:5] op_sel:[0,1]
	s_andn2_b64 exec, exec, s[16:17]
	s_cbranch_execnz .LBB2_238
.LBB2_239:
	s_or_b64 exec, exec, s[14:15]
	v_mov_b32_e32 v7, 0
	global_load_dwordx2 v[4:5], v7, s[6:7] offset:16
	s_mov_b64 s[14:15], exec
	v_mbcnt_lo_u32_b32 v1, s14, 0
	v_mbcnt_hi_u32_b32 v1, s15, v1
	v_cmp_eq_u32_e32 vcc, 0, v1
	s_and_saveexec_b64 s[16:17], vcc
	s_cbranch_execz .LBB2_241
; %bb.240:
	s_bcnt1_i32_b64 s14, s[14:15]
	v_mov_b32_e32 v6, s14
	buffer_wbl2
	s_waitcnt vmcnt(0)
	global_atomic_add_x2 v[4:5], v[6:7], off offset:8
.LBB2_241:
	s_or_b64 exec, exec, s[16:17]
	s_waitcnt vmcnt(0)
	global_load_dwordx2 v[6:7], v[4:5], off offset:16
	s_waitcnt vmcnt(0)
	v_cmp_eq_u64_e32 vcc, 0, v[6:7]
	s_cbranch_vccnz .LBB2_243
; %bb.242:
	global_load_dword v4, v[4:5], off offset:24
	v_mov_b32_e32 v5, 0
	s_waitcnt vmcnt(0)
	v_and_b32_e32 v1, 0xffffff, v4
	v_readfirstlane_b32 m0, v1
	buffer_wbl2
	global_store_dwordx2 v[6:7], v[4:5], off
	s_sendmsg sendmsg(MSG_INTERRUPT)
.LBB2_243:
	s_or_b64 exec, exec, s[12:13]
	s_branch .LBB2_247
.LBB2_244:                              ;   in Loop: Header=BB2_247 Depth=1
	s_or_b64 exec, exec, s[12:13]
	v_readfirstlane_b32 s12, v1
	s_cmp_eq_u32 s12, 0
	s_cbranch_scc1 .LBB2_246
; %bb.245:                              ;   in Loop: Header=BB2_247 Depth=1
	s_sleep 1
	s_cbranch_execnz .LBB2_247
	s_branch .LBB2_249
.LBB2_246:
	s_branch .LBB2_249
.LBB2_247:                              ; =>This Inner Loop Header: Depth=1
	v_mov_b32_e32 v1, 1
	s_and_saveexec_b64 s[12:13], s[4:5]
	s_cbranch_execz .LBB2_244
; %bb.248:                              ;   in Loop: Header=BB2_247 Depth=1
	global_load_dword v1, v[12:13], off offset:20 glc
	s_waitcnt vmcnt(0)
	buffer_invl2
	buffer_wbinvl1_vol
	v_and_b32_e32 v1, 1, v1
	s_branch .LBB2_244
.LBB2_249:
	global_load_dwordx2 v[6:7], v[10:11], off
	s_and_saveexec_b64 s[12:13], s[4:5]
	s_cbranch_execz .LBB2_252
; %bb.250:
	v_mov_b32_e32 v1, 0
	global_load_dwordx2 v[4:5], v1, s[6:7] offset:40
	global_load_dwordx2 v[12:13], v1, s[6:7] offset:24 glc
	global_load_dwordx2 v[14:15], v1, s[6:7]
	v_mov_b32_e32 v9, s11
	s_mov_b64 s[4:5], 0
	s_waitcnt vmcnt(2)
	v_add_co_u32_e32 v11, vcc, 1, v4
	v_addc_co_u32_e32 v16, vcc, 0, v5, vcc
	v_add_co_u32_e32 v8, vcc, s10, v11
	v_addc_co_u32_e32 v9, vcc, v16, v9, vcc
	v_cmp_eq_u64_e32 vcc, 0, v[8:9]
	v_cndmask_b32_e32 v9, v9, v16, vcc
	v_cndmask_b32_e32 v8, v8, v11, vcc
	v_and_b32_e32 v5, v9, v5
	v_and_b32_e32 v4, v8, v4
	v_mul_lo_u32 v5, v5, 24
	v_mul_hi_u32 v11, v4, 24
	v_mul_lo_u32 v4, v4, 24
	v_add_u32_e32 v5, v11, v5
	s_waitcnt vmcnt(0)
	v_add_co_u32_e32 v4, vcc, v14, v4
	v_addc_co_u32_e32 v5, vcc, v15, v5, vcc
	v_mov_b32_e32 v10, v12
	global_store_dwordx2 v[4:5], v[12:13], off
	v_mov_b32_e32 v11, v13
	buffer_wbl2
	s_waitcnt vmcnt(0)
	global_atomic_cmpswap_x2 v[10:11], v1, v[8:11], s[6:7] offset:24 glc
	s_waitcnt vmcnt(0)
	v_cmp_ne_u64_e32 vcc, v[10:11], v[12:13]
	s_and_b64 exec, exec, vcc
	s_cbranch_execz .LBB2_252
.LBB2_251:                              ; =>This Inner Loop Header: Depth=1
	s_sleep 1
	global_store_dwordx2 v[4:5], v[10:11], off
	buffer_wbl2
	s_waitcnt vmcnt(0)
	global_atomic_cmpswap_x2 v[12:13], v1, v[8:11], s[6:7] offset:24 glc
	s_waitcnt vmcnt(0)
	v_cmp_eq_u64_e32 vcc, v[12:13], v[10:11]
	s_or_b64 s[4:5], vcc, s[4:5]
	v_pk_mov_b32 v[10:11], v[12:13], v[12:13] op_sel:[0,1]
	s_andn2_b64 exec, exec, s[4:5]
	s_cbranch_execnz .LBB2_251
.LBB2_252:
	s_or_b64 exec, exec, s[12:13]
.LBB2_253:
	v_readfirstlane_b32 s4, v39
	v_cmp_eq_u32_e64 s[4:5], s4, v39
	s_waitcnt vmcnt(0)
	v_pk_mov_b32 v[4:5], 0, 0
	s_and_saveexec_b64 s[10:11], s[4:5]
	s_cbranch_execz .LBB2_259
; %bb.254:
	v_mov_b32_e32 v1, 0
	global_load_dwordx2 v[10:11], v1, s[6:7] offset:24 glc
	s_waitcnt vmcnt(0)
	buffer_invl2
	buffer_wbinvl1_vol
	global_load_dwordx2 v[4:5], v1, s[6:7] offset:40
	global_load_dwordx2 v[8:9], v1, s[6:7]
	s_waitcnt vmcnt(1)
	v_and_b32_e32 v4, v4, v10
	v_and_b32_e32 v5, v5, v11
	v_mul_lo_u32 v5, v5, 24
	v_mul_hi_u32 v12, v4, 24
	v_mul_lo_u32 v4, v4, 24
	v_add_u32_e32 v5, v12, v5
	s_waitcnt vmcnt(0)
	v_add_co_u32_e32 v4, vcc, v8, v4
	v_addc_co_u32_e32 v5, vcc, v9, v5, vcc
	global_load_dwordx2 v[8:9], v[4:5], off glc
	s_waitcnt vmcnt(0)
	global_atomic_cmpswap_x2 v[4:5], v1, v[8:11], s[6:7] offset:24 glc
	s_waitcnt vmcnt(0)
	buffer_invl2
	buffer_wbinvl1_vol
	v_cmp_ne_u64_e32 vcc, v[4:5], v[10:11]
	s_and_saveexec_b64 s[12:13], vcc
	s_cbranch_execz .LBB2_258
; %bb.255:
	s_mov_b64 s[14:15], 0
.LBB2_256:                              ; =>This Inner Loop Header: Depth=1
	s_sleep 1
	global_load_dwordx2 v[8:9], v1, s[6:7] offset:40
	global_load_dwordx2 v[12:13], v1, s[6:7]
	v_pk_mov_b32 v[10:11], v[4:5], v[4:5] op_sel:[0,1]
	s_waitcnt vmcnt(1)
	v_and_b32_e32 v4, v8, v10
	s_waitcnt vmcnt(0)
	v_mad_u64_u32 v[4:5], s[16:17], v4, 24, v[12:13]
	v_and_b32_e32 v9, v9, v11
	v_mov_b32_e32 v8, v5
	v_mad_u64_u32 v[8:9], s[16:17], v9, 24, v[8:9]
	v_mov_b32_e32 v5, v8
	global_load_dwordx2 v[8:9], v[4:5], off glc
	s_waitcnt vmcnt(0)
	global_atomic_cmpswap_x2 v[4:5], v1, v[8:11], s[6:7] offset:24 glc
	s_waitcnt vmcnt(0)
	buffer_invl2
	buffer_wbinvl1_vol
	v_cmp_eq_u64_e32 vcc, v[4:5], v[10:11]
	s_or_b64 s[14:15], vcc, s[14:15]
	s_andn2_b64 exec, exec, s[14:15]
	s_cbranch_execnz .LBB2_256
; %bb.257:
	s_or_b64 exec, exec, s[14:15]
.LBB2_258:
	s_or_b64 exec, exec, s[12:13]
.LBB2_259:
	s_or_b64 exec, exec, s[10:11]
	v_mov_b32_e32 v9, 0
	global_load_dwordx2 v[14:15], v9, s[6:7] offset:40
	global_load_dwordx4 v[10:13], v9, s[6:7]
	v_readfirstlane_b32 s10, v4
	v_readfirstlane_b32 s11, v5
	s_mov_b64 s[12:13], exec
	s_waitcnt vmcnt(1)
	v_readfirstlane_b32 s14, v14
	v_readfirstlane_b32 s15, v15
	s_and_b64 s[14:15], s[10:11], s[14:15]
	s_mul_i32 s16, s15, 24
	s_mul_hi_u32 s17, s14, 24
	s_mul_i32 s18, s14, 24
	s_add_i32 s16, s17, s16
	v_mov_b32_e32 v1, s16
	s_waitcnt vmcnt(0)
	v_add_co_u32_e32 v14, vcc, s18, v10
	v_addc_co_u32_e32 v15, vcc, v11, v1, vcc
	s_and_saveexec_b64 s[16:17], s[4:5]
	s_cbranch_execz .LBB2_261
; %bb.260:
	v_pk_mov_b32 v[16:17], s[12:13], s[12:13] op_sel:[0,1]
	v_mov_b32_e32 v18, 2
	v_mov_b32_e32 v19, 1
	global_store_dwordx4 v[14:15], v[16:19], off offset:8
.LBB2_261:
	s_or_b64 exec, exec, s[16:17]
	s_lshl_b64 s[12:13], s[14:15], 12
	v_mov_b32_e32 v1, s13
	v_add_co_u32_e32 v4, vcc, s12, v12
	v_addc_co_u32_e32 v1, vcc, v13, v1, vcc
	s_mov_b32 s12, 0
	s_movk_i32 s13, 0xff1f
	v_and_or_b32 v6, v6, s13, 32
	v_mov_b32_e32 v8, v0
	v_readfirstlane_b32 s16, v4
	v_readfirstlane_b32 s17, v1
	s_mov_b32 s13, s12
	v_add_co_u32_e32 v12, vcc, v4, v38
	s_mov_b32 s14, s12
	s_mov_b32 s15, s12
	s_nop 0
	global_store_dwordx4 v38, v[6:9], s[16:17]
	v_pk_mov_b32 v[4:5], s[12:13], s[12:13] op_sel:[0,1]
	v_addc_co_u32_e32 v13, vcc, 0, v1, vcc
	v_pk_mov_b32 v[6:7], s[14:15], s[14:15] op_sel:[0,1]
	global_store_dwordx4 v38, v[4:7], s[16:17] offset:16
	global_store_dwordx4 v38, v[4:7], s[16:17] offset:32
	;; [unrolled: 1-line block ×3, first 2 shown]
	s_and_saveexec_b64 s[12:13], s[4:5]
	s_cbranch_execz .LBB2_269
; %bb.262:
	v_mov_b32_e32 v8, 0
	global_load_dwordx2 v[18:19], v8, s[6:7] offset:32 glc
	global_load_dwordx2 v[0:1], v8, s[6:7] offset:40
	v_mov_b32_e32 v16, s10
	v_mov_b32_e32 v17, s11
	s_waitcnt vmcnt(0)
	v_readfirstlane_b32 s14, v0
	v_readfirstlane_b32 s15, v1
	s_and_b64 s[14:15], s[14:15], s[10:11]
	s_mul_i32 s15, s15, 24
	s_mul_hi_u32 s16, s14, 24
	s_mul_i32 s14, s14, 24
	s_add_i32 s15, s16, s15
	v_mov_b32_e32 v1, s15
	v_add_co_u32_e32 v0, vcc, s14, v10
	v_addc_co_u32_e32 v1, vcc, v11, v1, vcc
	global_store_dwordx2 v[0:1], v[18:19], off
	buffer_wbl2
	s_waitcnt vmcnt(0)
	global_atomic_cmpswap_x2 v[6:7], v8, v[16:19], s[6:7] offset:32 glc
	s_waitcnt vmcnt(0)
	v_cmp_ne_u64_e32 vcc, v[6:7], v[18:19]
	s_and_saveexec_b64 s[14:15], vcc
	s_cbranch_execz .LBB2_265
; %bb.263:
	s_mov_b64 s[16:17], 0
.LBB2_264:                              ; =>This Inner Loop Header: Depth=1
	s_sleep 1
	global_store_dwordx2 v[0:1], v[6:7], off
	v_mov_b32_e32 v4, s10
	v_mov_b32_e32 v5, s11
	buffer_wbl2
	s_waitcnt vmcnt(0)
	global_atomic_cmpswap_x2 v[4:5], v8, v[4:7], s[6:7] offset:32 glc
	s_waitcnt vmcnt(0)
	v_cmp_eq_u64_e32 vcc, v[4:5], v[6:7]
	s_or_b64 s[16:17], vcc, s[16:17]
	v_pk_mov_b32 v[6:7], v[4:5], v[4:5] op_sel:[0,1]
	s_andn2_b64 exec, exec, s[16:17]
	s_cbranch_execnz .LBB2_264
.LBB2_265:
	s_or_b64 exec, exec, s[14:15]
	v_mov_b32_e32 v5, 0
	global_load_dwordx2 v[0:1], v5, s[6:7] offset:16
	s_mov_b64 s[14:15], exec
	v_mbcnt_lo_u32_b32 v4, s14, 0
	v_mbcnt_hi_u32_b32 v4, s15, v4
	v_cmp_eq_u32_e32 vcc, 0, v4
	s_and_saveexec_b64 s[16:17], vcc
	s_cbranch_execz .LBB2_267
; %bb.266:
	s_bcnt1_i32_b64 s14, s[14:15]
	v_mov_b32_e32 v4, s14
	buffer_wbl2
	s_waitcnt vmcnt(0)
	global_atomic_add_x2 v[0:1], v[4:5], off offset:8
.LBB2_267:
	s_or_b64 exec, exec, s[16:17]
	s_waitcnt vmcnt(0)
	global_load_dwordx2 v[4:5], v[0:1], off offset:16
	s_waitcnt vmcnt(0)
	v_cmp_eq_u64_e32 vcc, 0, v[4:5]
	s_cbranch_vccnz .LBB2_269
; %bb.268:
	global_load_dword v0, v[0:1], off offset:24
	v_mov_b32_e32 v1, 0
	buffer_wbl2
	s_waitcnt vmcnt(0)
	global_store_dwordx2 v[4:5], v[0:1], off
	v_and_b32_e32 v0, 0xffffff, v0
	v_readfirstlane_b32 m0, v0
	s_sendmsg sendmsg(MSG_INTERRUPT)
.LBB2_269:
	s_or_b64 exec, exec, s[12:13]
	s_branch .LBB2_273
.LBB2_270:                              ;   in Loop: Header=BB2_273 Depth=1
	s_or_b64 exec, exec, s[12:13]
	v_readfirstlane_b32 s12, v0
	s_cmp_eq_u32 s12, 0
	s_cbranch_scc1 .LBB2_272
; %bb.271:                              ;   in Loop: Header=BB2_273 Depth=1
	s_sleep 1
	s_cbranch_execnz .LBB2_273
	s_branch .LBB2_275
.LBB2_272:
	s_branch .LBB2_275
.LBB2_273:                              ; =>This Inner Loop Header: Depth=1
	v_mov_b32_e32 v0, 1
	s_and_saveexec_b64 s[12:13], s[4:5]
	s_cbranch_execz .LBB2_270
; %bb.274:                              ;   in Loop: Header=BB2_273 Depth=1
	global_load_dword v0, v[14:15], off offset:20 glc
	s_waitcnt vmcnt(0)
	buffer_invl2
	buffer_wbinvl1_vol
	v_and_b32_e32 v0, 1, v0
	s_branch .LBB2_270
.LBB2_275:
	global_load_dwordx2 v[0:1], v[12:13], off
	s_and_saveexec_b64 s[12:13], s[4:5]
	s_cbranch_execz .LBB2_278
; %bb.276:
	v_mov_b32_e32 v10, 0
	global_load_dwordx2 v[8:9], v10, s[6:7] offset:40
	global_load_dwordx2 v[12:13], v10, s[6:7] offset:24 glc
	global_load_dwordx2 v[14:15], v10, s[6:7]
	v_mov_b32_e32 v5, s11
	s_mov_b64 s[4:5], 0
	s_waitcnt vmcnt(2)
	v_add_co_u32_e32 v7, vcc, 1, v8
	v_addc_co_u32_e32 v11, vcc, 0, v9, vcc
	v_add_co_u32_e32 v4, vcc, s10, v7
	v_addc_co_u32_e32 v5, vcc, v11, v5, vcc
	v_cmp_eq_u64_e32 vcc, 0, v[4:5]
	v_cndmask_b32_e32 v5, v5, v11, vcc
	v_cndmask_b32_e32 v4, v4, v7, vcc
	v_and_b32_e32 v7, v5, v9
	v_and_b32_e32 v8, v4, v8
	v_mul_lo_u32 v7, v7, 24
	v_mul_hi_u32 v9, v8, 24
	v_mul_lo_u32 v8, v8, 24
	v_add_u32_e32 v7, v9, v7
	s_waitcnt vmcnt(0)
	v_add_co_u32_e32 v8, vcc, v14, v8
	v_addc_co_u32_e32 v9, vcc, v15, v7, vcc
	v_mov_b32_e32 v6, v12
	global_store_dwordx2 v[8:9], v[12:13], off
	v_mov_b32_e32 v7, v13
	buffer_wbl2
	s_waitcnt vmcnt(0)
	global_atomic_cmpswap_x2 v[6:7], v10, v[4:7], s[6:7] offset:24 glc
	s_waitcnt vmcnt(0)
	v_cmp_ne_u64_e32 vcc, v[6:7], v[12:13]
	s_and_b64 exec, exec, vcc
	s_cbranch_execz .LBB2_278
.LBB2_277:                              ; =>This Inner Loop Header: Depth=1
	s_sleep 1
	global_store_dwordx2 v[8:9], v[6:7], off
	buffer_wbl2
	s_waitcnt vmcnt(0)
	global_atomic_cmpswap_x2 v[12:13], v10, v[4:7], s[6:7] offset:24 glc
	s_waitcnt vmcnt(0)
	v_cmp_eq_u64_e32 vcc, v[12:13], v[6:7]
	s_or_b64 s[4:5], vcc, s[4:5]
	v_pk_mov_b32 v[6:7], v[12:13], v[12:13] op_sel:[0,1]
	s_andn2_b64 exec, exec, s[4:5]
	s_cbranch_execnz .LBB2_277
.LBB2_278:
	s_or_b64 exec, exec, s[12:13]
	s_mov_b64 s[6:7], 0
	v_cmp_ne_u64_e32 vcc, 0, v[2:3]
	v_pk_mov_b32 v[4:5], 0, 0
	s_and_saveexec_b64 s[4:5], vcc
	s_cbranch_execz .LBB2_282
; %bb.279:
	v_add_co_u32_e32 v4, vcc, -1, v2
	v_addc_co_u32_e32 v5, vcc, -1, v3, vcc
.LBB2_280:                              ; =>This Inner Loop Header: Depth=1
	flat_load_ubyte v8, v[4:5] offset:1
	v_add_co_u32_e32 v6, vcc, 1, v4
	v_addc_co_u32_e32 v7, vcc, 0, v5, vcc
	v_pk_mov_b32 v[4:5], v[6:7], v[6:7] op_sel:[0,1]
	s_waitcnt vmcnt(0) lgkmcnt(0)
	v_cmp_eq_u16_e32 vcc, 0, v8
	s_or_b64 s[6:7], vcc, s[6:7]
	s_andn2_b64 exec, exec, s[6:7]
	s_cbranch_execnz .LBB2_280
; %bb.281:
	s_or_b64 exec, exec, s[6:7]
	v_sub_co_u32_e32 v4, vcc, v6, v2
	v_subb_co_u32_e32 v5, vcc, v7, v3, vcc
	v_add_co_u32_e32 v4, vcc, 1, v4
	v_addc_co_u32_e32 v5, vcc, 0, v5, vcc
.LBB2_282:
	s_or_b64 exec, exec, s[4:5]
	s_mov_b64 s[8:9], s[26:27]
	s_getpc_b64 s[4:5]
	s_add_u32 s4, s4, __ockl_printf_append_string_n@rel32@lo+4
	s_addc_u32 s5, s5, __ockl_printf_append_string_n@rel32@hi+12
	s_swappc_b64 s[30:31], s[4:5]
	s_mov_b64 s[8:9], s[26:27]
	v_mov_b32_e32 v2, 0x514
	v_mov_b32_e32 v3, 0
	;; [unrolled: 1-line block ×3, first 2 shown]
	s_getpc_b64 s[4:5]
	s_add_u32 s4, s4, __ockl_printf_append_args@rel32@lo+4
	s_addc_u32 s5, s5, __ockl_printf_append_args@rel32@hi+12
	s_swappc_b64 s[30:31], s[4:5]
	s_trap 2
.Lfunc_end2:
	.size	_ZL14no_device_codePKciS0_iS0_, .Lfunc_end2-_ZL14no_device_codePKciS0_iS0_
                                        ; -- End function
	.section	.AMDGPU.csdata,"",@progbits
; Function info:
; codeLenInByte = 10036
; NumSgprs: 38
; NumVgprs: 41
; NumAgprs: 0
; TotalNumVgprs: 41
; ScratchSize: 16
; MemoryBound: 0
	.section	.text._ZL13mul_mat_f_idsIfLi32ELi4ELi1EEvPKT_PKfPKiS6_S6_Pfiiiiiiiiiiiiii15HIP_vector_typeIjLj3EES9_,"axG",@progbits,_ZL13mul_mat_f_idsIfLi32ELi4ELi1EEvPKT_PKfPKiS6_S6_Pfiiiiiiiiiiiiii15HIP_vector_typeIjLj3EES9_,comdat
	.globl	_ZL13mul_mat_f_idsIfLi32ELi4ELi1EEvPKT_PKfPKiS6_S6_Pfiiiiiiiiiiiiii15HIP_vector_typeIjLj3EES9_ ; -- Begin function _ZL13mul_mat_f_idsIfLi32ELi4ELi1EEvPKT_PKfPKiS6_S6_Pfiiiiiiiiiiiiii15HIP_vector_typeIjLj3EES9_
	.p2align	8
	.type	_ZL13mul_mat_f_idsIfLi32ELi4ELi1EEvPKT_PKfPKiS6_S6_Pfiiiiiiiiiiiiii15HIP_vector_typeIjLj3EES9_,@function
_ZL13mul_mat_f_idsIfLi32ELi4ELi1EEvPKT_PKfPKiS6_S6_Pfiiiiiiiiiiiiii15HIP_vector_typeIjLj3EES9_: ; @_ZL13mul_mat_f_idsIfLi32ELi4ELi1EEvPKT_PKfPKiS6_S6_Pfiiiiiiiiiiiiii15HIP_vector_typeIjLj3EES9_
; %bb.0:
	s_add_u32 flat_scratch_lo, s6, s9
	s_addc_u32 flat_scratch_hi, s7, 0
	s_add_u32 s0, s0, s9
	s_addc_u32 s1, s1, 0
	s_add_u32 s8, s4, 0x80
	s_addc_u32 s9, s5, 0
	s_getpc_b64 s[4:5]
	s_add_u32 s4, s4, __FUNCTION__._ZL13mul_mat_f_idsIfLi32ELi4ELi1EEvPKT_PKfPKiS6_S6_Pfiiiiiiiiiiiiii15HIP_vector_typeIjLj3EES9_@rel32@lo+4
	s_addc_u32 s5, s5, __FUNCTION__._ZL13mul_mat_f_idsIfLi32ELi4ELi1EEvPKT_PKfPKiS6_S6_Pfiiiiiiiiiiiiii15HIP_vector_typeIjLj3EES9_@rel32@hi+12
	v_mov_b32_e32 v0, 0x13b
	v_mov_b32_e32 v1, s4
	;; [unrolled: 1-line block ×3, first 2 shown]
	s_mov_b32 s32, 0
	s_getpc_b64 s[6:7]
	s_add_u32 s6, s6, _ZL14no_device_codePKciS0_iS0_@rel32@lo+4
	s_addc_u32 s7, s7, _ZL14no_device_codePKciS0_iS0_@rel32@hi+12
	s_swappc_b64 s[30:31], s[6:7]
	.section	.rodata,"a",@progbits
	.p2align	6, 0x0
	.amdhsa_kernel _ZL13mul_mat_f_idsIfLi32ELi4ELi1EEvPKT_PKfPKiS6_S6_Pfiiiiiiiiiiiiii15HIP_vector_typeIjLj3EES9_
		.amdhsa_group_segment_fixed_size 0
		.amdhsa_private_segment_fixed_size 16
		.amdhsa_kernarg_size 384
		.amdhsa_user_sgpr_count 8
		.amdhsa_user_sgpr_private_segment_buffer 1
		.amdhsa_user_sgpr_dispatch_ptr 0
		.amdhsa_user_sgpr_queue_ptr 0
		.amdhsa_user_sgpr_kernarg_segment_ptr 1
		.amdhsa_user_sgpr_dispatch_id 0
		.amdhsa_user_sgpr_flat_scratch_init 1
		.amdhsa_user_sgpr_kernarg_preload_length 0
		.amdhsa_user_sgpr_kernarg_preload_offset 0
		.amdhsa_user_sgpr_private_segment_size 0
		.amdhsa_uses_dynamic_stack 0
		.amdhsa_system_sgpr_private_segment_wavefront_offset 1
		.amdhsa_system_sgpr_workgroup_id_x 1
		.amdhsa_system_sgpr_workgroup_id_y 0
		.amdhsa_system_sgpr_workgroup_id_z 0
		.amdhsa_system_sgpr_workgroup_info 0
		.amdhsa_system_vgpr_workitem_id 0
		.amdhsa_next_free_vgpr 41
		.amdhsa_next_free_sgpr 34
		.amdhsa_accum_offset 44
		.amdhsa_reserve_vcc 1
		.amdhsa_reserve_flat_scratch 1
		.amdhsa_float_round_mode_32 0
		.amdhsa_float_round_mode_16_64 0
		.amdhsa_float_denorm_mode_32 3
		.amdhsa_float_denorm_mode_16_64 3
		.amdhsa_dx10_clamp 1
		.amdhsa_ieee_mode 1
		.amdhsa_fp16_overflow 0
		.amdhsa_tg_split 0
		.amdhsa_exception_fp_ieee_invalid_op 0
		.amdhsa_exception_fp_denorm_src 0
		.amdhsa_exception_fp_ieee_div_zero 0
		.amdhsa_exception_fp_ieee_overflow 0
		.amdhsa_exception_fp_ieee_underflow 0
		.amdhsa_exception_fp_ieee_inexact 0
		.amdhsa_exception_int_div_zero 0
	.end_amdhsa_kernel
	.section	.text._ZL13mul_mat_f_idsIfLi32ELi4ELi1EEvPKT_PKfPKiS6_S6_Pfiiiiiiiiiiiiii15HIP_vector_typeIjLj3EES9_,"axG",@progbits,_ZL13mul_mat_f_idsIfLi32ELi4ELi1EEvPKT_PKfPKiS6_S6_Pfiiiiiiiiiiiiii15HIP_vector_typeIjLj3EES9_,comdat
.Lfunc_end3:
	.size	_ZL13mul_mat_f_idsIfLi32ELi4ELi1EEvPKT_PKfPKiS6_S6_Pfiiiiiiiiiiiiii15HIP_vector_typeIjLj3EES9_, .Lfunc_end3-_ZL13mul_mat_f_idsIfLi32ELi4ELi1EEvPKT_PKfPKiS6_S6_Pfiiiiiiiiiiiiii15HIP_vector_typeIjLj3EES9_
                                        ; -- End function
	.section	.AMDGPU.csdata,"",@progbits
; Kernel info:
; codeLenInByte = 92
; NumSgprs: 40
; NumVgprs: 41
; NumAgprs: 0
; TotalNumVgprs: 41
; ScratchSize: 16
; MemoryBound: 0
; FloatMode: 240
; IeeeMode: 1
; LDSByteSize: 0 bytes/workgroup (compile time only)
; SGPRBlocks: 4
; VGPRBlocks: 5
; NumSGPRsForWavesPerEU: 40
; NumVGPRsForWavesPerEU: 41
; AccumOffset: 44
; Occupancy: 8
; WaveLimiterHint : 1
; COMPUTE_PGM_RSRC2:SCRATCH_EN: 1
; COMPUTE_PGM_RSRC2:USER_SGPR: 8
; COMPUTE_PGM_RSRC2:TRAP_HANDLER: 0
; COMPUTE_PGM_RSRC2:TGID_X_EN: 1
; COMPUTE_PGM_RSRC2:TGID_Y_EN: 0
; COMPUTE_PGM_RSRC2:TGID_Z_EN: 0
; COMPUTE_PGM_RSRC2:TIDIG_COMP_CNT: 0
; COMPUTE_PGM_RSRC3_GFX90A:ACCUM_OFFSET: 10
; COMPUTE_PGM_RSRC3_GFX90A:TG_SPLIT: 0
	.section	.text._ZL9mul_mat_fIfLi32ELi4ELi1ELb1EEvPKT_PKfPKiPfiiiiiiiiiiiiiiii,"axG",@progbits,_ZL9mul_mat_fIfLi32ELi4ELi1ELb1EEvPKT_PKfPKiPfiiiiiiiiiiiiiiii,comdat
	.globl	_ZL9mul_mat_fIfLi32ELi4ELi1ELb1EEvPKT_PKfPKiPfiiiiiiiiiiiiiiii ; -- Begin function _ZL9mul_mat_fIfLi32ELi4ELi1ELb1EEvPKT_PKfPKiPfiiiiiiiiiiiiiiii
	.p2align	8
	.type	_ZL9mul_mat_fIfLi32ELi4ELi1ELb1EEvPKT_PKfPKiPfiiiiiiiiiiiiiiii,@function
_ZL9mul_mat_fIfLi32ELi4ELi1ELb1EEvPKT_PKfPKiPfiiiiiiiiiiiiiiii: ; @_ZL9mul_mat_fIfLi32ELi4ELi1ELb1EEvPKT_PKfPKiPfiiiiiiiiiiiiiiii
; %bb.0:
	s_add_u32 flat_scratch_lo, s6, s9
	s_addc_u32 flat_scratch_hi, s7, 0
	s_add_u32 s0, s0, s9
	s_addc_u32 s1, s1, 0
	s_add_u32 s8, s4, 0x60
	s_addc_u32 s9, s5, 0
	s_getpc_b64 s[4:5]
	s_add_u32 s4, s4, __FUNCTION__._ZL9mul_mat_fIfLi32ELi4ELi1ELb1EEvPKT_PKfPKiPfiiiiiiiiiiiiiiii@rel32@lo+4
	s_addc_u32 s5, s5, __FUNCTION__._ZL9mul_mat_fIfLi32ELi4ELi1ELb1EEvPKT_PKfPKiPfiiiiiiiiiiiiiiii@rel32@hi+12
	v_mov_b32_e32 v0, 64
	v_mov_b32_e32 v1, s4
	;; [unrolled: 1-line block ×3, first 2 shown]
	s_mov_b32 s32, 0
	s_getpc_b64 s[6:7]
	s_add_u32 s6, s6, _ZL14no_device_codePKciS0_iS0_@rel32@lo+4
	s_addc_u32 s7, s7, _ZL14no_device_codePKciS0_iS0_@rel32@hi+12
	s_swappc_b64 s[30:31], s[6:7]
	.section	.rodata,"a",@progbits
	.p2align	6, 0x0
	.amdhsa_kernel _ZL9mul_mat_fIfLi32ELi4ELi1ELb1EEvPKT_PKfPKiPfiiiiiiiiiiiiiiii
		.amdhsa_group_segment_fixed_size 0
		.amdhsa_private_segment_fixed_size 16
		.amdhsa_kernarg_size 352
		.amdhsa_user_sgpr_count 8
		.amdhsa_user_sgpr_private_segment_buffer 1
		.amdhsa_user_sgpr_dispatch_ptr 0
		.amdhsa_user_sgpr_queue_ptr 0
		.amdhsa_user_sgpr_kernarg_segment_ptr 1
		.amdhsa_user_sgpr_dispatch_id 0
		.amdhsa_user_sgpr_flat_scratch_init 1
		.amdhsa_user_sgpr_kernarg_preload_length 0
		.amdhsa_user_sgpr_kernarg_preload_offset 0
		.amdhsa_user_sgpr_private_segment_size 0
		.amdhsa_uses_dynamic_stack 0
		.amdhsa_system_sgpr_private_segment_wavefront_offset 1
		.amdhsa_system_sgpr_workgroup_id_x 1
		.amdhsa_system_sgpr_workgroup_id_y 0
		.amdhsa_system_sgpr_workgroup_id_z 0
		.amdhsa_system_sgpr_workgroup_info 0
		.amdhsa_system_vgpr_workitem_id 0
		.amdhsa_next_free_vgpr 41
		.amdhsa_next_free_sgpr 34
		.amdhsa_accum_offset 44
		.amdhsa_reserve_vcc 1
		.amdhsa_reserve_flat_scratch 1
		.amdhsa_float_round_mode_32 0
		.amdhsa_float_round_mode_16_64 0
		.amdhsa_float_denorm_mode_32 3
		.amdhsa_float_denorm_mode_16_64 3
		.amdhsa_dx10_clamp 1
		.amdhsa_ieee_mode 1
		.amdhsa_fp16_overflow 0
		.amdhsa_tg_split 0
		.amdhsa_exception_fp_ieee_invalid_op 0
		.amdhsa_exception_fp_denorm_src 0
		.amdhsa_exception_fp_ieee_div_zero 0
		.amdhsa_exception_fp_ieee_overflow 0
		.amdhsa_exception_fp_ieee_underflow 0
		.amdhsa_exception_fp_ieee_inexact 0
		.amdhsa_exception_int_div_zero 0
	.end_amdhsa_kernel
	.section	.text._ZL9mul_mat_fIfLi32ELi4ELi1ELb1EEvPKT_PKfPKiPfiiiiiiiiiiiiiiii,"axG",@progbits,_ZL9mul_mat_fIfLi32ELi4ELi1ELb1EEvPKT_PKfPKiPfiiiiiiiiiiiiiiii,comdat
.Lfunc_end4:
	.size	_ZL9mul_mat_fIfLi32ELi4ELi1ELb1EEvPKT_PKfPKiPfiiiiiiiiiiiiiiii, .Lfunc_end4-_ZL9mul_mat_fIfLi32ELi4ELi1ELb1EEvPKT_PKfPKiPfiiiiiiiiiiiiiiii
                                        ; -- End function
	.section	.AMDGPU.csdata,"",@progbits
; Kernel info:
; codeLenInByte = 88
; NumSgprs: 40
; NumVgprs: 41
; NumAgprs: 0
; TotalNumVgprs: 41
; ScratchSize: 16
; MemoryBound: 0
; FloatMode: 240
; IeeeMode: 1
; LDSByteSize: 0 bytes/workgroup (compile time only)
; SGPRBlocks: 4
; VGPRBlocks: 5
; NumSGPRsForWavesPerEU: 40
; NumVGPRsForWavesPerEU: 41
; AccumOffset: 44
; Occupancy: 8
; WaveLimiterHint : 1
; COMPUTE_PGM_RSRC2:SCRATCH_EN: 1
; COMPUTE_PGM_RSRC2:USER_SGPR: 8
; COMPUTE_PGM_RSRC2:TRAP_HANDLER: 0
; COMPUTE_PGM_RSRC2:TGID_X_EN: 1
; COMPUTE_PGM_RSRC2:TGID_Y_EN: 0
; COMPUTE_PGM_RSRC2:TGID_Z_EN: 0
; COMPUTE_PGM_RSRC2:TIDIG_COMP_CNT: 0
; COMPUTE_PGM_RSRC3_GFX90A:ACCUM_OFFSET: 10
; COMPUTE_PGM_RSRC3_GFX90A:TG_SPLIT: 0
	.section	.text._ZL9mul_mat_fIfLi32ELi4ELi1ELb0EEvPKT_PKfPKiPfiiiiiiiiiiiiiiii,"axG",@progbits,_ZL9mul_mat_fIfLi32ELi4ELi1ELb0EEvPKT_PKfPKiPfiiiiiiiiiiiiiiii,comdat
	.globl	_ZL9mul_mat_fIfLi32ELi4ELi1ELb0EEvPKT_PKfPKiPfiiiiiiiiiiiiiiii ; -- Begin function _ZL9mul_mat_fIfLi32ELi4ELi1ELb0EEvPKT_PKfPKiPfiiiiiiiiiiiiiiii
	.p2align	8
	.type	_ZL9mul_mat_fIfLi32ELi4ELi1ELb0EEvPKT_PKfPKiPfiiiiiiiiiiiiiiii,@function
_ZL9mul_mat_fIfLi32ELi4ELi1ELb0EEvPKT_PKfPKiPfiiiiiiiiiiiiiiii: ; @_ZL9mul_mat_fIfLi32ELi4ELi1ELb0EEvPKT_PKfPKiPfiiiiiiiiiiiiiiii
; %bb.0:
	s_add_u32 flat_scratch_lo, s6, s9
	s_addc_u32 flat_scratch_hi, s7, 0
	s_add_u32 s0, s0, s9
	s_addc_u32 s1, s1, 0
	s_add_u32 s8, s4, 0x60
	s_addc_u32 s9, s5, 0
	s_getpc_b64 s[4:5]
	s_add_u32 s4, s4, __FUNCTION__._ZL9mul_mat_fIfLi32ELi4ELi1ELb1EEvPKT_PKfPKiPfiiiiiiiiiiiiiiii@rel32@lo+4
	s_addc_u32 s5, s5, __FUNCTION__._ZL9mul_mat_fIfLi32ELi4ELi1ELb1EEvPKT_PKfPKiPfiiiiiiiiiiiiiiii@rel32@hi+12
	v_mov_b32_e32 v0, 64
	v_mov_b32_e32 v1, s4
	;; [unrolled: 1-line block ×3, first 2 shown]
	s_mov_b32 s32, 0
	s_getpc_b64 s[6:7]
	s_add_u32 s6, s6, _ZL14no_device_codePKciS0_iS0_@rel32@lo+4
	s_addc_u32 s7, s7, _ZL14no_device_codePKciS0_iS0_@rel32@hi+12
	s_swappc_b64 s[30:31], s[6:7]
	.section	.rodata,"a",@progbits
	.p2align	6, 0x0
	.amdhsa_kernel _ZL9mul_mat_fIfLi32ELi4ELi1ELb0EEvPKT_PKfPKiPfiiiiiiiiiiiiiiii
		.amdhsa_group_segment_fixed_size 0
		.amdhsa_private_segment_fixed_size 16
		.amdhsa_kernarg_size 352
		.amdhsa_user_sgpr_count 8
		.amdhsa_user_sgpr_private_segment_buffer 1
		.amdhsa_user_sgpr_dispatch_ptr 0
		.amdhsa_user_sgpr_queue_ptr 0
		.amdhsa_user_sgpr_kernarg_segment_ptr 1
		.amdhsa_user_sgpr_dispatch_id 0
		.amdhsa_user_sgpr_flat_scratch_init 1
		.amdhsa_user_sgpr_kernarg_preload_length 0
		.amdhsa_user_sgpr_kernarg_preload_offset 0
		.amdhsa_user_sgpr_private_segment_size 0
		.amdhsa_uses_dynamic_stack 0
		.amdhsa_system_sgpr_private_segment_wavefront_offset 1
		.amdhsa_system_sgpr_workgroup_id_x 1
		.amdhsa_system_sgpr_workgroup_id_y 0
		.amdhsa_system_sgpr_workgroup_id_z 0
		.amdhsa_system_sgpr_workgroup_info 0
		.amdhsa_system_vgpr_workitem_id 0
		.amdhsa_next_free_vgpr 41
		.amdhsa_next_free_sgpr 34
		.amdhsa_accum_offset 44
		.amdhsa_reserve_vcc 1
		.amdhsa_reserve_flat_scratch 1
		.amdhsa_float_round_mode_32 0
		.amdhsa_float_round_mode_16_64 0
		.amdhsa_float_denorm_mode_32 3
		.amdhsa_float_denorm_mode_16_64 3
		.amdhsa_dx10_clamp 1
		.amdhsa_ieee_mode 1
		.amdhsa_fp16_overflow 0
		.amdhsa_tg_split 0
		.amdhsa_exception_fp_ieee_invalid_op 0
		.amdhsa_exception_fp_denorm_src 0
		.amdhsa_exception_fp_ieee_div_zero 0
		.amdhsa_exception_fp_ieee_overflow 0
		.amdhsa_exception_fp_ieee_underflow 0
		.amdhsa_exception_fp_ieee_inexact 0
		.amdhsa_exception_int_div_zero 0
	.end_amdhsa_kernel
	.section	.text._ZL9mul_mat_fIfLi32ELi4ELi1ELb0EEvPKT_PKfPKiPfiiiiiiiiiiiiiiii,"axG",@progbits,_ZL9mul_mat_fIfLi32ELi4ELi1ELb0EEvPKT_PKfPKiPfiiiiiiiiiiiiiiii,comdat
.Lfunc_end5:
	.size	_ZL9mul_mat_fIfLi32ELi4ELi1ELb0EEvPKT_PKfPKiPfiiiiiiiiiiiiiiii, .Lfunc_end5-_ZL9mul_mat_fIfLi32ELi4ELi1ELb0EEvPKT_PKfPKiPfiiiiiiiiiiiiiiii
                                        ; -- End function
	.section	.AMDGPU.csdata,"",@progbits
; Kernel info:
; codeLenInByte = 88
; NumSgprs: 40
; NumVgprs: 41
; NumAgprs: 0
; TotalNumVgprs: 41
; ScratchSize: 16
; MemoryBound: 0
; FloatMode: 240
; IeeeMode: 1
; LDSByteSize: 0 bytes/workgroup (compile time only)
; SGPRBlocks: 4
; VGPRBlocks: 5
; NumSGPRsForWavesPerEU: 40
; NumVGPRsForWavesPerEU: 41
; AccumOffset: 44
; Occupancy: 8
; WaveLimiterHint : 1
; COMPUTE_PGM_RSRC2:SCRATCH_EN: 1
; COMPUTE_PGM_RSRC2:USER_SGPR: 8
; COMPUTE_PGM_RSRC2:TRAP_HANDLER: 0
; COMPUTE_PGM_RSRC2:TGID_X_EN: 1
; COMPUTE_PGM_RSRC2:TGID_Y_EN: 0
; COMPUTE_PGM_RSRC2:TGID_Z_EN: 0
; COMPUTE_PGM_RSRC2:TIDIG_COMP_CNT: 0
; COMPUTE_PGM_RSRC3_GFX90A:ACCUM_OFFSET: 10
; COMPUTE_PGM_RSRC3_GFX90A:TG_SPLIT: 0
	.section	.text._ZL13mul_mat_f_idsIfLi32ELi4ELi2EEvPKT_PKfPKiS6_S6_Pfiiiiiiiiiiiiii15HIP_vector_typeIjLj3EES9_,"axG",@progbits,_ZL13mul_mat_f_idsIfLi32ELi4ELi2EEvPKT_PKfPKiS6_S6_Pfiiiiiiiiiiiiii15HIP_vector_typeIjLj3EES9_,comdat
	.globl	_ZL13mul_mat_f_idsIfLi32ELi4ELi2EEvPKT_PKfPKiS6_S6_Pfiiiiiiiiiiiiii15HIP_vector_typeIjLj3EES9_ ; -- Begin function _ZL13mul_mat_f_idsIfLi32ELi4ELi2EEvPKT_PKfPKiS6_S6_Pfiiiiiiiiiiiiii15HIP_vector_typeIjLj3EES9_
	.p2align	8
	.type	_ZL13mul_mat_f_idsIfLi32ELi4ELi2EEvPKT_PKfPKiS6_S6_Pfiiiiiiiiiiiiii15HIP_vector_typeIjLj3EES9_,@function
_ZL13mul_mat_f_idsIfLi32ELi4ELi2EEvPKT_PKfPKiS6_S6_Pfiiiiiiiiiiiiii15HIP_vector_typeIjLj3EES9_: ; @_ZL13mul_mat_f_idsIfLi32ELi4ELi2EEvPKT_PKfPKiS6_S6_Pfiiiiiiiiiiiiii15HIP_vector_typeIjLj3EES9_
; %bb.0:
	s_add_u32 flat_scratch_lo, s6, s9
	s_addc_u32 flat_scratch_hi, s7, 0
	s_add_u32 s0, s0, s9
	s_addc_u32 s1, s1, 0
	s_add_u32 s8, s4, 0x80
	s_addc_u32 s9, s5, 0
	s_getpc_b64 s[4:5]
	s_add_u32 s4, s4, __FUNCTION__._ZL13mul_mat_f_idsIfLi32ELi4ELi1EEvPKT_PKfPKiS6_S6_Pfiiiiiiiiiiiiii15HIP_vector_typeIjLj3EES9_@rel32@lo+4
	s_addc_u32 s5, s5, __FUNCTION__._ZL13mul_mat_f_idsIfLi32ELi4ELi1EEvPKT_PKfPKiS6_S6_Pfiiiiiiiiiiiiii15HIP_vector_typeIjLj3EES9_@rel32@hi+12
	v_mov_b32_e32 v0, 0x13b
	v_mov_b32_e32 v1, s4
	;; [unrolled: 1-line block ×3, first 2 shown]
	s_mov_b32 s32, 0
	s_getpc_b64 s[6:7]
	s_add_u32 s6, s6, _ZL14no_device_codePKciS0_iS0_@rel32@lo+4
	s_addc_u32 s7, s7, _ZL14no_device_codePKciS0_iS0_@rel32@hi+12
	s_swappc_b64 s[30:31], s[6:7]
	.section	.rodata,"a",@progbits
	.p2align	6, 0x0
	.amdhsa_kernel _ZL13mul_mat_f_idsIfLi32ELi4ELi2EEvPKT_PKfPKiS6_S6_Pfiiiiiiiiiiiiii15HIP_vector_typeIjLj3EES9_
		.amdhsa_group_segment_fixed_size 0
		.amdhsa_private_segment_fixed_size 16
		.amdhsa_kernarg_size 384
		.amdhsa_user_sgpr_count 8
		.amdhsa_user_sgpr_private_segment_buffer 1
		.amdhsa_user_sgpr_dispatch_ptr 0
		.amdhsa_user_sgpr_queue_ptr 0
		.amdhsa_user_sgpr_kernarg_segment_ptr 1
		.amdhsa_user_sgpr_dispatch_id 0
		.amdhsa_user_sgpr_flat_scratch_init 1
		.amdhsa_user_sgpr_kernarg_preload_length 0
		.amdhsa_user_sgpr_kernarg_preload_offset 0
		.amdhsa_user_sgpr_private_segment_size 0
		.amdhsa_uses_dynamic_stack 0
		.amdhsa_system_sgpr_private_segment_wavefront_offset 1
		.amdhsa_system_sgpr_workgroup_id_x 1
		.amdhsa_system_sgpr_workgroup_id_y 0
		.amdhsa_system_sgpr_workgroup_id_z 0
		.amdhsa_system_sgpr_workgroup_info 0
		.amdhsa_system_vgpr_workitem_id 0
		.amdhsa_next_free_vgpr 41
		.amdhsa_next_free_sgpr 34
		.amdhsa_accum_offset 44
		.amdhsa_reserve_vcc 1
		.amdhsa_reserve_flat_scratch 1
		.amdhsa_float_round_mode_32 0
		.amdhsa_float_round_mode_16_64 0
		.amdhsa_float_denorm_mode_32 3
		.amdhsa_float_denorm_mode_16_64 3
		.amdhsa_dx10_clamp 1
		.amdhsa_ieee_mode 1
		.amdhsa_fp16_overflow 0
		.amdhsa_tg_split 0
		.amdhsa_exception_fp_ieee_invalid_op 0
		.amdhsa_exception_fp_denorm_src 0
		.amdhsa_exception_fp_ieee_div_zero 0
		.amdhsa_exception_fp_ieee_overflow 0
		.amdhsa_exception_fp_ieee_underflow 0
		.amdhsa_exception_fp_ieee_inexact 0
		.amdhsa_exception_int_div_zero 0
	.end_amdhsa_kernel
	.section	.text._ZL13mul_mat_f_idsIfLi32ELi4ELi2EEvPKT_PKfPKiS6_S6_Pfiiiiiiiiiiiiii15HIP_vector_typeIjLj3EES9_,"axG",@progbits,_ZL13mul_mat_f_idsIfLi32ELi4ELi2EEvPKT_PKfPKiS6_S6_Pfiiiiiiiiiiiiii15HIP_vector_typeIjLj3EES9_,comdat
.Lfunc_end6:
	.size	_ZL13mul_mat_f_idsIfLi32ELi4ELi2EEvPKT_PKfPKiS6_S6_Pfiiiiiiiiiiiiii15HIP_vector_typeIjLj3EES9_, .Lfunc_end6-_ZL13mul_mat_f_idsIfLi32ELi4ELi2EEvPKT_PKfPKiS6_S6_Pfiiiiiiiiiiiiii15HIP_vector_typeIjLj3EES9_
                                        ; -- End function
	.section	.AMDGPU.csdata,"",@progbits
; Kernel info:
; codeLenInByte = 92
; NumSgprs: 40
; NumVgprs: 41
; NumAgprs: 0
; TotalNumVgprs: 41
; ScratchSize: 16
; MemoryBound: 0
; FloatMode: 240
; IeeeMode: 1
; LDSByteSize: 0 bytes/workgroup (compile time only)
; SGPRBlocks: 4
; VGPRBlocks: 5
; NumSGPRsForWavesPerEU: 40
; NumVGPRsForWavesPerEU: 41
; AccumOffset: 44
; Occupancy: 8
; WaveLimiterHint : 1
; COMPUTE_PGM_RSRC2:SCRATCH_EN: 1
; COMPUTE_PGM_RSRC2:USER_SGPR: 8
; COMPUTE_PGM_RSRC2:TRAP_HANDLER: 0
; COMPUTE_PGM_RSRC2:TGID_X_EN: 1
; COMPUTE_PGM_RSRC2:TGID_Y_EN: 0
; COMPUTE_PGM_RSRC2:TGID_Z_EN: 0
; COMPUTE_PGM_RSRC2:TIDIG_COMP_CNT: 0
; COMPUTE_PGM_RSRC3_GFX90A:ACCUM_OFFSET: 10
; COMPUTE_PGM_RSRC3_GFX90A:TG_SPLIT: 0
	.section	.text._ZL9mul_mat_fIfLi32ELi4ELi2ELb1EEvPKT_PKfPKiPfiiiiiiiiiiiiiiii,"axG",@progbits,_ZL9mul_mat_fIfLi32ELi4ELi2ELb1EEvPKT_PKfPKiPfiiiiiiiiiiiiiiii,comdat
	.globl	_ZL9mul_mat_fIfLi32ELi4ELi2ELb1EEvPKT_PKfPKiPfiiiiiiiiiiiiiiii ; -- Begin function _ZL9mul_mat_fIfLi32ELi4ELi2ELb1EEvPKT_PKfPKiPfiiiiiiiiiiiiiiii
	.p2align	8
	.type	_ZL9mul_mat_fIfLi32ELi4ELi2ELb1EEvPKT_PKfPKiPfiiiiiiiiiiiiiiii,@function
_ZL9mul_mat_fIfLi32ELi4ELi2ELb1EEvPKT_PKfPKiPfiiiiiiiiiiiiiiii: ; @_ZL9mul_mat_fIfLi32ELi4ELi2ELb1EEvPKT_PKfPKiPfiiiiiiiiiiiiiiii
; %bb.0:
	s_add_u32 flat_scratch_lo, s6, s9
	s_addc_u32 flat_scratch_hi, s7, 0
	s_add_u32 s0, s0, s9
	s_addc_u32 s1, s1, 0
	s_add_u32 s8, s4, 0x60
	s_addc_u32 s9, s5, 0
	s_getpc_b64 s[4:5]
	s_add_u32 s4, s4, __FUNCTION__._ZL9mul_mat_fIfLi32ELi4ELi1ELb1EEvPKT_PKfPKiPfiiiiiiiiiiiiiiii@rel32@lo+4
	s_addc_u32 s5, s5, __FUNCTION__._ZL9mul_mat_fIfLi32ELi4ELi1ELb1EEvPKT_PKfPKiPfiiiiiiiiiiiiiiii@rel32@hi+12
	v_mov_b32_e32 v0, 64
	v_mov_b32_e32 v1, s4
	v_mov_b32_e32 v2, s5
	s_mov_b32 s32, 0
	s_getpc_b64 s[6:7]
	s_add_u32 s6, s6, _ZL14no_device_codePKciS0_iS0_@rel32@lo+4
	s_addc_u32 s7, s7, _ZL14no_device_codePKciS0_iS0_@rel32@hi+12
	s_swappc_b64 s[30:31], s[6:7]
	.section	.rodata,"a",@progbits
	.p2align	6, 0x0
	.amdhsa_kernel _ZL9mul_mat_fIfLi32ELi4ELi2ELb1EEvPKT_PKfPKiPfiiiiiiiiiiiiiiii
		.amdhsa_group_segment_fixed_size 0
		.amdhsa_private_segment_fixed_size 16
		.amdhsa_kernarg_size 352
		.amdhsa_user_sgpr_count 8
		.amdhsa_user_sgpr_private_segment_buffer 1
		.amdhsa_user_sgpr_dispatch_ptr 0
		.amdhsa_user_sgpr_queue_ptr 0
		.amdhsa_user_sgpr_kernarg_segment_ptr 1
		.amdhsa_user_sgpr_dispatch_id 0
		.amdhsa_user_sgpr_flat_scratch_init 1
		.amdhsa_user_sgpr_kernarg_preload_length 0
		.amdhsa_user_sgpr_kernarg_preload_offset 0
		.amdhsa_user_sgpr_private_segment_size 0
		.amdhsa_uses_dynamic_stack 0
		.amdhsa_system_sgpr_private_segment_wavefront_offset 1
		.amdhsa_system_sgpr_workgroup_id_x 1
		.amdhsa_system_sgpr_workgroup_id_y 0
		.amdhsa_system_sgpr_workgroup_id_z 0
		.amdhsa_system_sgpr_workgroup_info 0
		.amdhsa_system_vgpr_workitem_id 0
		.amdhsa_next_free_vgpr 41
		.amdhsa_next_free_sgpr 34
		.amdhsa_accum_offset 44
		.amdhsa_reserve_vcc 1
		.amdhsa_reserve_flat_scratch 1
		.amdhsa_float_round_mode_32 0
		.amdhsa_float_round_mode_16_64 0
		.amdhsa_float_denorm_mode_32 3
		.amdhsa_float_denorm_mode_16_64 3
		.amdhsa_dx10_clamp 1
		.amdhsa_ieee_mode 1
		.amdhsa_fp16_overflow 0
		.amdhsa_tg_split 0
		.amdhsa_exception_fp_ieee_invalid_op 0
		.amdhsa_exception_fp_denorm_src 0
		.amdhsa_exception_fp_ieee_div_zero 0
		.amdhsa_exception_fp_ieee_overflow 0
		.amdhsa_exception_fp_ieee_underflow 0
		.amdhsa_exception_fp_ieee_inexact 0
		.amdhsa_exception_int_div_zero 0
	.end_amdhsa_kernel
	.section	.text._ZL9mul_mat_fIfLi32ELi4ELi2ELb1EEvPKT_PKfPKiPfiiiiiiiiiiiiiiii,"axG",@progbits,_ZL9mul_mat_fIfLi32ELi4ELi2ELb1EEvPKT_PKfPKiPfiiiiiiiiiiiiiiii,comdat
.Lfunc_end7:
	.size	_ZL9mul_mat_fIfLi32ELi4ELi2ELb1EEvPKT_PKfPKiPfiiiiiiiiiiiiiiii, .Lfunc_end7-_ZL9mul_mat_fIfLi32ELi4ELi2ELb1EEvPKT_PKfPKiPfiiiiiiiiiiiiiiii
                                        ; -- End function
	.section	.AMDGPU.csdata,"",@progbits
; Kernel info:
; codeLenInByte = 88
; NumSgprs: 40
; NumVgprs: 41
; NumAgprs: 0
; TotalNumVgprs: 41
; ScratchSize: 16
; MemoryBound: 0
; FloatMode: 240
; IeeeMode: 1
; LDSByteSize: 0 bytes/workgroup (compile time only)
; SGPRBlocks: 4
; VGPRBlocks: 5
; NumSGPRsForWavesPerEU: 40
; NumVGPRsForWavesPerEU: 41
; AccumOffset: 44
; Occupancy: 8
; WaveLimiterHint : 1
; COMPUTE_PGM_RSRC2:SCRATCH_EN: 1
; COMPUTE_PGM_RSRC2:USER_SGPR: 8
; COMPUTE_PGM_RSRC2:TRAP_HANDLER: 0
; COMPUTE_PGM_RSRC2:TGID_X_EN: 1
; COMPUTE_PGM_RSRC2:TGID_Y_EN: 0
; COMPUTE_PGM_RSRC2:TGID_Z_EN: 0
; COMPUTE_PGM_RSRC2:TIDIG_COMP_CNT: 0
; COMPUTE_PGM_RSRC3_GFX90A:ACCUM_OFFSET: 10
; COMPUTE_PGM_RSRC3_GFX90A:TG_SPLIT: 0
	.section	.text._ZL9mul_mat_fIfLi32ELi4ELi2ELb0EEvPKT_PKfPKiPfiiiiiiiiiiiiiiii,"axG",@progbits,_ZL9mul_mat_fIfLi32ELi4ELi2ELb0EEvPKT_PKfPKiPfiiiiiiiiiiiiiiii,comdat
	.globl	_ZL9mul_mat_fIfLi32ELi4ELi2ELb0EEvPKT_PKfPKiPfiiiiiiiiiiiiiiii ; -- Begin function _ZL9mul_mat_fIfLi32ELi4ELi2ELb0EEvPKT_PKfPKiPfiiiiiiiiiiiiiiii
	.p2align	8
	.type	_ZL9mul_mat_fIfLi32ELi4ELi2ELb0EEvPKT_PKfPKiPfiiiiiiiiiiiiiiii,@function
_ZL9mul_mat_fIfLi32ELi4ELi2ELb0EEvPKT_PKfPKiPfiiiiiiiiiiiiiiii: ; @_ZL9mul_mat_fIfLi32ELi4ELi2ELb0EEvPKT_PKfPKiPfiiiiiiiiiiiiiiii
; %bb.0:
	s_add_u32 flat_scratch_lo, s6, s9
	s_addc_u32 flat_scratch_hi, s7, 0
	s_add_u32 s0, s0, s9
	s_addc_u32 s1, s1, 0
	s_add_u32 s8, s4, 0x60
	s_addc_u32 s9, s5, 0
	s_getpc_b64 s[4:5]
	s_add_u32 s4, s4, __FUNCTION__._ZL9mul_mat_fIfLi32ELi4ELi1ELb1EEvPKT_PKfPKiPfiiiiiiiiiiiiiiii@rel32@lo+4
	s_addc_u32 s5, s5, __FUNCTION__._ZL9mul_mat_fIfLi32ELi4ELi1ELb1EEvPKT_PKfPKiPfiiiiiiiiiiiiiiii@rel32@hi+12
	v_mov_b32_e32 v0, 64
	v_mov_b32_e32 v1, s4
	;; [unrolled: 1-line block ×3, first 2 shown]
	s_mov_b32 s32, 0
	s_getpc_b64 s[6:7]
	s_add_u32 s6, s6, _ZL14no_device_codePKciS0_iS0_@rel32@lo+4
	s_addc_u32 s7, s7, _ZL14no_device_codePKciS0_iS0_@rel32@hi+12
	s_swappc_b64 s[30:31], s[6:7]
	.section	.rodata,"a",@progbits
	.p2align	6, 0x0
	.amdhsa_kernel _ZL9mul_mat_fIfLi32ELi4ELi2ELb0EEvPKT_PKfPKiPfiiiiiiiiiiiiiiii
		.amdhsa_group_segment_fixed_size 0
		.amdhsa_private_segment_fixed_size 16
		.amdhsa_kernarg_size 352
		.amdhsa_user_sgpr_count 8
		.amdhsa_user_sgpr_private_segment_buffer 1
		.amdhsa_user_sgpr_dispatch_ptr 0
		.amdhsa_user_sgpr_queue_ptr 0
		.amdhsa_user_sgpr_kernarg_segment_ptr 1
		.amdhsa_user_sgpr_dispatch_id 0
		.amdhsa_user_sgpr_flat_scratch_init 1
		.amdhsa_user_sgpr_kernarg_preload_length 0
		.amdhsa_user_sgpr_kernarg_preload_offset 0
		.amdhsa_user_sgpr_private_segment_size 0
		.amdhsa_uses_dynamic_stack 0
		.amdhsa_system_sgpr_private_segment_wavefront_offset 1
		.amdhsa_system_sgpr_workgroup_id_x 1
		.amdhsa_system_sgpr_workgroup_id_y 0
		.amdhsa_system_sgpr_workgroup_id_z 0
		.amdhsa_system_sgpr_workgroup_info 0
		.amdhsa_system_vgpr_workitem_id 0
		.amdhsa_next_free_vgpr 41
		.amdhsa_next_free_sgpr 34
		.amdhsa_accum_offset 44
		.amdhsa_reserve_vcc 1
		.amdhsa_reserve_flat_scratch 1
		.amdhsa_float_round_mode_32 0
		.amdhsa_float_round_mode_16_64 0
		.amdhsa_float_denorm_mode_32 3
		.amdhsa_float_denorm_mode_16_64 3
		.amdhsa_dx10_clamp 1
		.amdhsa_ieee_mode 1
		.amdhsa_fp16_overflow 0
		.amdhsa_tg_split 0
		.amdhsa_exception_fp_ieee_invalid_op 0
		.amdhsa_exception_fp_denorm_src 0
		.amdhsa_exception_fp_ieee_div_zero 0
		.amdhsa_exception_fp_ieee_overflow 0
		.amdhsa_exception_fp_ieee_underflow 0
		.amdhsa_exception_fp_ieee_inexact 0
		.amdhsa_exception_int_div_zero 0
	.end_amdhsa_kernel
	.section	.text._ZL9mul_mat_fIfLi32ELi4ELi2ELb0EEvPKT_PKfPKiPfiiiiiiiiiiiiiiii,"axG",@progbits,_ZL9mul_mat_fIfLi32ELi4ELi2ELb0EEvPKT_PKfPKiPfiiiiiiiiiiiiiiii,comdat
.Lfunc_end8:
	.size	_ZL9mul_mat_fIfLi32ELi4ELi2ELb0EEvPKT_PKfPKiPfiiiiiiiiiiiiiiii, .Lfunc_end8-_ZL9mul_mat_fIfLi32ELi4ELi2ELb0EEvPKT_PKfPKiPfiiiiiiiiiiiiiiii
                                        ; -- End function
	.section	.AMDGPU.csdata,"",@progbits
; Kernel info:
; codeLenInByte = 88
; NumSgprs: 40
; NumVgprs: 41
; NumAgprs: 0
; TotalNumVgprs: 41
; ScratchSize: 16
; MemoryBound: 0
; FloatMode: 240
; IeeeMode: 1
; LDSByteSize: 0 bytes/workgroup (compile time only)
; SGPRBlocks: 4
; VGPRBlocks: 5
; NumSGPRsForWavesPerEU: 40
; NumVGPRsForWavesPerEU: 41
; AccumOffset: 44
; Occupancy: 8
; WaveLimiterHint : 1
; COMPUTE_PGM_RSRC2:SCRATCH_EN: 1
; COMPUTE_PGM_RSRC2:USER_SGPR: 8
; COMPUTE_PGM_RSRC2:TRAP_HANDLER: 0
; COMPUTE_PGM_RSRC2:TGID_X_EN: 1
; COMPUTE_PGM_RSRC2:TGID_Y_EN: 0
; COMPUTE_PGM_RSRC2:TGID_Z_EN: 0
; COMPUTE_PGM_RSRC2:TIDIG_COMP_CNT: 0
; COMPUTE_PGM_RSRC3_GFX90A:ACCUM_OFFSET: 10
; COMPUTE_PGM_RSRC3_GFX90A:TG_SPLIT: 0
	.section	.text._ZL13mul_mat_f_idsIfLi32ELi4ELi3EEvPKT_PKfPKiS6_S6_Pfiiiiiiiiiiiiii15HIP_vector_typeIjLj3EES9_,"axG",@progbits,_ZL13mul_mat_f_idsIfLi32ELi4ELi3EEvPKT_PKfPKiS6_S6_Pfiiiiiiiiiiiiii15HIP_vector_typeIjLj3EES9_,comdat
	.globl	_ZL13mul_mat_f_idsIfLi32ELi4ELi3EEvPKT_PKfPKiS6_S6_Pfiiiiiiiiiiiiii15HIP_vector_typeIjLj3EES9_ ; -- Begin function _ZL13mul_mat_f_idsIfLi32ELi4ELi3EEvPKT_PKfPKiS6_S6_Pfiiiiiiiiiiiiii15HIP_vector_typeIjLj3EES9_
	.p2align	8
	.type	_ZL13mul_mat_f_idsIfLi32ELi4ELi3EEvPKT_PKfPKiS6_S6_Pfiiiiiiiiiiiiii15HIP_vector_typeIjLj3EES9_,@function
_ZL13mul_mat_f_idsIfLi32ELi4ELi3EEvPKT_PKfPKiS6_S6_Pfiiiiiiiiiiiiii15HIP_vector_typeIjLj3EES9_: ; @_ZL13mul_mat_f_idsIfLi32ELi4ELi3EEvPKT_PKfPKiS6_S6_Pfiiiiiiiiiiiiii15HIP_vector_typeIjLj3EES9_
; %bb.0:
	s_add_u32 flat_scratch_lo, s6, s9
	s_addc_u32 flat_scratch_hi, s7, 0
	s_add_u32 s0, s0, s9
	s_addc_u32 s1, s1, 0
	s_add_u32 s8, s4, 0x80
	s_addc_u32 s9, s5, 0
	s_getpc_b64 s[4:5]
	s_add_u32 s4, s4, __FUNCTION__._ZL13mul_mat_f_idsIfLi32ELi4ELi1EEvPKT_PKfPKiS6_S6_Pfiiiiiiiiiiiiii15HIP_vector_typeIjLj3EES9_@rel32@lo+4
	s_addc_u32 s5, s5, __FUNCTION__._ZL13mul_mat_f_idsIfLi32ELi4ELi1EEvPKT_PKfPKiS6_S6_Pfiiiiiiiiiiiiii15HIP_vector_typeIjLj3EES9_@rel32@hi+12
	v_mov_b32_e32 v0, 0x13b
	v_mov_b32_e32 v1, s4
	v_mov_b32_e32 v2, s5
	s_mov_b32 s32, 0
	s_getpc_b64 s[6:7]
	s_add_u32 s6, s6, _ZL14no_device_codePKciS0_iS0_@rel32@lo+4
	s_addc_u32 s7, s7, _ZL14no_device_codePKciS0_iS0_@rel32@hi+12
	s_swappc_b64 s[30:31], s[6:7]
	.section	.rodata,"a",@progbits
	.p2align	6, 0x0
	.amdhsa_kernel _ZL13mul_mat_f_idsIfLi32ELi4ELi3EEvPKT_PKfPKiS6_S6_Pfiiiiiiiiiiiiii15HIP_vector_typeIjLj3EES9_
		.amdhsa_group_segment_fixed_size 0
		.amdhsa_private_segment_fixed_size 16
		.amdhsa_kernarg_size 384
		.amdhsa_user_sgpr_count 8
		.amdhsa_user_sgpr_private_segment_buffer 1
		.amdhsa_user_sgpr_dispatch_ptr 0
		.amdhsa_user_sgpr_queue_ptr 0
		.amdhsa_user_sgpr_kernarg_segment_ptr 1
		.amdhsa_user_sgpr_dispatch_id 0
		.amdhsa_user_sgpr_flat_scratch_init 1
		.amdhsa_user_sgpr_kernarg_preload_length 0
		.amdhsa_user_sgpr_kernarg_preload_offset 0
		.amdhsa_user_sgpr_private_segment_size 0
		.amdhsa_uses_dynamic_stack 0
		.amdhsa_system_sgpr_private_segment_wavefront_offset 1
		.amdhsa_system_sgpr_workgroup_id_x 1
		.amdhsa_system_sgpr_workgroup_id_y 0
		.amdhsa_system_sgpr_workgroup_id_z 0
		.amdhsa_system_sgpr_workgroup_info 0
		.amdhsa_system_vgpr_workitem_id 0
		.amdhsa_next_free_vgpr 41
		.amdhsa_next_free_sgpr 34
		.amdhsa_accum_offset 44
		.amdhsa_reserve_vcc 1
		.amdhsa_reserve_flat_scratch 1
		.amdhsa_float_round_mode_32 0
		.amdhsa_float_round_mode_16_64 0
		.amdhsa_float_denorm_mode_32 3
		.amdhsa_float_denorm_mode_16_64 3
		.amdhsa_dx10_clamp 1
		.amdhsa_ieee_mode 1
		.amdhsa_fp16_overflow 0
		.amdhsa_tg_split 0
		.amdhsa_exception_fp_ieee_invalid_op 0
		.amdhsa_exception_fp_denorm_src 0
		.amdhsa_exception_fp_ieee_div_zero 0
		.amdhsa_exception_fp_ieee_overflow 0
		.amdhsa_exception_fp_ieee_underflow 0
		.amdhsa_exception_fp_ieee_inexact 0
		.amdhsa_exception_int_div_zero 0
	.end_amdhsa_kernel
	.section	.text._ZL13mul_mat_f_idsIfLi32ELi4ELi3EEvPKT_PKfPKiS6_S6_Pfiiiiiiiiiiiiii15HIP_vector_typeIjLj3EES9_,"axG",@progbits,_ZL13mul_mat_f_idsIfLi32ELi4ELi3EEvPKT_PKfPKiS6_S6_Pfiiiiiiiiiiiiii15HIP_vector_typeIjLj3EES9_,comdat
.Lfunc_end9:
	.size	_ZL13mul_mat_f_idsIfLi32ELi4ELi3EEvPKT_PKfPKiS6_S6_Pfiiiiiiiiiiiiii15HIP_vector_typeIjLj3EES9_, .Lfunc_end9-_ZL13mul_mat_f_idsIfLi32ELi4ELi3EEvPKT_PKfPKiS6_S6_Pfiiiiiiiiiiiiii15HIP_vector_typeIjLj3EES9_
                                        ; -- End function
	.section	.AMDGPU.csdata,"",@progbits
; Kernel info:
; codeLenInByte = 92
; NumSgprs: 40
; NumVgprs: 41
; NumAgprs: 0
; TotalNumVgprs: 41
; ScratchSize: 16
; MemoryBound: 0
; FloatMode: 240
; IeeeMode: 1
; LDSByteSize: 0 bytes/workgroup (compile time only)
; SGPRBlocks: 4
; VGPRBlocks: 5
; NumSGPRsForWavesPerEU: 40
; NumVGPRsForWavesPerEU: 41
; AccumOffset: 44
; Occupancy: 8
; WaveLimiterHint : 1
; COMPUTE_PGM_RSRC2:SCRATCH_EN: 1
; COMPUTE_PGM_RSRC2:USER_SGPR: 8
; COMPUTE_PGM_RSRC2:TRAP_HANDLER: 0
; COMPUTE_PGM_RSRC2:TGID_X_EN: 1
; COMPUTE_PGM_RSRC2:TGID_Y_EN: 0
; COMPUTE_PGM_RSRC2:TGID_Z_EN: 0
; COMPUTE_PGM_RSRC2:TIDIG_COMP_CNT: 0
; COMPUTE_PGM_RSRC3_GFX90A:ACCUM_OFFSET: 10
; COMPUTE_PGM_RSRC3_GFX90A:TG_SPLIT: 0
	.section	.text._ZL9mul_mat_fIfLi32ELi4ELi3ELb1EEvPKT_PKfPKiPfiiiiiiiiiiiiiiii,"axG",@progbits,_ZL9mul_mat_fIfLi32ELi4ELi3ELb1EEvPKT_PKfPKiPfiiiiiiiiiiiiiiii,comdat
	.globl	_ZL9mul_mat_fIfLi32ELi4ELi3ELb1EEvPKT_PKfPKiPfiiiiiiiiiiiiiiii ; -- Begin function _ZL9mul_mat_fIfLi32ELi4ELi3ELb1EEvPKT_PKfPKiPfiiiiiiiiiiiiiiii
	.p2align	8
	.type	_ZL9mul_mat_fIfLi32ELi4ELi3ELb1EEvPKT_PKfPKiPfiiiiiiiiiiiiiiii,@function
_ZL9mul_mat_fIfLi32ELi4ELi3ELb1EEvPKT_PKfPKiPfiiiiiiiiiiiiiiii: ; @_ZL9mul_mat_fIfLi32ELi4ELi3ELb1EEvPKT_PKfPKiPfiiiiiiiiiiiiiiii
; %bb.0:
	s_add_u32 flat_scratch_lo, s6, s9
	s_addc_u32 flat_scratch_hi, s7, 0
	s_add_u32 s0, s0, s9
	s_addc_u32 s1, s1, 0
	s_add_u32 s8, s4, 0x60
	s_addc_u32 s9, s5, 0
	s_getpc_b64 s[4:5]
	s_add_u32 s4, s4, __FUNCTION__._ZL9mul_mat_fIfLi32ELi4ELi1ELb1EEvPKT_PKfPKiPfiiiiiiiiiiiiiiii@rel32@lo+4
	s_addc_u32 s5, s5, __FUNCTION__._ZL9mul_mat_fIfLi32ELi4ELi1ELb1EEvPKT_PKfPKiPfiiiiiiiiiiiiiiii@rel32@hi+12
	v_mov_b32_e32 v0, 64
	v_mov_b32_e32 v1, s4
	;; [unrolled: 1-line block ×3, first 2 shown]
	s_mov_b32 s32, 0
	s_getpc_b64 s[6:7]
	s_add_u32 s6, s6, _ZL14no_device_codePKciS0_iS0_@rel32@lo+4
	s_addc_u32 s7, s7, _ZL14no_device_codePKciS0_iS0_@rel32@hi+12
	s_swappc_b64 s[30:31], s[6:7]
	.section	.rodata,"a",@progbits
	.p2align	6, 0x0
	.amdhsa_kernel _ZL9mul_mat_fIfLi32ELi4ELi3ELb1EEvPKT_PKfPKiPfiiiiiiiiiiiiiiii
		.amdhsa_group_segment_fixed_size 0
		.amdhsa_private_segment_fixed_size 16
		.amdhsa_kernarg_size 352
		.amdhsa_user_sgpr_count 8
		.amdhsa_user_sgpr_private_segment_buffer 1
		.amdhsa_user_sgpr_dispatch_ptr 0
		.amdhsa_user_sgpr_queue_ptr 0
		.amdhsa_user_sgpr_kernarg_segment_ptr 1
		.amdhsa_user_sgpr_dispatch_id 0
		.amdhsa_user_sgpr_flat_scratch_init 1
		.amdhsa_user_sgpr_kernarg_preload_length 0
		.amdhsa_user_sgpr_kernarg_preload_offset 0
		.amdhsa_user_sgpr_private_segment_size 0
		.amdhsa_uses_dynamic_stack 0
		.amdhsa_system_sgpr_private_segment_wavefront_offset 1
		.amdhsa_system_sgpr_workgroup_id_x 1
		.amdhsa_system_sgpr_workgroup_id_y 0
		.amdhsa_system_sgpr_workgroup_id_z 0
		.amdhsa_system_sgpr_workgroup_info 0
		.amdhsa_system_vgpr_workitem_id 0
		.amdhsa_next_free_vgpr 41
		.amdhsa_next_free_sgpr 34
		.amdhsa_accum_offset 44
		.amdhsa_reserve_vcc 1
		.amdhsa_reserve_flat_scratch 1
		.amdhsa_float_round_mode_32 0
		.amdhsa_float_round_mode_16_64 0
		.amdhsa_float_denorm_mode_32 3
		.amdhsa_float_denorm_mode_16_64 3
		.amdhsa_dx10_clamp 1
		.amdhsa_ieee_mode 1
		.amdhsa_fp16_overflow 0
		.amdhsa_tg_split 0
		.amdhsa_exception_fp_ieee_invalid_op 0
		.amdhsa_exception_fp_denorm_src 0
		.amdhsa_exception_fp_ieee_div_zero 0
		.amdhsa_exception_fp_ieee_overflow 0
		.amdhsa_exception_fp_ieee_underflow 0
		.amdhsa_exception_fp_ieee_inexact 0
		.amdhsa_exception_int_div_zero 0
	.end_amdhsa_kernel
	.section	.text._ZL9mul_mat_fIfLi32ELi4ELi3ELb1EEvPKT_PKfPKiPfiiiiiiiiiiiiiiii,"axG",@progbits,_ZL9mul_mat_fIfLi32ELi4ELi3ELb1EEvPKT_PKfPKiPfiiiiiiiiiiiiiiii,comdat
.Lfunc_end10:
	.size	_ZL9mul_mat_fIfLi32ELi4ELi3ELb1EEvPKT_PKfPKiPfiiiiiiiiiiiiiiii, .Lfunc_end10-_ZL9mul_mat_fIfLi32ELi4ELi3ELb1EEvPKT_PKfPKiPfiiiiiiiiiiiiiiii
                                        ; -- End function
	.section	.AMDGPU.csdata,"",@progbits
; Kernel info:
; codeLenInByte = 88
; NumSgprs: 40
; NumVgprs: 41
; NumAgprs: 0
; TotalNumVgprs: 41
; ScratchSize: 16
; MemoryBound: 0
; FloatMode: 240
; IeeeMode: 1
; LDSByteSize: 0 bytes/workgroup (compile time only)
; SGPRBlocks: 4
; VGPRBlocks: 5
; NumSGPRsForWavesPerEU: 40
; NumVGPRsForWavesPerEU: 41
; AccumOffset: 44
; Occupancy: 8
; WaveLimiterHint : 1
; COMPUTE_PGM_RSRC2:SCRATCH_EN: 1
; COMPUTE_PGM_RSRC2:USER_SGPR: 8
; COMPUTE_PGM_RSRC2:TRAP_HANDLER: 0
; COMPUTE_PGM_RSRC2:TGID_X_EN: 1
; COMPUTE_PGM_RSRC2:TGID_Y_EN: 0
; COMPUTE_PGM_RSRC2:TGID_Z_EN: 0
; COMPUTE_PGM_RSRC2:TIDIG_COMP_CNT: 0
; COMPUTE_PGM_RSRC3_GFX90A:ACCUM_OFFSET: 10
; COMPUTE_PGM_RSRC3_GFX90A:TG_SPLIT: 0
	.section	.text._ZL9mul_mat_fIfLi32ELi4ELi3ELb0EEvPKT_PKfPKiPfiiiiiiiiiiiiiiii,"axG",@progbits,_ZL9mul_mat_fIfLi32ELi4ELi3ELb0EEvPKT_PKfPKiPfiiiiiiiiiiiiiiii,comdat
	.globl	_ZL9mul_mat_fIfLi32ELi4ELi3ELb0EEvPKT_PKfPKiPfiiiiiiiiiiiiiiii ; -- Begin function _ZL9mul_mat_fIfLi32ELi4ELi3ELb0EEvPKT_PKfPKiPfiiiiiiiiiiiiiiii
	.p2align	8
	.type	_ZL9mul_mat_fIfLi32ELi4ELi3ELb0EEvPKT_PKfPKiPfiiiiiiiiiiiiiiii,@function
_ZL9mul_mat_fIfLi32ELi4ELi3ELb0EEvPKT_PKfPKiPfiiiiiiiiiiiiiiii: ; @_ZL9mul_mat_fIfLi32ELi4ELi3ELb0EEvPKT_PKfPKiPfiiiiiiiiiiiiiiii
; %bb.0:
	s_add_u32 flat_scratch_lo, s6, s9
	s_addc_u32 flat_scratch_hi, s7, 0
	s_add_u32 s0, s0, s9
	s_addc_u32 s1, s1, 0
	s_add_u32 s8, s4, 0x60
	s_addc_u32 s9, s5, 0
	s_getpc_b64 s[4:5]
	s_add_u32 s4, s4, __FUNCTION__._ZL9mul_mat_fIfLi32ELi4ELi1ELb1EEvPKT_PKfPKiPfiiiiiiiiiiiiiiii@rel32@lo+4
	s_addc_u32 s5, s5, __FUNCTION__._ZL9mul_mat_fIfLi32ELi4ELi1ELb1EEvPKT_PKfPKiPfiiiiiiiiiiiiiiii@rel32@hi+12
	v_mov_b32_e32 v0, 64
	v_mov_b32_e32 v1, s4
	;; [unrolled: 1-line block ×3, first 2 shown]
	s_mov_b32 s32, 0
	s_getpc_b64 s[6:7]
	s_add_u32 s6, s6, _ZL14no_device_codePKciS0_iS0_@rel32@lo+4
	s_addc_u32 s7, s7, _ZL14no_device_codePKciS0_iS0_@rel32@hi+12
	s_swappc_b64 s[30:31], s[6:7]
	.section	.rodata,"a",@progbits
	.p2align	6, 0x0
	.amdhsa_kernel _ZL9mul_mat_fIfLi32ELi4ELi3ELb0EEvPKT_PKfPKiPfiiiiiiiiiiiiiiii
		.amdhsa_group_segment_fixed_size 0
		.amdhsa_private_segment_fixed_size 16
		.amdhsa_kernarg_size 352
		.amdhsa_user_sgpr_count 8
		.amdhsa_user_sgpr_private_segment_buffer 1
		.amdhsa_user_sgpr_dispatch_ptr 0
		.amdhsa_user_sgpr_queue_ptr 0
		.amdhsa_user_sgpr_kernarg_segment_ptr 1
		.amdhsa_user_sgpr_dispatch_id 0
		.amdhsa_user_sgpr_flat_scratch_init 1
		.amdhsa_user_sgpr_kernarg_preload_length 0
		.amdhsa_user_sgpr_kernarg_preload_offset 0
		.amdhsa_user_sgpr_private_segment_size 0
		.amdhsa_uses_dynamic_stack 0
		.amdhsa_system_sgpr_private_segment_wavefront_offset 1
		.amdhsa_system_sgpr_workgroup_id_x 1
		.amdhsa_system_sgpr_workgroup_id_y 0
		.amdhsa_system_sgpr_workgroup_id_z 0
		.amdhsa_system_sgpr_workgroup_info 0
		.amdhsa_system_vgpr_workitem_id 0
		.amdhsa_next_free_vgpr 41
		.amdhsa_next_free_sgpr 34
		.amdhsa_accum_offset 44
		.amdhsa_reserve_vcc 1
		.amdhsa_reserve_flat_scratch 1
		.amdhsa_float_round_mode_32 0
		.amdhsa_float_round_mode_16_64 0
		.amdhsa_float_denorm_mode_32 3
		.amdhsa_float_denorm_mode_16_64 3
		.amdhsa_dx10_clamp 1
		.amdhsa_ieee_mode 1
		.amdhsa_fp16_overflow 0
		.amdhsa_tg_split 0
		.amdhsa_exception_fp_ieee_invalid_op 0
		.amdhsa_exception_fp_denorm_src 0
		.amdhsa_exception_fp_ieee_div_zero 0
		.amdhsa_exception_fp_ieee_overflow 0
		.amdhsa_exception_fp_ieee_underflow 0
		.amdhsa_exception_fp_ieee_inexact 0
		.amdhsa_exception_int_div_zero 0
	.end_amdhsa_kernel
	.section	.text._ZL9mul_mat_fIfLi32ELi4ELi3ELb0EEvPKT_PKfPKiPfiiiiiiiiiiiiiiii,"axG",@progbits,_ZL9mul_mat_fIfLi32ELi4ELi3ELb0EEvPKT_PKfPKiPfiiiiiiiiiiiiiiii,comdat
.Lfunc_end11:
	.size	_ZL9mul_mat_fIfLi32ELi4ELi3ELb0EEvPKT_PKfPKiPfiiiiiiiiiiiiiiii, .Lfunc_end11-_ZL9mul_mat_fIfLi32ELi4ELi3ELb0EEvPKT_PKfPKiPfiiiiiiiiiiiiiiii
                                        ; -- End function
	.section	.AMDGPU.csdata,"",@progbits
; Kernel info:
; codeLenInByte = 88
; NumSgprs: 40
; NumVgprs: 41
; NumAgprs: 0
; TotalNumVgprs: 41
; ScratchSize: 16
; MemoryBound: 0
; FloatMode: 240
; IeeeMode: 1
; LDSByteSize: 0 bytes/workgroup (compile time only)
; SGPRBlocks: 4
; VGPRBlocks: 5
; NumSGPRsForWavesPerEU: 40
; NumVGPRsForWavesPerEU: 41
; AccumOffset: 44
; Occupancy: 8
; WaveLimiterHint : 1
; COMPUTE_PGM_RSRC2:SCRATCH_EN: 1
; COMPUTE_PGM_RSRC2:USER_SGPR: 8
; COMPUTE_PGM_RSRC2:TRAP_HANDLER: 0
; COMPUTE_PGM_RSRC2:TGID_X_EN: 1
; COMPUTE_PGM_RSRC2:TGID_Y_EN: 0
; COMPUTE_PGM_RSRC2:TGID_Z_EN: 0
; COMPUTE_PGM_RSRC2:TIDIG_COMP_CNT: 0
; COMPUTE_PGM_RSRC3_GFX90A:ACCUM_OFFSET: 10
; COMPUTE_PGM_RSRC3_GFX90A:TG_SPLIT: 0
	.section	.text._ZL13mul_mat_f_idsIfLi32ELi4ELi4EEvPKT_PKfPKiS6_S6_Pfiiiiiiiiiiiiii15HIP_vector_typeIjLj3EES9_,"axG",@progbits,_ZL13mul_mat_f_idsIfLi32ELi4ELi4EEvPKT_PKfPKiS6_S6_Pfiiiiiiiiiiiiii15HIP_vector_typeIjLj3EES9_,comdat
	.globl	_ZL13mul_mat_f_idsIfLi32ELi4ELi4EEvPKT_PKfPKiS6_S6_Pfiiiiiiiiiiiiii15HIP_vector_typeIjLj3EES9_ ; -- Begin function _ZL13mul_mat_f_idsIfLi32ELi4ELi4EEvPKT_PKfPKiS6_S6_Pfiiiiiiiiiiiiii15HIP_vector_typeIjLj3EES9_
	.p2align	8
	.type	_ZL13mul_mat_f_idsIfLi32ELi4ELi4EEvPKT_PKfPKiS6_S6_Pfiiiiiiiiiiiiii15HIP_vector_typeIjLj3EES9_,@function
_ZL13mul_mat_f_idsIfLi32ELi4ELi4EEvPKT_PKfPKiS6_S6_Pfiiiiiiiiiiiiii15HIP_vector_typeIjLj3EES9_: ; @_ZL13mul_mat_f_idsIfLi32ELi4ELi4EEvPKT_PKfPKiS6_S6_Pfiiiiiiiiiiiiii15HIP_vector_typeIjLj3EES9_
; %bb.0:
	s_add_u32 flat_scratch_lo, s6, s9
	s_addc_u32 flat_scratch_hi, s7, 0
	s_add_u32 s0, s0, s9
	s_addc_u32 s1, s1, 0
	s_add_u32 s8, s4, 0x80
	s_addc_u32 s9, s5, 0
	s_getpc_b64 s[4:5]
	s_add_u32 s4, s4, __FUNCTION__._ZL13mul_mat_f_idsIfLi32ELi4ELi1EEvPKT_PKfPKiS6_S6_Pfiiiiiiiiiiiiii15HIP_vector_typeIjLj3EES9_@rel32@lo+4
	s_addc_u32 s5, s5, __FUNCTION__._ZL13mul_mat_f_idsIfLi32ELi4ELi1EEvPKT_PKfPKiS6_S6_Pfiiiiiiiiiiiiii15HIP_vector_typeIjLj3EES9_@rel32@hi+12
	v_mov_b32_e32 v0, 0x13b
	v_mov_b32_e32 v1, s4
	;; [unrolled: 1-line block ×3, first 2 shown]
	s_mov_b32 s32, 0
	s_getpc_b64 s[6:7]
	s_add_u32 s6, s6, _ZL14no_device_codePKciS0_iS0_@rel32@lo+4
	s_addc_u32 s7, s7, _ZL14no_device_codePKciS0_iS0_@rel32@hi+12
	s_swappc_b64 s[30:31], s[6:7]
	.section	.rodata,"a",@progbits
	.p2align	6, 0x0
	.amdhsa_kernel _ZL13mul_mat_f_idsIfLi32ELi4ELi4EEvPKT_PKfPKiS6_S6_Pfiiiiiiiiiiiiii15HIP_vector_typeIjLj3EES9_
		.amdhsa_group_segment_fixed_size 0
		.amdhsa_private_segment_fixed_size 16
		.amdhsa_kernarg_size 384
		.amdhsa_user_sgpr_count 8
		.amdhsa_user_sgpr_private_segment_buffer 1
		.amdhsa_user_sgpr_dispatch_ptr 0
		.amdhsa_user_sgpr_queue_ptr 0
		.amdhsa_user_sgpr_kernarg_segment_ptr 1
		.amdhsa_user_sgpr_dispatch_id 0
		.amdhsa_user_sgpr_flat_scratch_init 1
		.amdhsa_user_sgpr_kernarg_preload_length 0
		.amdhsa_user_sgpr_kernarg_preload_offset 0
		.amdhsa_user_sgpr_private_segment_size 0
		.amdhsa_uses_dynamic_stack 0
		.amdhsa_system_sgpr_private_segment_wavefront_offset 1
		.amdhsa_system_sgpr_workgroup_id_x 1
		.amdhsa_system_sgpr_workgroup_id_y 0
		.amdhsa_system_sgpr_workgroup_id_z 0
		.amdhsa_system_sgpr_workgroup_info 0
		.amdhsa_system_vgpr_workitem_id 0
		.amdhsa_next_free_vgpr 41
		.amdhsa_next_free_sgpr 34
		.amdhsa_accum_offset 44
		.amdhsa_reserve_vcc 1
		.amdhsa_reserve_flat_scratch 1
		.amdhsa_float_round_mode_32 0
		.amdhsa_float_round_mode_16_64 0
		.amdhsa_float_denorm_mode_32 3
		.amdhsa_float_denorm_mode_16_64 3
		.amdhsa_dx10_clamp 1
		.amdhsa_ieee_mode 1
		.amdhsa_fp16_overflow 0
		.amdhsa_tg_split 0
		.amdhsa_exception_fp_ieee_invalid_op 0
		.amdhsa_exception_fp_denorm_src 0
		.amdhsa_exception_fp_ieee_div_zero 0
		.amdhsa_exception_fp_ieee_overflow 0
		.amdhsa_exception_fp_ieee_underflow 0
		.amdhsa_exception_fp_ieee_inexact 0
		.amdhsa_exception_int_div_zero 0
	.end_amdhsa_kernel
	.section	.text._ZL13mul_mat_f_idsIfLi32ELi4ELi4EEvPKT_PKfPKiS6_S6_Pfiiiiiiiiiiiiii15HIP_vector_typeIjLj3EES9_,"axG",@progbits,_ZL13mul_mat_f_idsIfLi32ELi4ELi4EEvPKT_PKfPKiS6_S6_Pfiiiiiiiiiiiiii15HIP_vector_typeIjLj3EES9_,comdat
.Lfunc_end12:
	.size	_ZL13mul_mat_f_idsIfLi32ELi4ELi4EEvPKT_PKfPKiS6_S6_Pfiiiiiiiiiiiiii15HIP_vector_typeIjLj3EES9_, .Lfunc_end12-_ZL13mul_mat_f_idsIfLi32ELi4ELi4EEvPKT_PKfPKiS6_S6_Pfiiiiiiiiiiiiii15HIP_vector_typeIjLj3EES9_
                                        ; -- End function
	.section	.AMDGPU.csdata,"",@progbits
; Kernel info:
; codeLenInByte = 92
; NumSgprs: 40
; NumVgprs: 41
; NumAgprs: 0
; TotalNumVgprs: 41
; ScratchSize: 16
; MemoryBound: 0
; FloatMode: 240
; IeeeMode: 1
; LDSByteSize: 0 bytes/workgroup (compile time only)
; SGPRBlocks: 4
; VGPRBlocks: 5
; NumSGPRsForWavesPerEU: 40
; NumVGPRsForWavesPerEU: 41
; AccumOffset: 44
; Occupancy: 8
; WaveLimiterHint : 1
; COMPUTE_PGM_RSRC2:SCRATCH_EN: 1
; COMPUTE_PGM_RSRC2:USER_SGPR: 8
; COMPUTE_PGM_RSRC2:TRAP_HANDLER: 0
; COMPUTE_PGM_RSRC2:TGID_X_EN: 1
; COMPUTE_PGM_RSRC2:TGID_Y_EN: 0
; COMPUTE_PGM_RSRC2:TGID_Z_EN: 0
; COMPUTE_PGM_RSRC2:TIDIG_COMP_CNT: 0
; COMPUTE_PGM_RSRC3_GFX90A:ACCUM_OFFSET: 10
; COMPUTE_PGM_RSRC3_GFX90A:TG_SPLIT: 0
	.section	.text._ZL9mul_mat_fIfLi32ELi4ELi4ELb1EEvPKT_PKfPKiPfiiiiiiiiiiiiiiii,"axG",@progbits,_ZL9mul_mat_fIfLi32ELi4ELi4ELb1EEvPKT_PKfPKiPfiiiiiiiiiiiiiiii,comdat
	.globl	_ZL9mul_mat_fIfLi32ELi4ELi4ELb1EEvPKT_PKfPKiPfiiiiiiiiiiiiiiii ; -- Begin function _ZL9mul_mat_fIfLi32ELi4ELi4ELb1EEvPKT_PKfPKiPfiiiiiiiiiiiiiiii
	.p2align	8
	.type	_ZL9mul_mat_fIfLi32ELi4ELi4ELb1EEvPKT_PKfPKiPfiiiiiiiiiiiiiiii,@function
_ZL9mul_mat_fIfLi32ELi4ELi4ELb1EEvPKT_PKfPKiPfiiiiiiiiiiiiiiii: ; @_ZL9mul_mat_fIfLi32ELi4ELi4ELb1EEvPKT_PKfPKiPfiiiiiiiiiiiiiiii
; %bb.0:
	s_add_u32 flat_scratch_lo, s6, s9
	s_addc_u32 flat_scratch_hi, s7, 0
	s_add_u32 s0, s0, s9
	s_addc_u32 s1, s1, 0
	s_add_u32 s8, s4, 0x60
	s_addc_u32 s9, s5, 0
	s_getpc_b64 s[4:5]
	s_add_u32 s4, s4, __FUNCTION__._ZL9mul_mat_fIfLi32ELi4ELi1ELb1EEvPKT_PKfPKiPfiiiiiiiiiiiiiiii@rel32@lo+4
	s_addc_u32 s5, s5, __FUNCTION__._ZL9mul_mat_fIfLi32ELi4ELi1ELb1EEvPKT_PKfPKiPfiiiiiiiiiiiiiiii@rel32@hi+12
	v_mov_b32_e32 v0, 64
	v_mov_b32_e32 v1, s4
	;; [unrolled: 1-line block ×3, first 2 shown]
	s_mov_b32 s32, 0
	s_getpc_b64 s[6:7]
	s_add_u32 s6, s6, _ZL14no_device_codePKciS0_iS0_@rel32@lo+4
	s_addc_u32 s7, s7, _ZL14no_device_codePKciS0_iS0_@rel32@hi+12
	s_swappc_b64 s[30:31], s[6:7]
	.section	.rodata,"a",@progbits
	.p2align	6, 0x0
	.amdhsa_kernel _ZL9mul_mat_fIfLi32ELi4ELi4ELb1EEvPKT_PKfPKiPfiiiiiiiiiiiiiiii
		.amdhsa_group_segment_fixed_size 0
		.amdhsa_private_segment_fixed_size 16
		.amdhsa_kernarg_size 352
		.amdhsa_user_sgpr_count 8
		.amdhsa_user_sgpr_private_segment_buffer 1
		.amdhsa_user_sgpr_dispatch_ptr 0
		.amdhsa_user_sgpr_queue_ptr 0
		.amdhsa_user_sgpr_kernarg_segment_ptr 1
		.amdhsa_user_sgpr_dispatch_id 0
		.amdhsa_user_sgpr_flat_scratch_init 1
		.amdhsa_user_sgpr_kernarg_preload_length 0
		.amdhsa_user_sgpr_kernarg_preload_offset 0
		.amdhsa_user_sgpr_private_segment_size 0
		.amdhsa_uses_dynamic_stack 0
		.amdhsa_system_sgpr_private_segment_wavefront_offset 1
		.amdhsa_system_sgpr_workgroup_id_x 1
		.amdhsa_system_sgpr_workgroup_id_y 0
		.amdhsa_system_sgpr_workgroup_id_z 0
		.amdhsa_system_sgpr_workgroup_info 0
		.amdhsa_system_vgpr_workitem_id 0
		.amdhsa_next_free_vgpr 41
		.amdhsa_next_free_sgpr 34
		.amdhsa_accum_offset 44
		.amdhsa_reserve_vcc 1
		.amdhsa_reserve_flat_scratch 1
		.amdhsa_float_round_mode_32 0
		.amdhsa_float_round_mode_16_64 0
		.amdhsa_float_denorm_mode_32 3
		.amdhsa_float_denorm_mode_16_64 3
		.amdhsa_dx10_clamp 1
		.amdhsa_ieee_mode 1
		.amdhsa_fp16_overflow 0
		.amdhsa_tg_split 0
		.amdhsa_exception_fp_ieee_invalid_op 0
		.amdhsa_exception_fp_denorm_src 0
		.amdhsa_exception_fp_ieee_div_zero 0
		.amdhsa_exception_fp_ieee_overflow 0
		.amdhsa_exception_fp_ieee_underflow 0
		.amdhsa_exception_fp_ieee_inexact 0
		.amdhsa_exception_int_div_zero 0
	.end_amdhsa_kernel
	.section	.text._ZL9mul_mat_fIfLi32ELi4ELi4ELb1EEvPKT_PKfPKiPfiiiiiiiiiiiiiiii,"axG",@progbits,_ZL9mul_mat_fIfLi32ELi4ELi4ELb1EEvPKT_PKfPKiPfiiiiiiiiiiiiiiii,comdat
.Lfunc_end13:
	.size	_ZL9mul_mat_fIfLi32ELi4ELi4ELb1EEvPKT_PKfPKiPfiiiiiiiiiiiiiiii, .Lfunc_end13-_ZL9mul_mat_fIfLi32ELi4ELi4ELb1EEvPKT_PKfPKiPfiiiiiiiiiiiiiiii
                                        ; -- End function
	.section	.AMDGPU.csdata,"",@progbits
; Kernel info:
; codeLenInByte = 88
; NumSgprs: 40
; NumVgprs: 41
; NumAgprs: 0
; TotalNumVgprs: 41
; ScratchSize: 16
; MemoryBound: 0
; FloatMode: 240
; IeeeMode: 1
; LDSByteSize: 0 bytes/workgroup (compile time only)
; SGPRBlocks: 4
; VGPRBlocks: 5
; NumSGPRsForWavesPerEU: 40
; NumVGPRsForWavesPerEU: 41
; AccumOffset: 44
; Occupancy: 8
; WaveLimiterHint : 1
; COMPUTE_PGM_RSRC2:SCRATCH_EN: 1
; COMPUTE_PGM_RSRC2:USER_SGPR: 8
; COMPUTE_PGM_RSRC2:TRAP_HANDLER: 0
; COMPUTE_PGM_RSRC2:TGID_X_EN: 1
; COMPUTE_PGM_RSRC2:TGID_Y_EN: 0
; COMPUTE_PGM_RSRC2:TGID_Z_EN: 0
; COMPUTE_PGM_RSRC2:TIDIG_COMP_CNT: 0
; COMPUTE_PGM_RSRC3_GFX90A:ACCUM_OFFSET: 10
; COMPUTE_PGM_RSRC3_GFX90A:TG_SPLIT: 0
	.section	.text._ZL9mul_mat_fIfLi32ELi4ELi4ELb0EEvPKT_PKfPKiPfiiiiiiiiiiiiiiii,"axG",@progbits,_ZL9mul_mat_fIfLi32ELi4ELi4ELb0EEvPKT_PKfPKiPfiiiiiiiiiiiiiiii,comdat
	.globl	_ZL9mul_mat_fIfLi32ELi4ELi4ELb0EEvPKT_PKfPKiPfiiiiiiiiiiiiiiii ; -- Begin function _ZL9mul_mat_fIfLi32ELi4ELi4ELb0EEvPKT_PKfPKiPfiiiiiiiiiiiiiiii
	.p2align	8
	.type	_ZL9mul_mat_fIfLi32ELi4ELi4ELb0EEvPKT_PKfPKiPfiiiiiiiiiiiiiiii,@function
_ZL9mul_mat_fIfLi32ELi4ELi4ELb0EEvPKT_PKfPKiPfiiiiiiiiiiiiiiii: ; @_ZL9mul_mat_fIfLi32ELi4ELi4ELb0EEvPKT_PKfPKiPfiiiiiiiiiiiiiiii
; %bb.0:
	s_add_u32 flat_scratch_lo, s6, s9
	s_addc_u32 flat_scratch_hi, s7, 0
	s_add_u32 s0, s0, s9
	s_addc_u32 s1, s1, 0
	s_add_u32 s8, s4, 0x60
	s_addc_u32 s9, s5, 0
	s_getpc_b64 s[4:5]
	s_add_u32 s4, s4, __FUNCTION__._ZL9mul_mat_fIfLi32ELi4ELi1ELb1EEvPKT_PKfPKiPfiiiiiiiiiiiiiiii@rel32@lo+4
	s_addc_u32 s5, s5, __FUNCTION__._ZL9mul_mat_fIfLi32ELi4ELi1ELb1EEvPKT_PKfPKiPfiiiiiiiiiiiiiiii@rel32@hi+12
	v_mov_b32_e32 v0, 64
	v_mov_b32_e32 v1, s4
	;; [unrolled: 1-line block ×3, first 2 shown]
	s_mov_b32 s32, 0
	s_getpc_b64 s[6:7]
	s_add_u32 s6, s6, _ZL14no_device_codePKciS0_iS0_@rel32@lo+4
	s_addc_u32 s7, s7, _ZL14no_device_codePKciS0_iS0_@rel32@hi+12
	s_swappc_b64 s[30:31], s[6:7]
	.section	.rodata,"a",@progbits
	.p2align	6, 0x0
	.amdhsa_kernel _ZL9mul_mat_fIfLi32ELi4ELi4ELb0EEvPKT_PKfPKiPfiiiiiiiiiiiiiiii
		.amdhsa_group_segment_fixed_size 0
		.amdhsa_private_segment_fixed_size 16
		.amdhsa_kernarg_size 352
		.amdhsa_user_sgpr_count 8
		.amdhsa_user_sgpr_private_segment_buffer 1
		.amdhsa_user_sgpr_dispatch_ptr 0
		.amdhsa_user_sgpr_queue_ptr 0
		.amdhsa_user_sgpr_kernarg_segment_ptr 1
		.amdhsa_user_sgpr_dispatch_id 0
		.amdhsa_user_sgpr_flat_scratch_init 1
		.amdhsa_user_sgpr_kernarg_preload_length 0
		.amdhsa_user_sgpr_kernarg_preload_offset 0
		.amdhsa_user_sgpr_private_segment_size 0
		.amdhsa_uses_dynamic_stack 0
		.amdhsa_system_sgpr_private_segment_wavefront_offset 1
		.amdhsa_system_sgpr_workgroup_id_x 1
		.amdhsa_system_sgpr_workgroup_id_y 0
		.amdhsa_system_sgpr_workgroup_id_z 0
		.amdhsa_system_sgpr_workgroup_info 0
		.amdhsa_system_vgpr_workitem_id 0
		.amdhsa_next_free_vgpr 41
		.amdhsa_next_free_sgpr 34
		.amdhsa_accum_offset 44
		.amdhsa_reserve_vcc 1
		.amdhsa_reserve_flat_scratch 1
		.amdhsa_float_round_mode_32 0
		.amdhsa_float_round_mode_16_64 0
		.amdhsa_float_denorm_mode_32 3
		.amdhsa_float_denorm_mode_16_64 3
		.amdhsa_dx10_clamp 1
		.amdhsa_ieee_mode 1
		.amdhsa_fp16_overflow 0
		.amdhsa_tg_split 0
		.amdhsa_exception_fp_ieee_invalid_op 0
		.amdhsa_exception_fp_denorm_src 0
		.amdhsa_exception_fp_ieee_div_zero 0
		.amdhsa_exception_fp_ieee_overflow 0
		.amdhsa_exception_fp_ieee_underflow 0
		.amdhsa_exception_fp_ieee_inexact 0
		.amdhsa_exception_int_div_zero 0
	.end_amdhsa_kernel
	.section	.text._ZL9mul_mat_fIfLi32ELi4ELi4ELb0EEvPKT_PKfPKiPfiiiiiiiiiiiiiiii,"axG",@progbits,_ZL9mul_mat_fIfLi32ELi4ELi4ELb0EEvPKT_PKfPKiPfiiiiiiiiiiiiiiii,comdat
.Lfunc_end14:
	.size	_ZL9mul_mat_fIfLi32ELi4ELi4ELb0EEvPKT_PKfPKiPfiiiiiiiiiiiiiiii, .Lfunc_end14-_ZL9mul_mat_fIfLi32ELi4ELi4ELb0EEvPKT_PKfPKiPfiiiiiiiiiiiiiiii
                                        ; -- End function
	.section	.AMDGPU.csdata,"",@progbits
; Kernel info:
; codeLenInByte = 88
; NumSgprs: 40
; NumVgprs: 41
; NumAgprs: 0
; TotalNumVgprs: 41
; ScratchSize: 16
; MemoryBound: 0
; FloatMode: 240
; IeeeMode: 1
; LDSByteSize: 0 bytes/workgroup (compile time only)
; SGPRBlocks: 4
; VGPRBlocks: 5
; NumSGPRsForWavesPerEU: 40
; NumVGPRsForWavesPerEU: 41
; AccumOffset: 44
; Occupancy: 8
; WaveLimiterHint : 1
; COMPUTE_PGM_RSRC2:SCRATCH_EN: 1
; COMPUTE_PGM_RSRC2:USER_SGPR: 8
; COMPUTE_PGM_RSRC2:TRAP_HANDLER: 0
; COMPUTE_PGM_RSRC2:TGID_X_EN: 1
; COMPUTE_PGM_RSRC2:TGID_Y_EN: 0
; COMPUTE_PGM_RSRC2:TGID_Z_EN: 0
; COMPUTE_PGM_RSRC2:TIDIG_COMP_CNT: 0
; COMPUTE_PGM_RSRC3_GFX90A:ACCUM_OFFSET: 10
; COMPUTE_PGM_RSRC3_GFX90A:TG_SPLIT: 0
	.section	.text._ZL13mul_mat_f_idsIfLi32ELi4ELi5EEvPKT_PKfPKiS6_S6_Pfiiiiiiiiiiiiii15HIP_vector_typeIjLj3EES9_,"axG",@progbits,_ZL13mul_mat_f_idsIfLi32ELi4ELi5EEvPKT_PKfPKiS6_S6_Pfiiiiiiiiiiiiii15HIP_vector_typeIjLj3EES9_,comdat
	.globl	_ZL13mul_mat_f_idsIfLi32ELi4ELi5EEvPKT_PKfPKiS6_S6_Pfiiiiiiiiiiiiii15HIP_vector_typeIjLj3EES9_ ; -- Begin function _ZL13mul_mat_f_idsIfLi32ELi4ELi5EEvPKT_PKfPKiS6_S6_Pfiiiiiiiiiiiiii15HIP_vector_typeIjLj3EES9_
	.p2align	8
	.type	_ZL13mul_mat_f_idsIfLi32ELi4ELi5EEvPKT_PKfPKiS6_S6_Pfiiiiiiiiiiiiii15HIP_vector_typeIjLj3EES9_,@function
_ZL13mul_mat_f_idsIfLi32ELi4ELi5EEvPKT_PKfPKiS6_S6_Pfiiiiiiiiiiiiii15HIP_vector_typeIjLj3EES9_: ; @_ZL13mul_mat_f_idsIfLi32ELi4ELi5EEvPKT_PKfPKiS6_S6_Pfiiiiiiiiiiiiii15HIP_vector_typeIjLj3EES9_
; %bb.0:
	s_add_u32 flat_scratch_lo, s6, s9
	s_addc_u32 flat_scratch_hi, s7, 0
	s_add_u32 s0, s0, s9
	s_addc_u32 s1, s1, 0
	s_add_u32 s8, s4, 0x80
	s_addc_u32 s9, s5, 0
	s_getpc_b64 s[4:5]
	s_add_u32 s4, s4, __FUNCTION__._ZL13mul_mat_f_idsIfLi32ELi4ELi1EEvPKT_PKfPKiS6_S6_Pfiiiiiiiiiiiiii15HIP_vector_typeIjLj3EES9_@rel32@lo+4
	s_addc_u32 s5, s5, __FUNCTION__._ZL13mul_mat_f_idsIfLi32ELi4ELi1EEvPKT_PKfPKiS6_S6_Pfiiiiiiiiiiiiii15HIP_vector_typeIjLj3EES9_@rel32@hi+12
	v_mov_b32_e32 v0, 0x13b
	v_mov_b32_e32 v1, s4
	;; [unrolled: 1-line block ×3, first 2 shown]
	s_mov_b32 s32, 0
	s_getpc_b64 s[6:7]
	s_add_u32 s6, s6, _ZL14no_device_codePKciS0_iS0_@rel32@lo+4
	s_addc_u32 s7, s7, _ZL14no_device_codePKciS0_iS0_@rel32@hi+12
	s_swappc_b64 s[30:31], s[6:7]
	.section	.rodata,"a",@progbits
	.p2align	6, 0x0
	.amdhsa_kernel _ZL13mul_mat_f_idsIfLi32ELi4ELi5EEvPKT_PKfPKiS6_S6_Pfiiiiiiiiiiiiii15HIP_vector_typeIjLj3EES9_
		.amdhsa_group_segment_fixed_size 0
		.amdhsa_private_segment_fixed_size 16
		.amdhsa_kernarg_size 384
		.amdhsa_user_sgpr_count 8
		.amdhsa_user_sgpr_private_segment_buffer 1
		.amdhsa_user_sgpr_dispatch_ptr 0
		.amdhsa_user_sgpr_queue_ptr 0
		.amdhsa_user_sgpr_kernarg_segment_ptr 1
		.amdhsa_user_sgpr_dispatch_id 0
		.amdhsa_user_sgpr_flat_scratch_init 1
		.amdhsa_user_sgpr_kernarg_preload_length 0
		.amdhsa_user_sgpr_kernarg_preload_offset 0
		.amdhsa_user_sgpr_private_segment_size 0
		.amdhsa_uses_dynamic_stack 0
		.amdhsa_system_sgpr_private_segment_wavefront_offset 1
		.amdhsa_system_sgpr_workgroup_id_x 1
		.amdhsa_system_sgpr_workgroup_id_y 0
		.amdhsa_system_sgpr_workgroup_id_z 0
		.amdhsa_system_sgpr_workgroup_info 0
		.amdhsa_system_vgpr_workitem_id 0
		.amdhsa_next_free_vgpr 41
		.amdhsa_next_free_sgpr 34
		.amdhsa_accum_offset 44
		.amdhsa_reserve_vcc 1
		.amdhsa_reserve_flat_scratch 1
		.amdhsa_float_round_mode_32 0
		.amdhsa_float_round_mode_16_64 0
		.amdhsa_float_denorm_mode_32 3
		.amdhsa_float_denorm_mode_16_64 3
		.amdhsa_dx10_clamp 1
		.amdhsa_ieee_mode 1
		.amdhsa_fp16_overflow 0
		.amdhsa_tg_split 0
		.amdhsa_exception_fp_ieee_invalid_op 0
		.amdhsa_exception_fp_denorm_src 0
		.amdhsa_exception_fp_ieee_div_zero 0
		.amdhsa_exception_fp_ieee_overflow 0
		.amdhsa_exception_fp_ieee_underflow 0
		.amdhsa_exception_fp_ieee_inexact 0
		.amdhsa_exception_int_div_zero 0
	.end_amdhsa_kernel
	.section	.text._ZL13mul_mat_f_idsIfLi32ELi4ELi5EEvPKT_PKfPKiS6_S6_Pfiiiiiiiiiiiiii15HIP_vector_typeIjLj3EES9_,"axG",@progbits,_ZL13mul_mat_f_idsIfLi32ELi4ELi5EEvPKT_PKfPKiS6_S6_Pfiiiiiiiiiiiiii15HIP_vector_typeIjLj3EES9_,comdat
.Lfunc_end15:
	.size	_ZL13mul_mat_f_idsIfLi32ELi4ELi5EEvPKT_PKfPKiS6_S6_Pfiiiiiiiiiiiiii15HIP_vector_typeIjLj3EES9_, .Lfunc_end15-_ZL13mul_mat_f_idsIfLi32ELi4ELi5EEvPKT_PKfPKiS6_S6_Pfiiiiiiiiiiiiii15HIP_vector_typeIjLj3EES9_
                                        ; -- End function
	.section	.AMDGPU.csdata,"",@progbits
; Kernel info:
; codeLenInByte = 92
; NumSgprs: 40
; NumVgprs: 41
; NumAgprs: 0
; TotalNumVgprs: 41
; ScratchSize: 16
; MemoryBound: 0
; FloatMode: 240
; IeeeMode: 1
; LDSByteSize: 0 bytes/workgroup (compile time only)
; SGPRBlocks: 4
; VGPRBlocks: 5
; NumSGPRsForWavesPerEU: 40
; NumVGPRsForWavesPerEU: 41
; AccumOffset: 44
; Occupancy: 8
; WaveLimiterHint : 1
; COMPUTE_PGM_RSRC2:SCRATCH_EN: 1
; COMPUTE_PGM_RSRC2:USER_SGPR: 8
; COMPUTE_PGM_RSRC2:TRAP_HANDLER: 0
; COMPUTE_PGM_RSRC2:TGID_X_EN: 1
; COMPUTE_PGM_RSRC2:TGID_Y_EN: 0
; COMPUTE_PGM_RSRC2:TGID_Z_EN: 0
; COMPUTE_PGM_RSRC2:TIDIG_COMP_CNT: 0
; COMPUTE_PGM_RSRC3_GFX90A:ACCUM_OFFSET: 10
; COMPUTE_PGM_RSRC3_GFX90A:TG_SPLIT: 0
	.section	.text._ZL9mul_mat_fIfLi32ELi4ELi5ELb1EEvPKT_PKfPKiPfiiiiiiiiiiiiiiii,"axG",@progbits,_ZL9mul_mat_fIfLi32ELi4ELi5ELb1EEvPKT_PKfPKiPfiiiiiiiiiiiiiiii,comdat
	.globl	_ZL9mul_mat_fIfLi32ELi4ELi5ELb1EEvPKT_PKfPKiPfiiiiiiiiiiiiiiii ; -- Begin function _ZL9mul_mat_fIfLi32ELi4ELi5ELb1EEvPKT_PKfPKiPfiiiiiiiiiiiiiiii
	.p2align	8
	.type	_ZL9mul_mat_fIfLi32ELi4ELi5ELb1EEvPKT_PKfPKiPfiiiiiiiiiiiiiiii,@function
_ZL9mul_mat_fIfLi32ELi4ELi5ELb1EEvPKT_PKfPKiPfiiiiiiiiiiiiiiii: ; @_ZL9mul_mat_fIfLi32ELi4ELi5ELb1EEvPKT_PKfPKiPfiiiiiiiiiiiiiiii
; %bb.0:
	s_add_u32 flat_scratch_lo, s6, s9
	s_addc_u32 flat_scratch_hi, s7, 0
	s_add_u32 s0, s0, s9
	s_addc_u32 s1, s1, 0
	s_add_u32 s8, s4, 0x60
	s_addc_u32 s9, s5, 0
	s_getpc_b64 s[4:5]
	s_add_u32 s4, s4, __FUNCTION__._ZL9mul_mat_fIfLi32ELi4ELi1ELb1EEvPKT_PKfPKiPfiiiiiiiiiiiiiiii@rel32@lo+4
	s_addc_u32 s5, s5, __FUNCTION__._ZL9mul_mat_fIfLi32ELi4ELi1ELb1EEvPKT_PKfPKiPfiiiiiiiiiiiiiiii@rel32@hi+12
	v_mov_b32_e32 v0, 64
	v_mov_b32_e32 v1, s4
	;; [unrolled: 1-line block ×3, first 2 shown]
	s_mov_b32 s32, 0
	s_getpc_b64 s[6:7]
	s_add_u32 s6, s6, _ZL14no_device_codePKciS0_iS0_@rel32@lo+4
	s_addc_u32 s7, s7, _ZL14no_device_codePKciS0_iS0_@rel32@hi+12
	s_swappc_b64 s[30:31], s[6:7]
	.section	.rodata,"a",@progbits
	.p2align	6, 0x0
	.amdhsa_kernel _ZL9mul_mat_fIfLi32ELi4ELi5ELb1EEvPKT_PKfPKiPfiiiiiiiiiiiiiiii
		.amdhsa_group_segment_fixed_size 0
		.amdhsa_private_segment_fixed_size 16
		.amdhsa_kernarg_size 352
		.amdhsa_user_sgpr_count 8
		.amdhsa_user_sgpr_private_segment_buffer 1
		.amdhsa_user_sgpr_dispatch_ptr 0
		.amdhsa_user_sgpr_queue_ptr 0
		.amdhsa_user_sgpr_kernarg_segment_ptr 1
		.amdhsa_user_sgpr_dispatch_id 0
		.amdhsa_user_sgpr_flat_scratch_init 1
		.amdhsa_user_sgpr_kernarg_preload_length 0
		.amdhsa_user_sgpr_kernarg_preload_offset 0
		.amdhsa_user_sgpr_private_segment_size 0
		.amdhsa_uses_dynamic_stack 0
		.amdhsa_system_sgpr_private_segment_wavefront_offset 1
		.amdhsa_system_sgpr_workgroup_id_x 1
		.amdhsa_system_sgpr_workgroup_id_y 0
		.amdhsa_system_sgpr_workgroup_id_z 0
		.amdhsa_system_sgpr_workgroup_info 0
		.amdhsa_system_vgpr_workitem_id 0
		.amdhsa_next_free_vgpr 41
		.amdhsa_next_free_sgpr 34
		.amdhsa_accum_offset 44
		.amdhsa_reserve_vcc 1
		.amdhsa_reserve_flat_scratch 1
		.amdhsa_float_round_mode_32 0
		.amdhsa_float_round_mode_16_64 0
		.amdhsa_float_denorm_mode_32 3
		.amdhsa_float_denorm_mode_16_64 3
		.amdhsa_dx10_clamp 1
		.amdhsa_ieee_mode 1
		.amdhsa_fp16_overflow 0
		.amdhsa_tg_split 0
		.amdhsa_exception_fp_ieee_invalid_op 0
		.amdhsa_exception_fp_denorm_src 0
		.amdhsa_exception_fp_ieee_div_zero 0
		.amdhsa_exception_fp_ieee_overflow 0
		.amdhsa_exception_fp_ieee_underflow 0
		.amdhsa_exception_fp_ieee_inexact 0
		.amdhsa_exception_int_div_zero 0
	.end_amdhsa_kernel
	.section	.text._ZL9mul_mat_fIfLi32ELi4ELi5ELb1EEvPKT_PKfPKiPfiiiiiiiiiiiiiiii,"axG",@progbits,_ZL9mul_mat_fIfLi32ELi4ELi5ELb1EEvPKT_PKfPKiPfiiiiiiiiiiiiiiii,comdat
.Lfunc_end16:
	.size	_ZL9mul_mat_fIfLi32ELi4ELi5ELb1EEvPKT_PKfPKiPfiiiiiiiiiiiiiiii, .Lfunc_end16-_ZL9mul_mat_fIfLi32ELi4ELi5ELb1EEvPKT_PKfPKiPfiiiiiiiiiiiiiiii
                                        ; -- End function
	.section	.AMDGPU.csdata,"",@progbits
; Kernel info:
; codeLenInByte = 88
; NumSgprs: 40
; NumVgprs: 41
; NumAgprs: 0
; TotalNumVgprs: 41
; ScratchSize: 16
; MemoryBound: 0
; FloatMode: 240
; IeeeMode: 1
; LDSByteSize: 0 bytes/workgroup (compile time only)
; SGPRBlocks: 4
; VGPRBlocks: 5
; NumSGPRsForWavesPerEU: 40
; NumVGPRsForWavesPerEU: 41
; AccumOffset: 44
; Occupancy: 8
; WaveLimiterHint : 1
; COMPUTE_PGM_RSRC2:SCRATCH_EN: 1
; COMPUTE_PGM_RSRC2:USER_SGPR: 8
; COMPUTE_PGM_RSRC2:TRAP_HANDLER: 0
; COMPUTE_PGM_RSRC2:TGID_X_EN: 1
; COMPUTE_PGM_RSRC2:TGID_Y_EN: 0
; COMPUTE_PGM_RSRC2:TGID_Z_EN: 0
; COMPUTE_PGM_RSRC2:TIDIG_COMP_CNT: 0
; COMPUTE_PGM_RSRC3_GFX90A:ACCUM_OFFSET: 10
; COMPUTE_PGM_RSRC3_GFX90A:TG_SPLIT: 0
	.section	.text._ZL9mul_mat_fIfLi32ELi4ELi5ELb0EEvPKT_PKfPKiPfiiiiiiiiiiiiiiii,"axG",@progbits,_ZL9mul_mat_fIfLi32ELi4ELi5ELb0EEvPKT_PKfPKiPfiiiiiiiiiiiiiiii,comdat
	.globl	_ZL9mul_mat_fIfLi32ELi4ELi5ELb0EEvPKT_PKfPKiPfiiiiiiiiiiiiiiii ; -- Begin function _ZL9mul_mat_fIfLi32ELi4ELi5ELb0EEvPKT_PKfPKiPfiiiiiiiiiiiiiiii
	.p2align	8
	.type	_ZL9mul_mat_fIfLi32ELi4ELi5ELb0EEvPKT_PKfPKiPfiiiiiiiiiiiiiiii,@function
_ZL9mul_mat_fIfLi32ELi4ELi5ELb0EEvPKT_PKfPKiPfiiiiiiiiiiiiiiii: ; @_ZL9mul_mat_fIfLi32ELi4ELi5ELb0EEvPKT_PKfPKiPfiiiiiiiiiiiiiiii
; %bb.0:
	s_add_u32 flat_scratch_lo, s6, s9
	s_addc_u32 flat_scratch_hi, s7, 0
	s_add_u32 s0, s0, s9
	s_addc_u32 s1, s1, 0
	s_add_u32 s8, s4, 0x60
	s_addc_u32 s9, s5, 0
	s_getpc_b64 s[4:5]
	s_add_u32 s4, s4, __FUNCTION__._ZL9mul_mat_fIfLi32ELi4ELi1ELb1EEvPKT_PKfPKiPfiiiiiiiiiiiiiiii@rel32@lo+4
	s_addc_u32 s5, s5, __FUNCTION__._ZL9mul_mat_fIfLi32ELi4ELi1ELb1EEvPKT_PKfPKiPfiiiiiiiiiiiiiiii@rel32@hi+12
	v_mov_b32_e32 v0, 64
	v_mov_b32_e32 v1, s4
	;; [unrolled: 1-line block ×3, first 2 shown]
	s_mov_b32 s32, 0
	s_getpc_b64 s[6:7]
	s_add_u32 s6, s6, _ZL14no_device_codePKciS0_iS0_@rel32@lo+4
	s_addc_u32 s7, s7, _ZL14no_device_codePKciS0_iS0_@rel32@hi+12
	s_swappc_b64 s[30:31], s[6:7]
	.section	.rodata,"a",@progbits
	.p2align	6, 0x0
	.amdhsa_kernel _ZL9mul_mat_fIfLi32ELi4ELi5ELb0EEvPKT_PKfPKiPfiiiiiiiiiiiiiiii
		.amdhsa_group_segment_fixed_size 0
		.amdhsa_private_segment_fixed_size 16
		.amdhsa_kernarg_size 352
		.amdhsa_user_sgpr_count 8
		.amdhsa_user_sgpr_private_segment_buffer 1
		.amdhsa_user_sgpr_dispatch_ptr 0
		.amdhsa_user_sgpr_queue_ptr 0
		.amdhsa_user_sgpr_kernarg_segment_ptr 1
		.amdhsa_user_sgpr_dispatch_id 0
		.amdhsa_user_sgpr_flat_scratch_init 1
		.amdhsa_user_sgpr_kernarg_preload_length 0
		.amdhsa_user_sgpr_kernarg_preload_offset 0
		.amdhsa_user_sgpr_private_segment_size 0
		.amdhsa_uses_dynamic_stack 0
		.amdhsa_system_sgpr_private_segment_wavefront_offset 1
		.amdhsa_system_sgpr_workgroup_id_x 1
		.amdhsa_system_sgpr_workgroup_id_y 0
		.amdhsa_system_sgpr_workgroup_id_z 0
		.amdhsa_system_sgpr_workgroup_info 0
		.amdhsa_system_vgpr_workitem_id 0
		.amdhsa_next_free_vgpr 41
		.amdhsa_next_free_sgpr 34
		.amdhsa_accum_offset 44
		.amdhsa_reserve_vcc 1
		.amdhsa_reserve_flat_scratch 1
		.amdhsa_float_round_mode_32 0
		.amdhsa_float_round_mode_16_64 0
		.amdhsa_float_denorm_mode_32 3
		.amdhsa_float_denorm_mode_16_64 3
		.amdhsa_dx10_clamp 1
		.amdhsa_ieee_mode 1
		.amdhsa_fp16_overflow 0
		.amdhsa_tg_split 0
		.amdhsa_exception_fp_ieee_invalid_op 0
		.amdhsa_exception_fp_denorm_src 0
		.amdhsa_exception_fp_ieee_div_zero 0
		.amdhsa_exception_fp_ieee_overflow 0
		.amdhsa_exception_fp_ieee_underflow 0
		.amdhsa_exception_fp_ieee_inexact 0
		.amdhsa_exception_int_div_zero 0
	.end_amdhsa_kernel
	.section	.text._ZL9mul_mat_fIfLi32ELi4ELi5ELb0EEvPKT_PKfPKiPfiiiiiiiiiiiiiiii,"axG",@progbits,_ZL9mul_mat_fIfLi32ELi4ELi5ELb0EEvPKT_PKfPKiPfiiiiiiiiiiiiiiii,comdat
.Lfunc_end17:
	.size	_ZL9mul_mat_fIfLi32ELi4ELi5ELb0EEvPKT_PKfPKiPfiiiiiiiiiiiiiiii, .Lfunc_end17-_ZL9mul_mat_fIfLi32ELi4ELi5ELb0EEvPKT_PKfPKiPfiiiiiiiiiiiiiiii
                                        ; -- End function
	.section	.AMDGPU.csdata,"",@progbits
; Kernel info:
; codeLenInByte = 88
; NumSgprs: 40
; NumVgprs: 41
; NumAgprs: 0
; TotalNumVgprs: 41
; ScratchSize: 16
; MemoryBound: 0
; FloatMode: 240
; IeeeMode: 1
; LDSByteSize: 0 bytes/workgroup (compile time only)
; SGPRBlocks: 4
; VGPRBlocks: 5
; NumSGPRsForWavesPerEU: 40
; NumVGPRsForWavesPerEU: 41
; AccumOffset: 44
; Occupancy: 8
; WaveLimiterHint : 1
; COMPUTE_PGM_RSRC2:SCRATCH_EN: 1
; COMPUTE_PGM_RSRC2:USER_SGPR: 8
; COMPUTE_PGM_RSRC2:TRAP_HANDLER: 0
; COMPUTE_PGM_RSRC2:TGID_X_EN: 1
; COMPUTE_PGM_RSRC2:TGID_Y_EN: 0
; COMPUTE_PGM_RSRC2:TGID_Z_EN: 0
; COMPUTE_PGM_RSRC2:TIDIG_COMP_CNT: 0
; COMPUTE_PGM_RSRC3_GFX90A:ACCUM_OFFSET: 10
; COMPUTE_PGM_RSRC3_GFX90A:TG_SPLIT: 0
	.section	.text._ZL13mul_mat_f_idsIfLi32ELi4ELi6EEvPKT_PKfPKiS6_S6_Pfiiiiiiiiiiiiii15HIP_vector_typeIjLj3EES9_,"axG",@progbits,_ZL13mul_mat_f_idsIfLi32ELi4ELi6EEvPKT_PKfPKiS6_S6_Pfiiiiiiiiiiiiii15HIP_vector_typeIjLj3EES9_,comdat
	.globl	_ZL13mul_mat_f_idsIfLi32ELi4ELi6EEvPKT_PKfPKiS6_S6_Pfiiiiiiiiiiiiii15HIP_vector_typeIjLj3EES9_ ; -- Begin function _ZL13mul_mat_f_idsIfLi32ELi4ELi6EEvPKT_PKfPKiS6_S6_Pfiiiiiiiiiiiiii15HIP_vector_typeIjLj3EES9_
	.p2align	8
	.type	_ZL13mul_mat_f_idsIfLi32ELi4ELi6EEvPKT_PKfPKiS6_S6_Pfiiiiiiiiiiiiii15HIP_vector_typeIjLj3EES9_,@function
_ZL13mul_mat_f_idsIfLi32ELi4ELi6EEvPKT_PKfPKiS6_S6_Pfiiiiiiiiiiiiii15HIP_vector_typeIjLj3EES9_: ; @_ZL13mul_mat_f_idsIfLi32ELi4ELi6EEvPKT_PKfPKiS6_S6_Pfiiiiiiiiiiiiii15HIP_vector_typeIjLj3EES9_
; %bb.0:
	s_add_u32 flat_scratch_lo, s6, s9
	s_addc_u32 flat_scratch_hi, s7, 0
	s_add_u32 s0, s0, s9
	s_addc_u32 s1, s1, 0
	s_add_u32 s8, s4, 0x80
	s_addc_u32 s9, s5, 0
	s_getpc_b64 s[4:5]
	s_add_u32 s4, s4, __FUNCTION__._ZL13mul_mat_f_idsIfLi32ELi4ELi1EEvPKT_PKfPKiS6_S6_Pfiiiiiiiiiiiiii15HIP_vector_typeIjLj3EES9_@rel32@lo+4
	s_addc_u32 s5, s5, __FUNCTION__._ZL13mul_mat_f_idsIfLi32ELi4ELi1EEvPKT_PKfPKiS6_S6_Pfiiiiiiiiiiiiii15HIP_vector_typeIjLj3EES9_@rel32@hi+12
	v_mov_b32_e32 v0, 0x13b
	v_mov_b32_e32 v1, s4
	;; [unrolled: 1-line block ×3, first 2 shown]
	s_mov_b32 s32, 0
	s_getpc_b64 s[6:7]
	s_add_u32 s6, s6, _ZL14no_device_codePKciS0_iS0_@rel32@lo+4
	s_addc_u32 s7, s7, _ZL14no_device_codePKciS0_iS0_@rel32@hi+12
	s_swappc_b64 s[30:31], s[6:7]
	.section	.rodata,"a",@progbits
	.p2align	6, 0x0
	.amdhsa_kernel _ZL13mul_mat_f_idsIfLi32ELi4ELi6EEvPKT_PKfPKiS6_S6_Pfiiiiiiiiiiiiii15HIP_vector_typeIjLj3EES9_
		.amdhsa_group_segment_fixed_size 0
		.amdhsa_private_segment_fixed_size 16
		.amdhsa_kernarg_size 384
		.amdhsa_user_sgpr_count 8
		.amdhsa_user_sgpr_private_segment_buffer 1
		.amdhsa_user_sgpr_dispatch_ptr 0
		.amdhsa_user_sgpr_queue_ptr 0
		.amdhsa_user_sgpr_kernarg_segment_ptr 1
		.amdhsa_user_sgpr_dispatch_id 0
		.amdhsa_user_sgpr_flat_scratch_init 1
		.amdhsa_user_sgpr_kernarg_preload_length 0
		.amdhsa_user_sgpr_kernarg_preload_offset 0
		.amdhsa_user_sgpr_private_segment_size 0
		.amdhsa_uses_dynamic_stack 0
		.amdhsa_system_sgpr_private_segment_wavefront_offset 1
		.amdhsa_system_sgpr_workgroup_id_x 1
		.amdhsa_system_sgpr_workgroup_id_y 0
		.amdhsa_system_sgpr_workgroup_id_z 0
		.amdhsa_system_sgpr_workgroup_info 0
		.amdhsa_system_vgpr_workitem_id 0
		.amdhsa_next_free_vgpr 41
		.amdhsa_next_free_sgpr 34
		.amdhsa_accum_offset 44
		.amdhsa_reserve_vcc 1
		.amdhsa_reserve_flat_scratch 1
		.amdhsa_float_round_mode_32 0
		.amdhsa_float_round_mode_16_64 0
		.amdhsa_float_denorm_mode_32 3
		.amdhsa_float_denorm_mode_16_64 3
		.amdhsa_dx10_clamp 1
		.amdhsa_ieee_mode 1
		.amdhsa_fp16_overflow 0
		.amdhsa_tg_split 0
		.amdhsa_exception_fp_ieee_invalid_op 0
		.amdhsa_exception_fp_denorm_src 0
		.amdhsa_exception_fp_ieee_div_zero 0
		.amdhsa_exception_fp_ieee_overflow 0
		.amdhsa_exception_fp_ieee_underflow 0
		.amdhsa_exception_fp_ieee_inexact 0
		.amdhsa_exception_int_div_zero 0
	.end_amdhsa_kernel
	.section	.text._ZL13mul_mat_f_idsIfLi32ELi4ELi6EEvPKT_PKfPKiS6_S6_Pfiiiiiiiiiiiiii15HIP_vector_typeIjLj3EES9_,"axG",@progbits,_ZL13mul_mat_f_idsIfLi32ELi4ELi6EEvPKT_PKfPKiS6_S6_Pfiiiiiiiiiiiiii15HIP_vector_typeIjLj3EES9_,comdat
.Lfunc_end18:
	.size	_ZL13mul_mat_f_idsIfLi32ELi4ELi6EEvPKT_PKfPKiS6_S6_Pfiiiiiiiiiiiiii15HIP_vector_typeIjLj3EES9_, .Lfunc_end18-_ZL13mul_mat_f_idsIfLi32ELi4ELi6EEvPKT_PKfPKiS6_S6_Pfiiiiiiiiiiiiii15HIP_vector_typeIjLj3EES9_
                                        ; -- End function
	.section	.AMDGPU.csdata,"",@progbits
; Kernel info:
; codeLenInByte = 92
; NumSgprs: 40
; NumVgprs: 41
; NumAgprs: 0
; TotalNumVgprs: 41
; ScratchSize: 16
; MemoryBound: 0
; FloatMode: 240
; IeeeMode: 1
; LDSByteSize: 0 bytes/workgroup (compile time only)
; SGPRBlocks: 4
; VGPRBlocks: 5
; NumSGPRsForWavesPerEU: 40
; NumVGPRsForWavesPerEU: 41
; AccumOffset: 44
; Occupancy: 8
; WaveLimiterHint : 1
; COMPUTE_PGM_RSRC2:SCRATCH_EN: 1
; COMPUTE_PGM_RSRC2:USER_SGPR: 8
; COMPUTE_PGM_RSRC2:TRAP_HANDLER: 0
; COMPUTE_PGM_RSRC2:TGID_X_EN: 1
; COMPUTE_PGM_RSRC2:TGID_Y_EN: 0
; COMPUTE_PGM_RSRC2:TGID_Z_EN: 0
; COMPUTE_PGM_RSRC2:TIDIG_COMP_CNT: 0
; COMPUTE_PGM_RSRC3_GFX90A:ACCUM_OFFSET: 10
; COMPUTE_PGM_RSRC3_GFX90A:TG_SPLIT: 0
	.section	.text._ZL9mul_mat_fIfLi32ELi4ELi6ELb1EEvPKT_PKfPKiPfiiiiiiiiiiiiiiii,"axG",@progbits,_ZL9mul_mat_fIfLi32ELi4ELi6ELb1EEvPKT_PKfPKiPfiiiiiiiiiiiiiiii,comdat
	.globl	_ZL9mul_mat_fIfLi32ELi4ELi6ELb1EEvPKT_PKfPKiPfiiiiiiiiiiiiiiii ; -- Begin function _ZL9mul_mat_fIfLi32ELi4ELi6ELb1EEvPKT_PKfPKiPfiiiiiiiiiiiiiiii
	.p2align	8
	.type	_ZL9mul_mat_fIfLi32ELi4ELi6ELb1EEvPKT_PKfPKiPfiiiiiiiiiiiiiiii,@function
_ZL9mul_mat_fIfLi32ELi4ELi6ELb1EEvPKT_PKfPKiPfiiiiiiiiiiiiiiii: ; @_ZL9mul_mat_fIfLi32ELi4ELi6ELb1EEvPKT_PKfPKiPfiiiiiiiiiiiiiiii
; %bb.0:
	s_add_u32 flat_scratch_lo, s6, s9
	s_addc_u32 flat_scratch_hi, s7, 0
	s_add_u32 s0, s0, s9
	s_addc_u32 s1, s1, 0
	s_add_u32 s8, s4, 0x60
	s_addc_u32 s9, s5, 0
	s_getpc_b64 s[4:5]
	s_add_u32 s4, s4, __FUNCTION__._ZL9mul_mat_fIfLi32ELi4ELi1ELb1EEvPKT_PKfPKiPfiiiiiiiiiiiiiiii@rel32@lo+4
	s_addc_u32 s5, s5, __FUNCTION__._ZL9mul_mat_fIfLi32ELi4ELi1ELb1EEvPKT_PKfPKiPfiiiiiiiiiiiiiiii@rel32@hi+12
	v_mov_b32_e32 v0, 64
	v_mov_b32_e32 v1, s4
	v_mov_b32_e32 v2, s5
	s_mov_b32 s32, 0
	s_getpc_b64 s[6:7]
	s_add_u32 s6, s6, _ZL14no_device_codePKciS0_iS0_@rel32@lo+4
	s_addc_u32 s7, s7, _ZL14no_device_codePKciS0_iS0_@rel32@hi+12
	s_swappc_b64 s[30:31], s[6:7]
	.section	.rodata,"a",@progbits
	.p2align	6, 0x0
	.amdhsa_kernel _ZL9mul_mat_fIfLi32ELi4ELi6ELb1EEvPKT_PKfPKiPfiiiiiiiiiiiiiiii
		.amdhsa_group_segment_fixed_size 0
		.amdhsa_private_segment_fixed_size 16
		.amdhsa_kernarg_size 352
		.amdhsa_user_sgpr_count 8
		.amdhsa_user_sgpr_private_segment_buffer 1
		.amdhsa_user_sgpr_dispatch_ptr 0
		.amdhsa_user_sgpr_queue_ptr 0
		.amdhsa_user_sgpr_kernarg_segment_ptr 1
		.amdhsa_user_sgpr_dispatch_id 0
		.amdhsa_user_sgpr_flat_scratch_init 1
		.amdhsa_user_sgpr_kernarg_preload_length 0
		.amdhsa_user_sgpr_kernarg_preload_offset 0
		.amdhsa_user_sgpr_private_segment_size 0
		.amdhsa_uses_dynamic_stack 0
		.amdhsa_system_sgpr_private_segment_wavefront_offset 1
		.amdhsa_system_sgpr_workgroup_id_x 1
		.amdhsa_system_sgpr_workgroup_id_y 0
		.amdhsa_system_sgpr_workgroup_id_z 0
		.amdhsa_system_sgpr_workgroup_info 0
		.amdhsa_system_vgpr_workitem_id 0
		.amdhsa_next_free_vgpr 41
		.amdhsa_next_free_sgpr 34
		.amdhsa_accum_offset 44
		.amdhsa_reserve_vcc 1
		.amdhsa_reserve_flat_scratch 1
		.amdhsa_float_round_mode_32 0
		.amdhsa_float_round_mode_16_64 0
		.amdhsa_float_denorm_mode_32 3
		.amdhsa_float_denorm_mode_16_64 3
		.amdhsa_dx10_clamp 1
		.amdhsa_ieee_mode 1
		.amdhsa_fp16_overflow 0
		.amdhsa_tg_split 0
		.amdhsa_exception_fp_ieee_invalid_op 0
		.amdhsa_exception_fp_denorm_src 0
		.amdhsa_exception_fp_ieee_div_zero 0
		.amdhsa_exception_fp_ieee_overflow 0
		.amdhsa_exception_fp_ieee_underflow 0
		.amdhsa_exception_fp_ieee_inexact 0
		.amdhsa_exception_int_div_zero 0
	.end_amdhsa_kernel
	.section	.text._ZL9mul_mat_fIfLi32ELi4ELi6ELb1EEvPKT_PKfPKiPfiiiiiiiiiiiiiiii,"axG",@progbits,_ZL9mul_mat_fIfLi32ELi4ELi6ELb1EEvPKT_PKfPKiPfiiiiiiiiiiiiiiii,comdat
.Lfunc_end19:
	.size	_ZL9mul_mat_fIfLi32ELi4ELi6ELb1EEvPKT_PKfPKiPfiiiiiiiiiiiiiiii, .Lfunc_end19-_ZL9mul_mat_fIfLi32ELi4ELi6ELb1EEvPKT_PKfPKiPfiiiiiiiiiiiiiiii
                                        ; -- End function
	.section	.AMDGPU.csdata,"",@progbits
; Kernel info:
; codeLenInByte = 88
; NumSgprs: 40
; NumVgprs: 41
; NumAgprs: 0
; TotalNumVgprs: 41
; ScratchSize: 16
; MemoryBound: 0
; FloatMode: 240
; IeeeMode: 1
; LDSByteSize: 0 bytes/workgroup (compile time only)
; SGPRBlocks: 4
; VGPRBlocks: 5
; NumSGPRsForWavesPerEU: 40
; NumVGPRsForWavesPerEU: 41
; AccumOffset: 44
; Occupancy: 8
; WaveLimiterHint : 1
; COMPUTE_PGM_RSRC2:SCRATCH_EN: 1
; COMPUTE_PGM_RSRC2:USER_SGPR: 8
; COMPUTE_PGM_RSRC2:TRAP_HANDLER: 0
; COMPUTE_PGM_RSRC2:TGID_X_EN: 1
; COMPUTE_PGM_RSRC2:TGID_Y_EN: 0
; COMPUTE_PGM_RSRC2:TGID_Z_EN: 0
; COMPUTE_PGM_RSRC2:TIDIG_COMP_CNT: 0
; COMPUTE_PGM_RSRC3_GFX90A:ACCUM_OFFSET: 10
; COMPUTE_PGM_RSRC3_GFX90A:TG_SPLIT: 0
	.section	.text._ZL9mul_mat_fIfLi32ELi4ELi6ELb0EEvPKT_PKfPKiPfiiiiiiiiiiiiiiii,"axG",@progbits,_ZL9mul_mat_fIfLi32ELi4ELi6ELb0EEvPKT_PKfPKiPfiiiiiiiiiiiiiiii,comdat
	.globl	_ZL9mul_mat_fIfLi32ELi4ELi6ELb0EEvPKT_PKfPKiPfiiiiiiiiiiiiiiii ; -- Begin function _ZL9mul_mat_fIfLi32ELi4ELi6ELb0EEvPKT_PKfPKiPfiiiiiiiiiiiiiiii
	.p2align	8
	.type	_ZL9mul_mat_fIfLi32ELi4ELi6ELb0EEvPKT_PKfPKiPfiiiiiiiiiiiiiiii,@function
_ZL9mul_mat_fIfLi32ELi4ELi6ELb0EEvPKT_PKfPKiPfiiiiiiiiiiiiiiii: ; @_ZL9mul_mat_fIfLi32ELi4ELi6ELb0EEvPKT_PKfPKiPfiiiiiiiiiiiiiiii
; %bb.0:
	s_add_u32 flat_scratch_lo, s6, s9
	s_addc_u32 flat_scratch_hi, s7, 0
	s_add_u32 s0, s0, s9
	s_addc_u32 s1, s1, 0
	s_add_u32 s8, s4, 0x60
	s_addc_u32 s9, s5, 0
	s_getpc_b64 s[4:5]
	s_add_u32 s4, s4, __FUNCTION__._ZL9mul_mat_fIfLi32ELi4ELi1ELb1EEvPKT_PKfPKiPfiiiiiiiiiiiiiiii@rel32@lo+4
	s_addc_u32 s5, s5, __FUNCTION__._ZL9mul_mat_fIfLi32ELi4ELi1ELb1EEvPKT_PKfPKiPfiiiiiiiiiiiiiiii@rel32@hi+12
	v_mov_b32_e32 v0, 64
	v_mov_b32_e32 v1, s4
	;; [unrolled: 1-line block ×3, first 2 shown]
	s_mov_b32 s32, 0
	s_getpc_b64 s[6:7]
	s_add_u32 s6, s6, _ZL14no_device_codePKciS0_iS0_@rel32@lo+4
	s_addc_u32 s7, s7, _ZL14no_device_codePKciS0_iS0_@rel32@hi+12
	s_swappc_b64 s[30:31], s[6:7]
	.section	.rodata,"a",@progbits
	.p2align	6, 0x0
	.amdhsa_kernel _ZL9mul_mat_fIfLi32ELi4ELi6ELb0EEvPKT_PKfPKiPfiiiiiiiiiiiiiiii
		.amdhsa_group_segment_fixed_size 0
		.amdhsa_private_segment_fixed_size 16
		.amdhsa_kernarg_size 352
		.amdhsa_user_sgpr_count 8
		.amdhsa_user_sgpr_private_segment_buffer 1
		.amdhsa_user_sgpr_dispatch_ptr 0
		.amdhsa_user_sgpr_queue_ptr 0
		.amdhsa_user_sgpr_kernarg_segment_ptr 1
		.amdhsa_user_sgpr_dispatch_id 0
		.amdhsa_user_sgpr_flat_scratch_init 1
		.amdhsa_user_sgpr_kernarg_preload_length 0
		.amdhsa_user_sgpr_kernarg_preload_offset 0
		.amdhsa_user_sgpr_private_segment_size 0
		.amdhsa_uses_dynamic_stack 0
		.amdhsa_system_sgpr_private_segment_wavefront_offset 1
		.amdhsa_system_sgpr_workgroup_id_x 1
		.amdhsa_system_sgpr_workgroup_id_y 0
		.amdhsa_system_sgpr_workgroup_id_z 0
		.amdhsa_system_sgpr_workgroup_info 0
		.amdhsa_system_vgpr_workitem_id 0
		.amdhsa_next_free_vgpr 41
		.amdhsa_next_free_sgpr 34
		.amdhsa_accum_offset 44
		.amdhsa_reserve_vcc 1
		.amdhsa_reserve_flat_scratch 1
		.amdhsa_float_round_mode_32 0
		.amdhsa_float_round_mode_16_64 0
		.amdhsa_float_denorm_mode_32 3
		.amdhsa_float_denorm_mode_16_64 3
		.amdhsa_dx10_clamp 1
		.amdhsa_ieee_mode 1
		.amdhsa_fp16_overflow 0
		.amdhsa_tg_split 0
		.amdhsa_exception_fp_ieee_invalid_op 0
		.amdhsa_exception_fp_denorm_src 0
		.amdhsa_exception_fp_ieee_div_zero 0
		.amdhsa_exception_fp_ieee_overflow 0
		.amdhsa_exception_fp_ieee_underflow 0
		.amdhsa_exception_fp_ieee_inexact 0
		.amdhsa_exception_int_div_zero 0
	.end_amdhsa_kernel
	.section	.text._ZL9mul_mat_fIfLi32ELi4ELi6ELb0EEvPKT_PKfPKiPfiiiiiiiiiiiiiiii,"axG",@progbits,_ZL9mul_mat_fIfLi32ELi4ELi6ELb0EEvPKT_PKfPKiPfiiiiiiiiiiiiiiii,comdat
.Lfunc_end20:
	.size	_ZL9mul_mat_fIfLi32ELi4ELi6ELb0EEvPKT_PKfPKiPfiiiiiiiiiiiiiiii, .Lfunc_end20-_ZL9mul_mat_fIfLi32ELi4ELi6ELb0EEvPKT_PKfPKiPfiiiiiiiiiiiiiiii
                                        ; -- End function
	.section	.AMDGPU.csdata,"",@progbits
; Kernel info:
; codeLenInByte = 88
; NumSgprs: 40
; NumVgprs: 41
; NumAgprs: 0
; TotalNumVgprs: 41
; ScratchSize: 16
; MemoryBound: 0
; FloatMode: 240
; IeeeMode: 1
; LDSByteSize: 0 bytes/workgroup (compile time only)
; SGPRBlocks: 4
; VGPRBlocks: 5
; NumSGPRsForWavesPerEU: 40
; NumVGPRsForWavesPerEU: 41
; AccumOffset: 44
; Occupancy: 8
; WaveLimiterHint : 1
; COMPUTE_PGM_RSRC2:SCRATCH_EN: 1
; COMPUTE_PGM_RSRC2:USER_SGPR: 8
; COMPUTE_PGM_RSRC2:TRAP_HANDLER: 0
; COMPUTE_PGM_RSRC2:TGID_X_EN: 1
; COMPUTE_PGM_RSRC2:TGID_Y_EN: 0
; COMPUTE_PGM_RSRC2:TGID_Z_EN: 0
; COMPUTE_PGM_RSRC2:TIDIG_COMP_CNT: 0
; COMPUTE_PGM_RSRC3_GFX90A:ACCUM_OFFSET: 10
; COMPUTE_PGM_RSRC3_GFX90A:TG_SPLIT: 0
	.section	.text._ZL13mul_mat_f_idsIfLi32ELi4ELi7EEvPKT_PKfPKiS6_S6_Pfiiiiiiiiiiiiii15HIP_vector_typeIjLj3EES9_,"axG",@progbits,_ZL13mul_mat_f_idsIfLi32ELi4ELi7EEvPKT_PKfPKiS6_S6_Pfiiiiiiiiiiiiii15HIP_vector_typeIjLj3EES9_,comdat
	.globl	_ZL13mul_mat_f_idsIfLi32ELi4ELi7EEvPKT_PKfPKiS6_S6_Pfiiiiiiiiiiiiii15HIP_vector_typeIjLj3EES9_ ; -- Begin function _ZL13mul_mat_f_idsIfLi32ELi4ELi7EEvPKT_PKfPKiS6_S6_Pfiiiiiiiiiiiiii15HIP_vector_typeIjLj3EES9_
	.p2align	8
	.type	_ZL13mul_mat_f_idsIfLi32ELi4ELi7EEvPKT_PKfPKiS6_S6_Pfiiiiiiiiiiiiii15HIP_vector_typeIjLj3EES9_,@function
_ZL13mul_mat_f_idsIfLi32ELi4ELi7EEvPKT_PKfPKiS6_S6_Pfiiiiiiiiiiiiii15HIP_vector_typeIjLj3EES9_: ; @_ZL13mul_mat_f_idsIfLi32ELi4ELi7EEvPKT_PKfPKiS6_S6_Pfiiiiiiiiiiiiii15HIP_vector_typeIjLj3EES9_
; %bb.0:
	s_add_u32 flat_scratch_lo, s6, s9
	s_addc_u32 flat_scratch_hi, s7, 0
	s_add_u32 s0, s0, s9
	s_addc_u32 s1, s1, 0
	s_add_u32 s8, s4, 0x80
	s_addc_u32 s9, s5, 0
	s_getpc_b64 s[4:5]
	s_add_u32 s4, s4, __FUNCTION__._ZL13mul_mat_f_idsIfLi32ELi4ELi1EEvPKT_PKfPKiS6_S6_Pfiiiiiiiiiiiiii15HIP_vector_typeIjLj3EES9_@rel32@lo+4
	s_addc_u32 s5, s5, __FUNCTION__._ZL13mul_mat_f_idsIfLi32ELi4ELi1EEvPKT_PKfPKiS6_S6_Pfiiiiiiiiiiiiii15HIP_vector_typeIjLj3EES9_@rel32@hi+12
	v_mov_b32_e32 v0, 0x13b
	v_mov_b32_e32 v1, s4
	;; [unrolled: 1-line block ×3, first 2 shown]
	s_mov_b32 s32, 0
	s_getpc_b64 s[6:7]
	s_add_u32 s6, s6, _ZL14no_device_codePKciS0_iS0_@rel32@lo+4
	s_addc_u32 s7, s7, _ZL14no_device_codePKciS0_iS0_@rel32@hi+12
	s_swappc_b64 s[30:31], s[6:7]
	.section	.rodata,"a",@progbits
	.p2align	6, 0x0
	.amdhsa_kernel _ZL13mul_mat_f_idsIfLi32ELi4ELi7EEvPKT_PKfPKiS6_S6_Pfiiiiiiiiiiiiii15HIP_vector_typeIjLj3EES9_
		.amdhsa_group_segment_fixed_size 0
		.amdhsa_private_segment_fixed_size 16
		.amdhsa_kernarg_size 384
		.amdhsa_user_sgpr_count 8
		.amdhsa_user_sgpr_private_segment_buffer 1
		.amdhsa_user_sgpr_dispatch_ptr 0
		.amdhsa_user_sgpr_queue_ptr 0
		.amdhsa_user_sgpr_kernarg_segment_ptr 1
		.amdhsa_user_sgpr_dispatch_id 0
		.amdhsa_user_sgpr_flat_scratch_init 1
		.amdhsa_user_sgpr_kernarg_preload_length 0
		.amdhsa_user_sgpr_kernarg_preload_offset 0
		.amdhsa_user_sgpr_private_segment_size 0
		.amdhsa_uses_dynamic_stack 0
		.amdhsa_system_sgpr_private_segment_wavefront_offset 1
		.amdhsa_system_sgpr_workgroup_id_x 1
		.amdhsa_system_sgpr_workgroup_id_y 0
		.amdhsa_system_sgpr_workgroup_id_z 0
		.amdhsa_system_sgpr_workgroup_info 0
		.amdhsa_system_vgpr_workitem_id 0
		.amdhsa_next_free_vgpr 41
		.amdhsa_next_free_sgpr 34
		.amdhsa_accum_offset 44
		.amdhsa_reserve_vcc 1
		.amdhsa_reserve_flat_scratch 1
		.amdhsa_float_round_mode_32 0
		.amdhsa_float_round_mode_16_64 0
		.amdhsa_float_denorm_mode_32 3
		.amdhsa_float_denorm_mode_16_64 3
		.amdhsa_dx10_clamp 1
		.amdhsa_ieee_mode 1
		.amdhsa_fp16_overflow 0
		.amdhsa_tg_split 0
		.amdhsa_exception_fp_ieee_invalid_op 0
		.amdhsa_exception_fp_denorm_src 0
		.amdhsa_exception_fp_ieee_div_zero 0
		.amdhsa_exception_fp_ieee_overflow 0
		.amdhsa_exception_fp_ieee_underflow 0
		.amdhsa_exception_fp_ieee_inexact 0
		.amdhsa_exception_int_div_zero 0
	.end_amdhsa_kernel
	.section	.text._ZL13mul_mat_f_idsIfLi32ELi4ELi7EEvPKT_PKfPKiS6_S6_Pfiiiiiiiiiiiiii15HIP_vector_typeIjLj3EES9_,"axG",@progbits,_ZL13mul_mat_f_idsIfLi32ELi4ELi7EEvPKT_PKfPKiS6_S6_Pfiiiiiiiiiiiiii15HIP_vector_typeIjLj3EES9_,comdat
.Lfunc_end21:
	.size	_ZL13mul_mat_f_idsIfLi32ELi4ELi7EEvPKT_PKfPKiS6_S6_Pfiiiiiiiiiiiiii15HIP_vector_typeIjLj3EES9_, .Lfunc_end21-_ZL13mul_mat_f_idsIfLi32ELi4ELi7EEvPKT_PKfPKiS6_S6_Pfiiiiiiiiiiiiii15HIP_vector_typeIjLj3EES9_
                                        ; -- End function
	.section	.AMDGPU.csdata,"",@progbits
; Kernel info:
; codeLenInByte = 92
; NumSgprs: 40
; NumVgprs: 41
; NumAgprs: 0
; TotalNumVgprs: 41
; ScratchSize: 16
; MemoryBound: 0
; FloatMode: 240
; IeeeMode: 1
; LDSByteSize: 0 bytes/workgroup (compile time only)
; SGPRBlocks: 4
; VGPRBlocks: 5
; NumSGPRsForWavesPerEU: 40
; NumVGPRsForWavesPerEU: 41
; AccumOffset: 44
; Occupancy: 7
; WaveLimiterHint : 1
; COMPUTE_PGM_RSRC2:SCRATCH_EN: 1
; COMPUTE_PGM_RSRC2:USER_SGPR: 8
; COMPUTE_PGM_RSRC2:TRAP_HANDLER: 0
; COMPUTE_PGM_RSRC2:TGID_X_EN: 1
; COMPUTE_PGM_RSRC2:TGID_Y_EN: 0
; COMPUTE_PGM_RSRC2:TGID_Z_EN: 0
; COMPUTE_PGM_RSRC2:TIDIG_COMP_CNT: 0
; COMPUTE_PGM_RSRC3_GFX90A:ACCUM_OFFSET: 10
; COMPUTE_PGM_RSRC3_GFX90A:TG_SPLIT: 0
	.section	.text._ZL9mul_mat_fIfLi32ELi4ELi7ELb1EEvPKT_PKfPKiPfiiiiiiiiiiiiiiii,"axG",@progbits,_ZL9mul_mat_fIfLi32ELi4ELi7ELb1EEvPKT_PKfPKiPfiiiiiiiiiiiiiiii,comdat
	.globl	_ZL9mul_mat_fIfLi32ELi4ELi7ELb1EEvPKT_PKfPKiPfiiiiiiiiiiiiiiii ; -- Begin function _ZL9mul_mat_fIfLi32ELi4ELi7ELb1EEvPKT_PKfPKiPfiiiiiiiiiiiiiiii
	.p2align	8
	.type	_ZL9mul_mat_fIfLi32ELi4ELi7ELb1EEvPKT_PKfPKiPfiiiiiiiiiiiiiiii,@function
_ZL9mul_mat_fIfLi32ELi4ELi7ELb1EEvPKT_PKfPKiPfiiiiiiiiiiiiiiii: ; @_ZL9mul_mat_fIfLi32ELi4ELi7ELb1EEvPKT_PKfPKiPfiiiiiiiiiiiiiiii
; %bb.0:
	s_add_u32 flat_scratch_lo, s6, s9
	s_addc_u32 flat_scratch_hi, s7, 0
	s_add_u32 s0, s0, s9
	s_addc_u32 s1, s1, 0
	s_add_u32 s8, s4, 0x60
	s_addc_u32 s9, s5, 0
	s_getpc_b64 s[4:5]
	s_add_u32 s4, s4, __FUNCTION__._ZL9mul_mat_fIfLi32ELi4ELi1ELb1EEvPKT_PKfPKiPfiiiiiiiiiiiiiiii@rel32@lo+4
	s_addc_u32 s5, s5, __FUNCTION__._ZL9mul_mat_fIfLi32ELi4ELi1ELb1EEvPKT_PKfPKiPfiiiiiiiiiiiiiiii@rel32@hi+12
	v_mov_b32_e32 v0, 64
	v_mov_b32_e32 v1, s4
	;; [unrolled: 1-line block ×3, first 2 shown]
	s_mov_b32 s32, 0
	s_getpc_b64 s[6:7]
	s_add_u32 s6, s6, _ZL14no_device_codePKciS0_iS0_@rel32@lo+4
	s_addc_u32 s7, s7, _ZL14no_device_codePKciS0_iS0_@rel32@hi+12
	s_swappc_b64 s[30:31], s[6:7]
	.section	.rodata,"a",@progbits
	.p2align	6, 0x0
	.amdhsa_kernel _ZL9mul_mat_fIfLi32ELi4ELi7ELb1EEvPKT_PKfPKiPfiiiiiiiiiiiiiiii
		.amdhsa_group_segment_fixed_size 0
		.amdhsa_private_segment_fixed_size 16
		.amdhsa_kernarg_size 352
		.amdhsa_user_sgpr_count 8
		.amdhsa_user_sgpr_private_segment_buffer 1
		.amdhsa_user_sgpr_dispatch_ptr 0
		.amdhsa_user_sgpr_queue_ptr 0
		.amdhsa_user_sgpr_kernarg_segment_ptr 1
		.amdhsa_user_sgpr_dispatch_id 0
		.amdhsa_user_sgpr_flat_scratch_init 1
		.amdhsa_user_sgpr_kernarg_preload_length 0
		.amdhsa_user_sgpr_kernarg_preload_offset 0
		.amdhsa_user_sgpr_private_segment_size 0
		.amdhsa_uses_dynamic_stack 0
		.amdhsa_system_sgpr_private_segment_wavefront_offset 1
		.amdhsa_system_sgpr_workgroup_id_x 1
		.amdhsa_system_sgpr_workgroup_id_y 0
		.amdhsa_system_sgpr_workgroup_id_z 0
		.amdhsa_system_sgpr_workgroup_info 0
		.amdhsa_system_vgpr_workitem_id 0
		.amdhsa_next_free_vgpr 41
		.amdhsa_next_free_sgpr 34
		.amdhsa_accum_offset 44
		.amdhsa_reserve_vcc 1
		.amdhsa_reserve_flat_scratch 1
		.amdhsa_float_round_mode_32 0
		.amdhsa_float_round_mode_16_64 0
		.amdhsa_float_denorm_mode_32 3
		.amdhsa_float_denorm_mode_16_64 3
		.amdhsa_dx10_clamp 1
		.amdhsa_ieee_mode 1
		.amdhsa_fp16_overflow 0
		.amdhsa_tg_split 0
		.amdhsa_exception_fp_ieee_invalid_op 0
		.amdhsa_exception_fp_denorm_src 0
		.amdhsa_exception_fp_ieee_div_zero 0
		.amdhsa_exception_fp_ieee_overflow 0
		.amdhsa_exception_fp_ieee_underflow 0
		.amdhsa_exception_fp_ieee_inexact 0
		.amdhsa_exception_int_div_zero 0
	.end_amdhsa_kernel
	.section	.text._ZL9mul_mat_fIfLi32ELi4ELi7ELb1EEvPKT_PKfPKiPfiiiiiiiiiiiiiiii,"axG",@progbits,_ZL9mul_mat_fIfLi32ELi4ELi7ELb1EEvPKT_PKfPKiPfiiiiiiiiiiiiiiii,comdat
.Lfunc_end22:
	.size	_ZL9mul_mat_fIfLi32ELi4ELi7ELb1EEvPKT_PKfPKiPfiiiiiiiiiiiiiiii, .Lfunc_end22-_ZL9mul_mat_fIfLi32ELi4ELi7ELb1EEvPKT_PKfPKiPfiiiiiiiiiiiiiiii
                                        ; -- End function
	.section	.AMDGPU.csdata,"",@progbits
; Kernel info:
; codeLenInByte = 88
; NumSgprs: 40
; NumVgprs: 41
; NumAgprs: 0
; TotalNumVgprs: 41
; ScratchSize: 16
; MemoryBound: 0
; FloatMode: 240
; IeeeMode: 1
; LDSByteSize: 0 bytes/workgroup (compile time only)
; SGPRBlocks: 4
; VGPRBlocks: 5
; NumSGPRsForWavesPerEU: 40
; NumVGPRsForWavesPerEU: 41
; AccumOffset: 44
; Occupancy: 7
; WaveLimiterHint : 1
; COMPUTE_PGM_RSRC2:SCRATCH_EN: 1
; COMPUTE_PGM_RSRC2:USER_SGPR: 8
; COMPUTE_PGM_RSRC2:TRAP_HANDLER: 0
; COMPUTE_PGM_RSRC2:TGID_X_EN: 1
; COMPUTE_PGM_RSRC2:TGID_Y_EN: 0
; COMPUTE_PGM_RSRC2:TGID_Z_EN: 0
; COMPUTE_PGM_RSRC2:TIDIG_COMP_CNT: 0
; COMPUTE_PGM_RSRC3_GFX90A:ACCUM_OFFSET: 10
; COMPUTE_PGM_RSRC3_GFX90A:TG_SPLIT: 0
	.section	.text._ZL9mul_mat_fIfLi32ELi4ELi7ELb0EEvPKT_PKfPKiPfiiiiiiiiiiiiiiii,"axG",@progbits,_ZL9mul_mat_fIfLi32ELi4ELi7ELb0EEvPKT_PKfPKiPfiiiiiiiiiiiiiiii,comdat
	.globl	_ZL9mul_mat_fIfLi32ELi4ELi7ELb0EEvPKT_PKfPKiPfiiiiiiiiiiiiiiii ; -- Begin function _ZL9mul_mat_fIfLi32ELi4ELi7ELb0EEvPKT_PKfPKiPfiiiiiiiiiiiiiiii
	.p2align	8
	.type	_ZL9mul_mat_fIfLi32ELi4ELi7ELb0EEvPKT_PKfPKiPfiiiiiiiiiiiiiiii,@function
_ZL9mul_mat_fIfLi32ELi4ELi7ELb0EEvPKT_PKfPKiPfiiiiiiiiiiiiiiii: ; @_ZL9mul_mat_fIfLi32ELi4ELi7ELb0EEvPKT_PKfPKiPfiiiiiiiiiiiiiiii
; %bb.0:
	s_add_u32 flat_scratch_lo, s6, s9
	s_addc_u32 flat_scratch_hi, s7, 0
	s_add_u32 s0, s0, s9
	s_addc_u32 s1, s1, 0
	s_add_u32 s8, s4, 0x60
	s_addc_u32 s9, s5, 0
	s_getpc_b64 s[4:5]
	s_add_u32 s4, s4, __FUNCTION__._ZL9mul_mat_fIfLi32ELi4ELi1ELb1EEvPKT_PKfPKiPfiiiiiiiiiiiiiiii@rel32@lo+4
	s_addc_u32 s5, s5, __FUNCTION__._ZL9mul_mat_fIfLi32ELi4ELi1ELb1EEvPKT_PKfPKiPfiiiiiiiiiiiiiiii@rel32@hi+12
	v_mov_b32_e32 v0, 64
	v_mov_b32_e32 v1, s4
	;; [unrolled: 1-line block ×3, first 2 shown]
	s_mov_b32 s32, 0
	s_getpc_b64 s[6:7]
	s_add_u32 s6, s6, _ZL14no_device_codePKciS0_iS0_@rel32@lo+4
	s_addc_u32 s7, s7, _ZL14no_device_codePKciS0_iS0_@rel32@hi+12
	s_swappc_b64 s[30:31], s[6:7]
	.section	.rodata,"a",@progbits
	.p2align	6, 0x0
	.amdhsa_kernel _ZL9mul_mat_fIfLi32ELi4ELi7ELb0EEvPKT_PKfPKiPfiiiiiiiiiiiiiiii
		.amdhsa_group_segment_fixed_size 0
		.amdhsa_private_segment_fixed_size 16
		.amdhsa_kernarg_size 352
		.amdhsa_user_sgpr_count 8
		.amdhsa_user_sgpr_private_segment_buffer 1
		.amdhsa_user_sgpr_dispatch_ptr 0
		.amdhsa_user_sgpr_queue_ptr 0
		.amdhsa_user_sgpr_kernarg_segment_ptr 1
		.amdhsa_user_sgpr_dispatch_id 0
		.amdhsa_user_sgpr_flat_scratch_init 1
		.amdhsa_user_sgpr_kernarg_preload_length 0
		.amdhsa_user_sgpr_kernarg_preload_offset 0
		.amdhsa_user_sgpr_private_segment_size 0
		.amdhsa_uses_dynamic_stack 0
		.amdhsa_system_sgpr_private_segment_wavefront_offset 1
		.amdhsa_system_sgpr_workgroup_id_x 1
		.amdhsa_system_sgpr_workgroup_id_y 0
		.amdhsa_system_sgpr_workgroup_id_z 0
		.amdhsa_system_sgpr_workgroup_info 0
		.amdhsa_system_vgpr_workitem_id 0
		.amdhsa_next_free_vgpr 41
		.amdhsa_next_free_sgpr 34
		.amdhsa_accum_offset 44
		.amdhsa_reserve_vcc 1
		.amdhsa_reserve_flat_scratch 1
		.amdhsa_float_round_mode_32 0
		.amdhsa_float_round_mode_16_64 0
		.amdhsa_float_denorm_mode_32 3
		.amdhsa_float_denorm_mode_16_64 3
		.amdhsa_dx10_clamp 1
		.amdhsa_ieee_mode 1
		.amdhsa_fp16_overflow 0
		.amdhsa_tg_split 0
		.amdhsa_exception_fp_ieee_invalid_op 0
		.amdhsa_exception_fp_denorm_src 0
		.amdhsa_exception_fp_ieee_div_zero 0
		.amdhsa_exception_fp_ieee_overflow 0
		.amdhsa_exception_fp_ieee_underflow 0
		.amdhsa_exception_fp_ieee_inexact 0
		.amdhsa_exception_int_div_zero 0
	.end_amdhsa_kernel
	.section	.text._ZL9mul_mat_fIfLi32ELi4ELi7ELb0EEvPKT_PKfPKiPfiiiiiiiiiiiiiiii,"axG",@progbits,_ZL9mul_mat_fIfLi32ELi4ELi7ELb0EEvPKT_PKfPKiPfiiiiiiiiiiiiiiii,comdat
.Lfunc_end23:
	.size	_ZL9mul_mat_fIfLi32ELi4ELi7ELb0EEvPKT_PKfPKiPfiiiiiiiiiiiiiiii, .Lfunc_end23-_ZL9mul_mat_fIfLi32ELi4ELi7ELb0EEvPKT_PKfPKiPfiiiiiiiiiiiiiiii
                                        ; -- End function
	.section	.AMDGPU.csdata,"",@progbits
; Kernel info:
; codeLenInByte = 88
; NumSgprs: 40
; NumVgprs: 41
; NumAgprs: 0
; TotalNumVgprs: 41
; ScratchSize: 16
; MemoryBound: 0
; FloatMode: 240
; IeeeMode: 1
; LDSByteSize: 0 bytes/workgroup (compile time only)
; SGPRBlocks: 4
; VGPRBlocks: 5
; NumSGPRsForWavesPerEU: 40
; NumVGPRsForWavesPerEU: 41
; AccumOffset: 44
; Occupancy: 7
; WaveLimiterHint : 1
; COMPUTE_PGM_RSRC2:SCRATCH_EN: 1
; COMPUTE_PGM_RSRC2:USER_SGPR: 8
; COMPUTE_PGM_RSRC2:TRAP_HANDLER: 0
; COMPUTE_PGM_RSRC2:TGID_X_EN: 1
; COMPUTE_PGM_RSRC2:TGID_Y_EN: 0
; COMPUTE_PGM_RSRC2:TGID_Z_EN: 0
; COMPUTE_PGM_RSRC2:TIDIG_COMP_CNT: 0
; COMPUTE_PGM_RSRC3_GFX90A:ACCUM_OFFSET: 10
; COMPUTE_PGM_RSRC3_GFX90A:TG_SPLIT: 0
	.section	.text._ZL13mul_mat_f_idsIfLi32ELi4ELi8EEvPKT_PKfPKiS6_S6_Pfiiiiiiiiiiiiii15HIP_vector_typeIjLj3EES9_,"axG",@progbits,_ZL13mul_mat_f_idsIfLi32ELi4ELi8EEvPKT_PKfPKiS6_S6_Pfiiiiiiiiiiiiii15HIP_vector_typeIjLj3EES9_,comdat
	.globl	_ZL13mul_mat_f_idsIfLi32ELi4ELi8EEvPKT_PKfPKiS6_S6_Pfiiiiiiiiiiiiii15HIP_vector_typeIjLj3EES9_ ; -- Begin function _ZL13mul_mat_f_idsIfLi32ELi4ELi8EEvPKT_PKfPKiS6_S6_Pfiiiiiiiiiiiiii15HIP_vector_typeIjLj3EES9_
	.p2align	8
	.type	_ZL13mul_mat_f_idsIfLi32ELi4ELi8EEvPKT_PKfPKiS6_S6_Pfiiiiiiiiiiiiii15HIP_vector_typeIjLj3EES9_,@function
_ZL13mul_mat_f_idsIfLi32ELi4ELi8EEvPKT_PKfPKiS6_S6_Pfiiiiiiiiiiiiii15HIP_vector_typeIjLj3EES9_: ; @_ZL13mul_mat_f_idsIfLi32ELi4ELi8EEvPKT_PKfPKiS6_S6_Pfiiiiiiiiiiiiii15HIP_vector_typeIjLj3EES9_
; %bb.0:
	s_add_u32 flat_scratch_lo, s6, s9
	s_addc_u32 flat_scratch_hi, s7, 0
	s_add_u32 s0, s0, s9
	s_addc_u32 s1, s1, 0
	s_add_u32 s8, s4, 0x80
	s_addc_u32 s9, s5, 0
	s_getpc_b64 s[4:5]
	s_add_u32 s4, s4, __FUNCTION__._ZL13mul_mat_f_idsIfLi32ELi4ELi1EEvPKT_PKfPKiS6_S6_Pfiiiiiiiiiiiiii15HIP_vector_typeIjLj3EES9_@rel32@lo+4
	s_addc_u32 s5, s5, __FUNCTION__._ZL13mul_mat_f_idsIfLi32ELi4ELi1EEvPKT_PKfPKiS6_S6_Pfiiiiiiiiiiiiii15HIP_vector_typeIjLj3EES9_@rel32@hi+12
	v_mov_b32_e32 v0, 0x13b
	v_mov_b32_e32 v1, s4
	;; [unrolled: 1-line block ×3, first 2 shown]
	s_mov_b32 s32, 0
	s_getpc_b64 s[6:7]
	s_add_u32 s6, s6, _ZL14no_device_codePKciS0_iS0_@rel32@lo+4
	s_addc_u32 s7, s7, _ZL14no_device_codePKciS0_iS0_@rel32@hi+12
	s_swappc_b64 s[30:31], s[6:7]
	.section	.rodata,"a",@progbits
	.p2align	6, 0x0
	.amdhsa_kernel _ZL13mul_mat_f_idsIfLi32ELi4ELi8EEvPKT_PKfPKiS6_S6_Pfiiiiiiiiiiiiii15HIP_vector_typeIjLj3EES9_
		.amdhsa_group_segment_fixed_size 0
		.amdhsa_private_segment_fixed_size 16
		.amdhsa_kernarg_size 384
		.amdhsa_user_sgpr_count 8
		.amdhsa_user_sgpr_private_segment_buffer 1
		.amdhsa_user_sgpr_dispatch_ptr 0
		.amdhsa_user_sgpr_queue_ptr 0
		.amdhsa_user_sgpr_kernarg_segment_ptr 1
		.amdhsa_user_sgpr_dispatch_id 0
		.amdhsa_user_sgpr_flat_scratch_init 1
		.amdhsa_user_sgpr_kernarg_preload_length 0
		.amdhsa_user_sgpr_kernarg_preload_offset 0
		.amdhsa_user_sgpr_private_segment_size 0
		.amdhsa_uses_dynamic_stack 0
		.amdhsa_system_sgpr_private_segment_wavefront_offset 1
		.amdhsa_system_sgpr_workgroup_id_x 1
		.amdhsa_system_sgpr_workgroup_id_y 0
		.amdhsa_system_sgpr_workgroup_id_z 0
		.amdhsa_system_sgpr_workgroup_info 0
		.amdhsa_system_vgpr_workitem_id 0
		.amdhsa_next_free_vgpr 41
		.amdhsa_next_free_sgpr 34
		.amdhsa_accum_offset 44
		.amdhsa_reserve_vcc 1
		.amdhsa_reserve_flat_scratch 1
		.amdhsa_float_round_mode_32 0
		.amdhsa_float_round_mode_16_64 0
		.amdhsa_float_denorm_mode_32 3
		.amdhsa_float_denorm_mode_16_64 3
		.amdhsa_dx10_clamp 1
		.amdhsa_ieee_mode 1
		.amdhsa_fp16_overflow 0
		.amdhsa_tg_split 0
		.amdhsa_exception_fp_ieee_invalid_op 0
		.amdhsa_exception_fp_denorm_src 0
		.amdhsa_exception_fp_ieee_div_zero 0
		.amdhsa_exception_fp_ieee_overflow 0
		.amdhsa_exception_fp_ieee_underflow 0
		.amdhsa_exception_fp_ieee_inexact 0
		.amdhsa_exception_int_div_zero 0
	.end_amdhsa_kernel
	.section	.text._ZL13mul_mat_f_idsIfLi32ELi4ELi8EEvPKT_PKfPKiS6_S6_Pfiiiiiiiiiiiiii15HIP_vector_typeIjLj3EES9_,"axG",@progbits,_ZL13mul_mat_f_idsIfLi32ELi4ELi8EEvPKT_PKfPKiS6_S6_Pfiiiiiiiiiiiiii15HIP_vector_typeIjLj3EES9_,comdat
.Lfunc_end24:
	.size	_ZL13mul_mat_f_idsIfLi32ELi4ELi8EEvPKT_PKfPKiS6_S6_Pfiiiiiiiiiiiiii15HIP_vector_typeIjLj3EES9_, .Lfunc_end24-_ZL13mul_mat_f_idsIfLi32ELi4ELi8EEvPKT_PKfPKiS6_S6_Pfiiiiiiiiiiiiii15HIP_vector_typeIjLj3EES9_
                                        ; -- End function
	.section	.AMDGPU.csdata,"",@progbits
; Kernel info:
; codeLenInByte = 92
; NumSgprs: 40
; NumVgprs: 41
; NumAgprs: 0
; TotalNumVgprs: 41
; ScratchSize: 16
; MemoryBound: 0
; FloatMode: 240
; IeeeMode: 1
; LDSByteSize: 0 bytes/workgroup (compile time only)
; SGPRBlocks: 4
; VGPRBlocks: 5
; NumSGPRsForWavesPerEU: 40
; NumVGPRsForWavesPerEU: 41
; AccumOffset: 44
; Occupancy: 8
; WaveLimiterHint : 1
; COMPUTE_PGM_RSRC2:SCRATCH_EN: 1
; COMPUTE_PGM_RSRC2:USER_SGPR: 8
; COMPUTE_PGM_RSRC2:TRAP_HANDLER: 0
; COMPUTE_PGM_RSRC2:TGID_X_EN: 1
; COMPUTE_PGM_RSRC2:TGID_Y_EN: 0
; COMPUTE_PGM_RSRC2:TGID_Z_EN: 0
; COMPUTE_PGM_RSRC2:TIDIG_COMP_CNT: 0
; COMPUTE_PGM_RSRC3_GFX90A:ACCUM_OFFSET: 10
; COMPUTE_PGM_RSRC3_GFX90A:TG_SPLIT: 0
	.section	.text._ZL9mul_mat_fIfLi32ELi4ELi8ELb1EEvPKT_PKfPKiPfiiiiiiiiiiiiiiii,"axG",@progbits,_ZL9mul_mat_fIfLi32ELi4ELi8ELb1EEvPKT_PKfPKiPfiiiiiiiiiiiiiiii,comdat
	.globl	_ZL9mul_mat_fIfLi32ELi4ELi8ELb1EEvPKT_PKfPKiPfiiiiiiiiiiiiiiii ; -- Begin function _ZL9mul_mat_fIfLi32ELi4ELi8ELb1EEvPKT_PKfPKiPfiiiiiiiiiiiiiiii
	.p2align	8
	.type	_ZL9mul_mat_fIfLi32ELi4ELi8ELb1EEvPKT_PKfPKiPfiiiiiiiiiiiiiiii,@function
_ZL9mul_mat_fIfLi32ELi4ELi8ELb1EEvPKT_PKfPKiPfiiiiiiiiiiiiiiii: ; @_ZL9mul_mat_fIfLi32ELi4ELi8ELb1EEvPKT_PKfPKiPfiiiiiiiiiiiiiiii
; %bb.0:
	s_add_u32 flat_scratch_lo, s6, s9
	s_addc_u32 flat_scratch_hi, s7, 0
	s_add_u32 s0, s0, s9
	s_addc_u32 s1, s1, 0
	s_add_u32 s8, s4, 0x60
	s_addc_u32 s9, s5, 0
	s_getpc_b64 s[4:5]
	s_add_u32 s4, s4, __FUNCTION__._ZL9mul_mat_fIfLi32ELi4ELi1ELb1EEvPKT_PKfPKiPfiiiiiiiiiiiiiiii@rel32@lo+4
	s_addc_u32 s5, s5, __FUNCTION__._ZL9mul_mat_fIfLi32ELi4ELi1ELb1EEvPKT_PKfPKiPfiiiiiiiiiiiiiiii@rel32@hi+12
	v_mov_b32_e32 v0, 64
	v_mov_b32_e32 v1, s4
	;; [unrolled: 1-line block ×3, first 2 shown]
	s_mov_b32 s32, 0
	s_getpc_b64 s[6:7]
	s_add_u32 s6, s6, _ZL14no_device_codePKciS0_iS0_@rel32@lo+4
	s_addc_u32 s7, s7, _ZL14no_device_codePKciS0_iS0_@rel32@hi+12
	s_swappc_b64 s[30:31], s[6:7]
	.section	.rodata,"a",@progbits
	.p2align	6, 0x0
	.amdhsa_kernel _ZL9mul_mat_fIfLi32ELi4ELi8ELb1EEvPKT_PKfPKiPfiiiiiiiiiiiiiiii
		.amdhsa_group_segment_fixed_size 0
		.amdhsa_private_segment_fixed_size 16
		.amdhsa_kernarg_size 352
		.amdhsa_user_sgpr_count 8
		.amdhsa_user_sgpr_private_segment_buffer 1
		.amdhsa_user_sgpr_dispatch_ptr 0
		.amdhsa_user_sgpr_queue_ptr 0
		.amdhsa_user_sgpr_kernarg_segment_ptr 1
		.amdhsa_user_sgpr_dispatch_id 0
		.amdhsa_user_sgpr_flat_scratch_init 1
		.amdhsa_user_sgpr_kernarg_preload_length 0
		.amdhsa_user_sgpr_kernarg_preload_offset 0
		.amdhsa_user_sgpr_private_segment_size 0
		.amdhsa_uses_dynamic_stack 0
		.amdhsa_system_sgpr_private_segment_wavefront_offset 1
		.amdhsa_system_sgpr_workgroup_id_x 1
		.amdhsa_system_sgpr_workgroup_id_y 0
		.amdhsa_system_sgpr_workgroup_id_z 0
		.amdhsa_system_sgpr_workgroup_info 0
		.amdhsa_system_vgpr_workitem_id 0
		.amdhsa_next_free_vgpr 41
		.amdhsa_next_free_sgpr 34
		.amdhsa_accum_offset 44
		.amdhsa_reserve_vcc 1
		.amdhsa_reserve_flat_scratch 1
		.amdhsa_float_round_mode_32 0
		.amdhsa_float_round_mode_16_64 0
		.amdhsa_float_denorm_mode_32 3
		.amdhsa_float_denorm_mode_16_64 3
		.amdhsa_dx10_clamp 1
		.amdhsa_ieee_mode 1
		.amdhsa_fp16_overflow 0
		.amdhsa_tg_split 0
		.amdhsa_exception_fp_ieee_invalid_op 0
		.amdhsa_exception_fp_denorm_src 0
		.amdhsa_exception_fp_ieee_div_zero 0
		.amdhsa_exception_fp_ieee_overflow 0
		.amdhsa_exception_fp_ieee_underflow 0
		.amdhsa_exception_fp_ieee_inexact 0
		.amdhsa_exception_int_div_zero 0
	.end_amdhsa_kernel
	.section	.text._ZL9mul_mat_fIfLi32ELi4ELi8ELb1EEvPKT_PKfPKiPfiiiiiiiiiiiiiiii,"axG",@progbits,_ZL9mul_mat_fIfLi32ELi4ELi8ELb1EEvPKT_PKfPKiPfiiiiiiiiiiiiiiii,comdat
.Lfunc_end25:
	.size	_ZL9mul_mat_fIfLi32ELi4ELi8ELb1EEvPKT_PKfPKiPfiiiiiiiiiiiiiiii, .Lfunc_end25-_ZL9mul_mat_fIfLi32ELi4ELi8ELb1EEvPKT_PKfPKiPfiiiiiiiiiiiiiiii
                                        ; -- End function
	.section	.AMDGPU.csdata,"",@progbits
; Kernel info:
; codeLenInByte = 88
; NumSgprs: 40
; NumVgprs: 41
; NumAgprs: 0
; TotalNumVgprs: 41
; ScratchSize: 16
; MemoryBound: 0
; FloatMode: 240
; IeeeMode: 1
; LDSByteSize: 0 bytes/workgroup (compile time only)
; SGPRBlocks: 4
; VGPRBlocks: 5
; NumSGPRsForWavesPerEU: 40
; NumVGPRsForWavesPerEU: 41
; AccumOffset: 44
; Occupancy: 8
; WaveLimiterHint : 1
; COMPUTE_PGM_RSRC2:SCRATCH_EN: 1
; COMPUTE_PGM_RSRC2:USER_SGPR: 8
; COMPUTE_PGM_RSRC2:TRAP_HANDLER: 0
; COMPUTE_PGM_RSRC2:TGID_X_EN: 1
; COMPUTE_PGM_RSRC2:TGID_Y_EN: 0
; COMPUTE_PGM_RSRC2:TGID_Z_EN: 0
; COMPUTE_PGM_RSRC2:TIDIG_COMP_CNT: 0
; COMPUTE_PGM_RSRC3_GFX90A:ACCUM_OFFSET: 10
; COMPUTE_PGM_RSRC3_GFX90A:TG_SPLIT: 0
	.section	.text._ZL9mul_mat_fIfLi32ELi4ELi8ELb0EEvPKT_PKfPKiPfiiiiiiiiiiiiiiii,"axG",@progbits,_ZL9mul_mat_fIfLi32ELi4ELi8ELb0EEvPKT_PKfPKiPfiiiiiiiiiiiiiiii,comdat
	.globl	_ZL9mul_mat_fIfLi32ELi4ELi8ELb0EEvPKT_PKfPKiPfiiiiiiiiiiiiiiii ; -- Begin function _ZL9mul_mat_fIfLi32ELi4ELi8ELb0EEvPKT_PKfPKiPfiiiiiiiiiiiiiiii
	.p2align	8
	.type	_ZL9mul_mat_fIfLi32ELi4ELi8ELb0EEvPKT_PKfPKiPfiiiiiiiiiiiiiiii,@function
_ZL9mul_mat_fIfLi32ELi4ELi8ELb0EEvPKT_PKfPKiPfiiiiiiiiiiiiiiii: ; @_ZL9mul_mat_fIfLi32ELi4ELi8ELb0EEvPKT_PKfPKiPfiiiiiiiiiiiiiiii
; %bb.0:
	s_add_u32 flat_scratch_lo, s6, s9
	s_addc_u32 flat_scratch_hi, s7, 0
	s_add_u32 s0, s0, s9
	s_addc_u32 s1, s1, 0
	s_add_u32 s8, s4, 0x60
	s_addc_u32 s9, s5, 0
	s_getpc_b64 s[4:5]
	s_add_u32 s4, s4, __FUNCTION__._ZL9mul_mat_fIfLi32ELi4ELi1ELb1EEvPKT_PKfPKiPfiiiiiiiiiiiiiiii@rel32@lo+4
	s_addc_u32 s5, s5, __FUNCTION__._ZL9mul_mat_fIfLi32ELi4ELi1ELb1EEvPKT_PKfPKiPfiiiiiiiiiiiiiiii@rel32@hi+12
	v_mov_b32_e32 v0, 64
	v_mov_b32_e32 v1, s4
	;; [unrolled: 1-line block ×3, first 2 shown]
	s_mov_b32 s32, 0
	s_getpc_b64 s[6:7]
	s_add_u32 s6, s6, _ZL14no_device_codePKciS0_iS0_@rel32@lo+4
	s_addc_u32 s7, s7, _ZL14no_device_codePKciS0_iS0_@rel32@hi+12
	s_swappc_b64 s[30:31], s[6:7]
	.section	.rodata,"a",@progbits
	.p2align	6, 0x0
	.amdhsa_kernel _ZL9mul_mat_fIfLi32ELi4ELi8ELb0EEvPKT_PKfPKiPfiiiiiiiiiiiiiiii
		.amdhsa_group_segment_fixed_size 0
		.amdhsa_private_segment_fixed_size 16
		.amdhsa_kernarg_size 352
		.amdhsa_user_sgpr_count 8
		.amdhsa_user_sgpr_private_segment_buffer 1
		.amdhsa_user_sgpr_dispatch_ptr 0
		.amdhsa_user_sgpr_queue_ptr 0
		.amdhsa_user_sgpr_kernarg_segment_ptr 1
		.amdhsa_user_sgpr_dispatch_id 0
		.amdhsa_user_sgpr_flat_scratch_init 1
		.amdhsa_user_sgpr_kernarg_preload_length 0
		.amdhsa_user_sgpr_kernarg_preload_offset 0
		.amdhsa_user_sgpr_private_segment_size 0
		.amdhsa_uses_dynamic_stack 0
		.amdhsa_system_sgpr_private_segment_wavefront_offset 1
		.amdhsa_system_sgpr_workgroup_id_x 1
		.amdhsa_system_sgpr_workgroup_id_y 0
		.amdhsa_system_sgpr_workgroup_id_z 0
		.amdhsa_system_sgpr_workgroup_info 0
		.amdhsa_system_vgpr_workitem_id 0
		.amdhsa_next_free_vgpr 41
		.amdhsa_next_free_sgpr 34
		.amdhsa_accum_offset 44
		.amdhsa_reserve_vcc 1
		.amdhsa_reserve_flat_scratch 1
		.amdhsa_float_round_mode_32 0
		.amdhsa_float_round_mode_16_64 0
		.amdhsa_float_denorm_mode_32 3
		.amdhsa_float_denorm_mode_16_64 3
		.amdhsa_dx10_clamp 1
		.amdhsa_ieee_mode 1
		.amdhsa_fp16_overflow 0
		.amdhsa_tg_split 0
		.amdhsa_exception_fp_ieee_invalid_op 0
		.amdhsa_exception_fp_denorm_src 0
		.amdhsa_exception_fp_ieee_div_zero 0
		.amdhsa_exception_fp_ieee_overflow 0
		.amdhsa_exception_fp_ieee_underflow 0
		.amdhsa_exception_fp_ieee_inexact 0
		.amdhsa_exception_int_div_zero 0
	.end_amdhsa_kernel
	.section	.text._ZL9mul_mat_fIfLi32ELi4ELi8ELb0EEvPKT_PKfPKiPfiiiiiiiiiiiiiiii,"axG",@progbits,_ZL9mul_mat_fIfLi32ELi4ELi8ELb0EEvPKT_PKfPKiPfiiiiiiiiiiiiiiii,comdat
.Lfunc_end26:
	.size	_ZL9mul_mat_fIfLi32ELi4ELi8ELb0EEvPKT_PKfPKiPfiiiiiiiiiiiiiiii, .Lfunc_end26-_ZL9mul_mat_fIfLi32ELi4ELi8ELb0EEvPKT_PKfPKiPfiiiiiiiiiiiiiiii
                                        ; -- End function
	.section	.AMDGPU.csdata,"",@progbits
; Kernel info:
; codeLenInByte = 88
; NumSgprs: 40
; NumVgprs: 41
; NumAgprs: 0
; TotalNumVgprs: 41
; ScratchSize: 16
; MemoryBound: 0
; FloatMode: 240
; IeeeMode: 1
; LDSByteSize: 0 bytes/workgroup (compile time only)
; SGPRBlocks: 4
; VGPRBlocks: 5
; NumSGPRsForWavesPerEU: 40
; NumVGPRsForWavesPerEU: 41
; AccumOffset: 44
; Occupancy: 8
; WaveLimiterHint : 1
; COMPUTE_PGM_RSRC2:SCRATCH_EN: 1
; COMPUTE_PGM_RSRC2:USER_SGPR: 8
; COMPUTE_PGM_RSRC2:TRAP_HANDLER: 0
; COMPUTE_PGM_RSRC2:TGID_X_EN: 1
; COMPUTE_PGM_RSRC2:TGID_Y_EN: 0
; COMPUTE_PGM_RSRC2:TGID_Z_EN: 0
; COMPUTE_PGM_RSRC2:TIDIG_COMP_CNT: 0
; COMPUTE_PGM_RSRC3_GFX90A:ACCUM_OFFSET: 10
; COMPUTE_PGM_RSRC3_GFX90A:TG_SPLIT: 0
	.section	.text._ZL13mul_mat_f_idsI7__half2Li32ELi4ELi1EEvPKT_PKfPKiS7_S7_Pfiiiiiiiiiiiiii15HIP_vector_typeIjLj3EESA_,"axG",@progbits,_ZL13mul_mat_f_idsI7__half2Li32ELi4ELi1EEvPKT_PKfPKiS7_S7_Pfiiiiiiiiiiiiii15HIP_vector_typeIjLj3EESA_,comdat
	.globl	_ZL13mul_mat_f_idsI7__half2Li32ELi4ELi1EEvPKT_PKfPKiS7_S7_Pfiiiiiiiiiiiiii15HIP_vector_typeIjLj3EESA_ ; -- Begin function _ZL13mul_mat_f_idsI7__half2Li32ELi4ELi1EEvPKT_PKfPKiS7_S7_Pfiiiiiiiiiiiiii15HIP_vector_typeIjLj3EESA_
	.p2align	8
	.type	_ZL13mul_mat_f_idsI7__half2Li32ELi4ELi1EEvPKT_PKfPKiS7_S7_Pfiiiiiiiiiiiiii15HIP_vector_typeIjLj3EESA_,@function
_ZL13mul_mat_f_idsI7__half2Li32ELi4ELi1EEvPKT_PKfPKiS7_S7_Pfiiiiiiiiiiiiii15HIP_vector_typeIjLj3EESA_: ; @_ZL13mul_mat_f_idsI7__half2Li32ELi4ELi1EEvPKT_PKfPKiS7_S7_Pfiiiiiiiiiiiiii15HIP_vector_typeIjLj3EESA_
; %bb.0:
	s_add_u32 flat_scratch_lo, s6, s9
	s_addc_u32 flat_scratch_hi, s7, 0
	s_add_u32 s0, s0, s9
	s_addc_u32 s1, s1, 0
	s_add_u32 s8, s4, 0x80
	s_addc_u32 s9, s5, 0
	s_getpc_b64 s[4:5]
	s_add_u32 s4, s4, __FUNCTION__._ZL13mul_mat_f_idsIfLi32ELi4ELi1EEvPKT_PKfPKiS6_S6_Pfiiiiiiiiiiiiii15HIP_vector_typeIjLj3EES9_@rel32@lo+4
	s_addc_u32 s5, s5, __FUNCTION__._ZL13mul_mat_f_idsIfLi32ELi4ELi1EEvPKT_PKfPKiS6_S6_Pfiiiiiiiiiiiiii15HIP_vector_typeIjLj3EES9_@rel32@hi+12
	v_mov_b32_e32 v0, 0x13b
	v_mov_b32_e32 v1, s4
	;; [unrolled: 1-line block ×3, first 2 shown]
	s_mov_b32 s32, 0
	s_getpc_b64 s[6:7]
	s_add_u32 s6, s6, _ZL14no_device_codePKciS0_iS0_@rel32@lo+4
	s_addc_u32 s7, s7, _ZL14no_device_codePKciS0_iS0_@rel32@hi+12
	s_swappc_b64 s[30:31], s[6:7]
	.section	.rodata,"a",@progbits
	.p2align	6, 0x0
	.amdhsa_kernel _ZL13mul_mat_f_idsI7__half2Li32ELi4ELi1EEvPKT_PKfPKiS7_S7_Pfiiiiiiiiiiiiii15HIP_vector_typeIjLj3EESA_
		.amdhsa_group_segment_fixed_size 0
		.amdhsa_private_segment_fixed_size 16
		.amdhsa_kernarg_size 384
		.amdhsa_user_sgpr_count 8
		.amdhsa_user_sgpr_private_segment_buffer 1
		.amdhsa_user_sgpr_dispatch_ptr 0
		.amdhsa_user_sgpr_queue_ptr 0
		.amdhsa_user_sgpr_kernarg_segment_ptr 1
		.amdhsa_user_sgpr_dispatch_id 0
		.amdhsa_user_sgpr_flat_scratch_init 1
		.amdhsa_user_sgpr_kernarg_preload_length 0
		.amdhsa_user_sgpr_kernarg_preload_offset 0
		.amdhsa_user_sgpr_private_segment_size 0
		.amdhsa_uses_dynamic_stack 0
		.amdhsa_system_sgpr_private_segment_wavefront_offset 1
		.amdhsa_system_sgpr_workgroup_id_x 1
		.amdhsa_system_sgpr_workgroup_id_y 0
		.amdhsa_system_sgpr_workgroup_id_z 0
		.amdhsa_system_sgpr_workgroup_info 0
		.amdhsa_system_vgpr_workitem_id 0
		.amdhsa_next_free_vgpr 41
		.amdhsa_next_free_sgpr 34
		.amdhsa_accum_offset 44
		.amdhsa_reserve_vcc 1
		.amdhsa_reserve_flat_scratch 1
		.amdhsa_float_round_mode_32 0
		.amdhsa_float_round_mode_16_64 0
		.amdhsa_float_denorm_mode_32 3
		.amdhsa_float_denorm_mode_16_64 3
		.amdhsa_dx10_clamp 1
		.amdhsa_ieee_mode 1
		.amdhsa_fp16_overflow 0
		.amdhsa_tg_split 0
		.amdhsa_exception_fp_ieee_invalid_op 0
		.amdhsa_exception_fp_denorm_src 0
		.amdhsa_exception_fp_ieee_div_zero 0
		.amdhsa_exception_fp_ieee_overflow 0
		.amdhsa_exception_fp_ieee_underflow 0
		.amdhsa_exception_fp_ieee_inexact 0
		.amdhsa_exception_int_div_zero 0
	.end_amdhsa_kernel
	.section	.text._ZL13mul_mat_f_idsI7__half2Li32ELi4ELi1EEvPKT_PKfPKiS7_S7_Pfiiiiiiiiiiiiii15HIP_vector_typeIjLj3EESA_,"axG",@progbits,_ZL13mul_mat_f_idsI7__half2Li32ELi4ELi1EEvPKT_PKfPKiS7_S7_Pfiiiiiiiiiiiiii15HIP_vector_typeIjLj3EESA_,comdat
.Lfunc_end27:
	.size	_ZL13mul_mat_f_idsI7__half2Li32ELi4ELi1EEvPKT_PKfPKiS7_S7_Pfiiiiiiiiiiiiii15HIP_vector_typeIjLj3EESA_, .Lfunc_end27-_ZL13mul_mat_f_idsI7__half2Li32ELi4ELi1EEvPKT_PKfPKiS7_S7_Pfiiiiiiiiiiiiii15HIP_vector_typeIjLj3EESA_
                                        ; -- End function
	.section	.AMDGPU.csdata,"",@progbits
; Kernel info:
; codeLenInByte = 92
; NumSgprs: 40
; NumVgprs: 41
; NumAgprs: 0
; TotalNumVgprs: 41
; ScratchSize: 16
; MemoryBound: 0
; FloatMode: 240
; IeeeMode: 1
; LDSByteSize: 0 bytes/workgroup (compile time only)
; SGPRBlocks: 4
; VGPRBlocks: 5
; NumSGPRsForWavesPerEU: 40
; NumVGPRsForWavesPerEU: 41
; AccumOffset: 44
; Occupancy: 8
; WaveLimiterHint : 1
; COMPUTE_PGM_RSRC2:SCRATCH_EN: 1
; COMPUTE_PGM_RSRC2:USER_SGPR: 8
; COMPUTE_PGM_RSRC2:TRAP_HANDLER: 0
; COMPUTE_PGM_RSRC2:TGID_X_EN: 1
; COMPUTE_PGM_RSRC2:TGID_Y_EN: 0
; COMPUTE_PGM_RSRC2:TGID_Z_EN: 0
; COMPUTE_PGM_RSRC2:TIDIG_COMP_CNT: 0
; COMPUTE_PGM_RSRC3_GFX90A:ACCUM_OFFSET: 10
; COMPUTE_PGM_RSRC3_GFX90A:TG_SPLIT: 0
	.section	.text._ZL9mul_mat_fI7__half2Li32ELi4ELi1ELb1EEvPKT_PKfPKiPfiiiiiiiiiiiiiiii,"axG",@progbits,_ZL9mul_mat_fI7__half2Li32ELi4ELi1ELb1EEvPKT_PKfPKiPfiiiiiiiiiiiiiiii,comdat
	.globl	_ZL9mul_mat_fI7__half2Li32ELi4ELi1ELb1EEvPKT_PKfPKiPfiiiiiiiiiiiiiiii ; -- Begin function _ZL9mul_mat_fI7__half2Li32ELi4ELi1ELb1EEvPKT_PKfPKiPfiiiiiiiiiiiiiiii
	.p2align	8
	.type	_ZL9mul_mat_fI7__half2Li32ELi4ELi1ELb1EEvPKT_PKfPKiPfiiiiiiiiiiiiiiii,@function
_ZL9mul_mat_fI7__half2Li32ELi4ELi1ELb1EEvPKT_PKfPKiPfiiiiiiiiiiiiiiii: ; @_ZL9mul_mat_fI7__half2Li32ELi4ELi1ELb1EEvPKT_PKfPKiPfiiiiiiiiiiiiiiii
; %bb.0:
	s_add_u32 flat_scratch_lo, s6, s9
	s_addc_u32 flat_scratch_hi, s7, 0
	s_add_u32 s0, s0, s9
	s_addc_u32 s1, s1, 0
	s_add_u32 s8, s4, 0x60
	s_addc_u32 s9, s5, 0
	s_getpc_b64 s[4:5]
	s_add_u32 s4, s4, __FUNCTION__._ZL9mul_mat_fIfLi32ELi4ELi1ELb1EEvPKT_PKfPKiPfiiiiiiiiiiiiiiii@rel32@lo+4
	s_addc_u32 s5, s5, __FUNCTION__._ZL9mul_mat_fIfLi32ELi4ELi1ELb1EEvPKT_PKfPKiPfiiiiiiiiiiiiiiii@rel32@hi+12
	v_mov_b32_e32 v0, 64
	v_mov_b32_e32 v1, s4
	;; [unrolled: 1-line block ×3, first 2 shown]
	s_mov_b32 s32, 0
	s_getpc_b64 s[6:7]
	s_add_u32 s6, s6, _ZL14no_device_codePKciS0_iS0_@rel32@lo+4
	s_addc_u32 s7, s7, _ZL14no_device_codePKciS0_iS0_@rel32@hi+12
	s_swappc_b64 s[30:31], s[6:7]
	.section	.rodata,"a",@progbits
	.p2align	6, 0x0
	.amdhsa_kernel _ZL9mul_mat_fI7__half2Li32ELi4ELi1ELb1EEvPKT_PKfPKiPfiiiiiiiiiiiiiiii
		.amdhsa_group_segment_fixed_size 0
		.amdhsa_private_segment_fixed_size 16
		.amdhsa_kernarg_size 352
		.amdhsa_user_sgpr_count 8
		.amdhsa_user_sgpr_private_segment_buffer 1
		.amdhsa_user_sgpr_dispatch_ptr 0
		.amdhsa_user_sgpr_queue_ptr 0
		.amdhsa_user_sgpr_kernarg_segment_ptr 1
		.amdhsa_user_sgpr_dispatch_id 0
		.amdhsa_user_sgpr_flat_scratch_init 1
		.amdhsa_user_sgpr_kernarg_preload_length 0
		.amdhsa_user_sgpr_kernarg_preload_offset 0
		.amdhsa_user_sgpr_private_segment_size 0
		.amdhsa_uses_dynamic_stack 0
		.amdhsa_system_sgpr_private_segment_wavefront_offset 1
		.amdhsa_system_sgpr_workgroup_id_x 1
		.amdhsa_system_sgpr_workgroup_id_y 0
		.amdhsa_system_sgpr_workgroup_id_z 0
		.amdhsa_system_sgpr_workgroup_info 0
		.amdhsa_system_vgpr_workitem_id 0
		.amdhsa_next_free_vgpr 41
		.amdhsa_next_free_sgpr 34
		.amdhsa_accum_offset 44
		.amdhsa_reserve_vcc 1
		.amdhsa_reserve_flat_scratch 1
		.amdhsa_float_round_mode_32 0
		.amdhsa_float_round_mode_16_64 0
		.amdhsa_float_denorm_mode_32 3
		.amdhsa_float_denorm_mode_16_64 3
		.amdhsa_dx10_clamp 1
		.amdhsa_ieee_mode 1
		.amdhsa_fp16_overflow 0
		.amdhsa_tg_split 0
		.amdhsa_exception_fp_ieee_invalid_op 0
		.amdhsa_exception_fp_denorm_src 0
		.amdhsa_exception_fp_ieee_div_zero 0
		.amdhsa_exception_fp_ieee_overflow 0
		.amdhsa_exception_fp_ieee_underflow 0
		.amdhsa_exception_fp_ieee_inexact 0
		.amdhsa_exception_int_div_zero 0
	.end_amdhsa_kernel
	.section	.text._ZL9mul_mat_fI7__half2Li32ELi4ELi1ELb1EEvPKT_PKfPKiPfiiiiiiiiiiiiiiii,"axG",@progbits,_ZL9mul_mat_fI7__half2Li32ELi4ELi1ELb1EEvPKT_PKfPKiPfiiiiiiiiiiiiiiii,comdat
.Lfunc_end28:
	.size	_ZL9mul_mat_fI7__half2Li32ELi4ELi1ELb1EEvPKT_PKfPKiPfiiiiiiiiiiiiiiii, .Lfunc_end28-_ZL9mul_mat_fI7__half2Li32ELi4ELi1ELb1EEvPKT_PKfPKiPfiiiiiiiiiiiiiiii
                                        ; -- End function
	.section	.AMDGPU.csdata,"",@progbits
; Kernel info:
; codeLenInByte = 88
; NumSgprs: 40
; NumVgprs: 41
; NumAgprs: 0
; TotalNumVgprs: 41
; ScratchSize: 16
; MemoryBound: 0
; FloatMode: 240
; IeeeMode: 1
; LDSByteSize: 0 bytes/workgroup (compile time only)
; SGPRBlocks: 4
; VGPRBlocks: 5
; NumSGPRsForWavesPerEU: 40
; NumVGPRsForWavesPerEU: 41
; AccumOffset: 44
; Occupancy: 8
; WaveLimiterHint : 1
; COMPUTE_PGM_RSRC2:SCRATCH_EN: 1
; COMPUTE_PGM_RSRC2:USER_SGPR: 8
; COMPUTE_PGM_RSRC2:TRAP_HANDLER: 0
; COMPUTE_PGM_RSRC2:TGID_X_EN: 1
; COMPUTE_PGM_RSRC2:TGID_Y_EN: 0
; COMPUTE_PGM_RSRC2:TGID_Z_EN: 0
; COMPUTE_PGM_RSRC2:TIDIG_COMP_CNT: 0
; COMPUTE_PGM_RSRC3_GFX90A:ACCUM_OFFSET: 10
; COMPUTE_PGM_RSRC3_GFX90A:TG_SPLIT: 0
	.section	.text._ZL9mul_mat_fI7__half2Li32ELi4ELi1ELb0EEvPKT_PKfPKiPfiiiiiiiiiiiiiiii,"axG",@progbits,_ZL9mul_mat_fI7__half2Li32ELi4ELi1ELb0EEvPKT_PKfPKiPfiiiiiiiiiiiiiiii,comdat
	.globl	_ZL9mul_mat_fI7__half2Li32ELi4ELi1ELb0EEvPKT_PKfPKiPfiiiiiiiiiiiiiiii ; -- Begin function _ZL9mul_mat_fI7__half2Li32ELi4ELi1ELb0EEvPKT_PKfPKiPfiiiiiiiiiiiiiiii
	.p2align	8
	.type	_ZL9mul_mat_fI7__half2Li32ELi4ELi1ELb0EEvPKT_PKfPKiPfiiiiiiiiiiiiiiii,@function
_ZL9mul_mat_fI7__half2Li32ELi4ELi1ELb0EEvPKT_PKfPKiPfiiiiiiiiiiiiiiii: ; @_ZL9mul_mat_fI7__half2Li32ELi4ELi1ELb0EEvPKT_PKfPKiPfiiiiiiiiiiiiiiii
; %bb.0:
	s_add_u32 flat_scratch_lo, s6, s9
	s_addc_u32 flat_scratch_hi, s7, 0
	s_add_u32 s0, s0, s9
	s_addc_u32 s1, s1, 0
	s_add_u32 s8, s4, 0x60
	s_addc_u32 s9, s5, 0
	s_getpc_b64 s[4:5]
	s_add_u32 s4, s4, __FUNCTION__._ZL9mul_mat_fIfLi32ELi4ELi1ELb1EEvPKT_PKfPKiPfiiiiiiiiiiiiiiii@rel32@lo+4
	s_addc_u32 s5, s5, __FUNCTION__._ZL9mul_mat_fIfLi32ELi4ELi1ELb1EEvPKT_PKfPKiPfiiiiiiiiiiiiiiii@rel32@hi+12
	v_mov_b32_e32 v0, 64
	v_mov_b32_e32 v1, s4
	v_mov_b32_e32 v2, s5
	s_mov_b32 s32, 0
	s_getpc_b64 s[6:7]
	s_add_u32 s6, s6, _ZL14no_device_codePKciS0_iS0_@rel32@lo+4
	s_addc_u32 s7, s7, _ZL14no_device_codePKciS0_iS0_@rel32@hi+12
	s_swappc_b64 s[30:31], s[6:7]
	.section	.rodata,"a",@progbits
	.p2align	6, 0x0
	.amdhsa_kernel _ZL9mul_mat_fI7__half2Li32ELi4ELi1ELb0EEvPKT_PKfPKiPfiiiiiiiiiiiiiiii
		.amdhsa_group_segment_fixed_size 0
		.amdhsa_private_segment_fixed_size 16
		.amdhsa_kernarg_size 352
		.amdhsa_user_sgpr_count 8
		.amdhsa_user_sgpr_private_segment_buffer 1
		.amdhsa_user_sgpr_dispatch_ptr 0
		.amdhsa_user_sgpr_queue_ptr 0
		.amdhsa_user_sgpr_kernarg_segment_ptr 1
		.amdhsa_user_sgpr_dispatch_id 0
		.amdhsa_user_sgpr_flat_scratch_init 1
		.amdhsa_user_sgpr_kernarg_preload_length 0
		.amdhsa_user_sgpr_kernarg_preload_offset 0
		.amdhsa_user_sgpr_private_segment_size 0
		.amdhsa_uses_dynamic_stack 0
		.amdhsa_system_sgpr_private_segment_wavefront_offset 1
		.amdhsa_system_sgpr_workgroup_id_x 1
		.amdhsa_system_sgpr_workgroup_id_y 0
		.amdhsa_system_sgpr_workgroup_id_z 0
		.amdhsa_system_sgpr_workgroup_info 0
		.amdhsa_system_vgpr_workitem_id 0
		.amdhsa_next_free_vgpr 41
		.amdhsa_next_free_sgpr 34
		.amdhsa_accum_offset 44
		.amdhsa_reserve_vcc 1
		.amdhsa_reserve_flat_scratch 1
		.amdhsa_float_round_mode_32 0
		.amdhsa_float_round_mode_16_64 0
		.amdhsa_float_denorm_mode_32 3
		.amdhsa_float_denorm_mode_16_64 3
		.amdhsa_dx10_clamp 1
		.amdhsa_ieee_mode 1
		.amdhsa_fp16_overflow 0
		.amdhsa_tg_split 0
		.amdhsa_exception_fp_ieee_invalid_op 0
		.amdhsa_exception_fp_denorm_src 0
		.amdhsa_exception_fp_ieee_div_zero 0
		.amdhsa_exception_fp_ieee_overflow 0
		.amdhsa_exception_fp_ieee_underflow 0
		.amdhsa_exception_fp_ieee_inexact 0
		.amdhsa_exception_int_div_zero 0
	.end_amdhsa_kernel
	.section	.text._ZL9mul_mat_fI7__half2Li32ELi4ELi1ELb0EEvPKT_PKfPKiPfiiiiiiiiiiiiiiii,"axG",@progbits,_ZL9mul_mat_fI7__half2Li32ELi4ELi1ELb0EEvPKT_PKfPKiPfiiiiiiiiiiiiiiii,comdat
.Lfunc_end29:
	.size	_ZL9mul_mat_fI7__half2Li32ELi4ELi1ELb0EEvPKT_PKfPKiPfiiiiiiiiiiiiiiii, .Lfunc_end29-_ZL9mul_mat_fI7__half2Li32ELi4ELi1ELb0EEvPKT_PKfPKiPfiiiiiiiiiiiiiiii
                                        ; -- End function
	.section	.AMDGPU.csdata,"",@progbits
; Kernel info:
; codeLenInByte = 88
; NumSgprs: 40
; NumVgprs: 41
; NumAgprs: 0
; TotalNumVgprs: 41
; ScratchSize: 16
; MemoryBound: 0
; FloatMode: 240
; IeeeMode: 1
; LDSByteSize: 0 bytes/workgroup (compile time only)
; SGPRBlocks: 4
; VGPRBlocks: 5
; NumSGPRsForWavesPerEU: 40
; NumVGPRsForWavesPerEU: 41
; AccumOffset: 44
; Occupancy: 8
; WaveLimiterHint : 1
; COMPUTE_PGM_RSRC2:SCRATCH_EN: 1
; COMPUTE_PGM_RSRC2:USER_SGPR: 8
; COMPUTE_PGM_RSRC2:TRAP_HANDLER: 0
; COMPUTE_PGM_RSRC2:TGID_X_EN: 1
; COMPUTE_PGM_RSRC2:TGID_Y_EN: 0
; COMPUTE_PGM_RSRC2:TGID_Z_EN: 0
; COMPUTE_PGM_RSRC2:TIDIG_COMP_CNT: 0
; COMPUTE_PGM_RSRC3_GFX90A:ACCUM_OFFSET: 10
; COMPUTE_PGM_RSRC3_GFX90A:TG_SPLIT: 0
	.section	.text._ZL13mul_mat_f_idsI7__half2Li32ELi4ELi2EEvPKT_PKfPKiS7_S7_Pfiiiiiiiiiiiiii15HIP_vector_typeIjLj3EESA_,"axG",@progbits,_ZL13mul_mat_f_idsI7__half2Li32ELi4ELi2EEvPKT_PKfPKiS7_S7_Pfiiiiiiiiiiiiii15HIP_vector_typeIjLj3EESA_,comdat
	.globl	_ZL13mul_mat_f_idsI7__half2Li32ELi4ELi2EEvPKT_PKfPKiS7_S7_Pfiiiiiiiiiiiiii15HIP_vector_typeIjLj3EESA_ ; -- Begin function _ZL13mul_mat_f_idsI7__half2Li32ELi4ELi2EEvPKT_PKfPKiS7_S7_Pfiiiiiiiiiiiiii15HIP_vector_typeIjLj3EESA_
	.p2align	8
	.type	_ZL13mul_mat_f_idsI7__half2Li32ELi4ELi2EEvPKT_PKfPKiS7_S7_Pfiiiiiiiiiiiiii15HIP_vector_typeIjLj3EESA_,@function
_ZL13mul_mat_f_idsI7__half2Li32ELi4ELi2EEvPKT_PKfPKiS7_S7_Pfiiiiiiiiiiiiii15HIP_vector_typeIjLj3EESA_: ; @_ZL13mul_mat_f_idsI7__half2Li32ELi4ELi2EEvPKT_PKfPKiS7_S7_Pfiiiiiiiiiiiiii15HIP_vector_typeIjLj3EESA_
; %bb.0:
	s_add_u32 flat_scratch_lo, s6, s9
	s_addc_u32 flat_scratch_hi, s7, 0
	s_add_u32 s0, s0, s9
	s_addc_u32 s1, s1, 0
	s_add_u32 s8, s4, 0x80
	s_addc_u32 s9, s5, 0
	s_getpc_b64 s[4:5]
	s_add_u32 s4, s4, __FUNCTION__._ZL13mul_mat_f_idsIfLi32ELi4ELi1EEvPKT_PKfPKiS6_S6_Pfiiiiiiiiiiiiii15HIP_vector_typeIjLj3EES9_@rel32@lo+4
	s_addc_u32 s5, s5, __FUNCTION__._ZL13mul_mat_f_idsIfLi32ELi4ELi1EEvPKT_PKfPKiS6_S6_Pfiiiiiiiiiiiiii15HIP_vector_typeIjLj3EES9_@rel32@hi+12
	v_mov_b32_e32 v0, 0x13b
	v_mov_b32_e32 v1, s4
	;; [unrolled: 1-line block ×3, first 2 shown]
	s_mov_b32 s32, 0
	s_getpc_b64 s[6:7]
	s_add_u32 s6, s6, _ZL14no_device_codePKciS0_iS0_@rel32@lo+4
	s_addc_u32 s7, s7, _ZL14no_device_codePKciS0_iS0_@rel32@hi+12
	s_swappc_b64 s[30:31], s[6:7]
	.section	.rodata,"a",@progbits
	.p2align	6, 0x0
	.amdhsa_kernel _ZL13mul_mat_f_idsI7__half2Li32ELi4ELi2EEvPKT_PKfPKiS7_S7_Pfiiiiiiiiiiiiii15HIP_vector_typeIjLj3EESA_
		.amdhsa_group_segment_fixed_size 0
		.amdhsa_private_segment_fixed_size 16
		.amdhsa_kernarg_size 384
		.amdhsa_user_sgpr_count 8
		.amdhsa_user_sgpr_private_segment_buffer 1
		.amdhsa_user_sgpr_dispatch_ptr 0
		.amdhsa_user_sgpr_queue_ptr 0
		.amdhsa_user_sgpr_kernarg_segment_ptr 1
		.amdhsa_user_sgpr_dispatch_id 0
		.amdhsa_user_sgpr_flat_scratch_init 1
		.amdhsa_user_sgpr_kernarg_preload_length 0
		.amdhsa_user_sgpr_kernarg_preload_offset 0
		.amdhsa_user_sgpr_private_segment_size 0
		.amdhsa_uses_dynamic_stack 0
		.amdhsa_system_sgpr_private_segment_wavefront_offset 1
		.amdhsa_system_sgpr_workgroup_id_x 1
		.amdhsa_system_sgpr_workgroup_id_y 0
		.amdhsa_system_sgpr_workgroup_id_z 0
		.amdhsa_system_sgpr_workgroup_info 0
		.amdhsa_system_vgpr_workitem_id 0
		.amdhsa_next_free_vgpr 41
		.amdhsa_next_free_sgpr 34
		.amdhsa_accum_offset 44
		.amdhsa_reserve_vcc 1
		.amdhsa_reserve_flat_scratch 1
		.amdhsa_float_round_mode_32 0
		.amdhsa_float_round_mode_16_64 0
		.amdhsa_float_denorm_mode_32 3
		.amdhsa_float_denorm_mode_16_64 3
		.amdhsa_dx10_clamp 1
		.amdhsa_ieee_mode 1
		.amdhsa_fp16_overflow 0
		.amdhsa_tg_split 0
		.amdhsa_exception_fp_ieee_invalid_op 0
		.amdhsa_exception_fp_denorm_src 0
		.amdhsa_exception_fp_ieee_div_zero 0
		.amdhsa_exception_fp_ieee_overflow 0
		.amdhsa_exception_fp_ieee_underflow 0
		.amdhsa_exception_fp_ieee_inexact 0
		.amdhsa_exception_int_div_zero 0
	.end_amdhsa_kernel
	.section	.text._ZL13mul_mat_f_idsI7__half2Li32ELi4ELi2EEvPKT_PKfPKiS7_S7_Pfiiiiiiiiiiiiii15HIP_vector_typeIjLj3EESA_,"axG",@progbits,_ZL13mul_mat_f_idsI7__half2Li32ELi4ELi2EEvPKT_PKfPKiS7_S7_Pfiiiiiiiiiiiiii15HIP_vector_typeIjLj3EESA_,comdat
.Lfunc_end30:
	.size	_ZL13mul_mat_f_idsI7__half2Li32ELi4ELi2EEvPKT_PKfPKiS7_S7_Pfiiiiiiiiiiiiii15HIP_vector_typeIjLj3EESA_, .Lfunc_end30-_ZL13mul_mat_f_idsI7__half2Li32ELi4ELi2EEvPKT_PKfPKiS7_S7_Pfiiiiiiiiiiiiii15HIP_vector_typeIjLj3EESA_
                                        ; -- End function
	.section	.AMDGPU.csdata,"",@progbits
; Kernel info:
; codeLenInByte = 92
; NumSgprs: 40
; NumVgprs: 41
; NumAgprs: 0
; TotalNumVgprs: 41
; ScratchSize: 16
; MemoryBound: 0
; FloatMode: 240
; IeeeMode: 1
; LDSByteSize: 0 bytes/workgroup (compile time only)
; SGPRBlocks: 4
; VGPRBlocks: 5
; NumSGPRsForWavesPerEU: 40
; NumVGPRsForWavesPerEU: 41
; AccumOffset: 44
; Occupancy: 8
; WaveLimiterHint : 1
; COMPUTE_PGM_RSRC2:SCRATCH_EN: 1
; COMPUTE_PGM_RSRC2:USER_SGPR: 8
; COMPUTE_PGM_RSRC2:TRAP_HANDLER: 0
; COMPUTE_PGM_RSRC2:TGID_X_EN: 1
; COMPUTE_PGM_RSRC2:TGID_Y_EN: 0
; COMPUTE_PGM_RSRC2:TGID_Z_EN: 0
; COMPUTE_PGM_RSRC2:TIDIG_COMP_CNT: 0
; COMPUTE_PGM_RSRC3_GFX90A:ACCUM_OFFSET: 10
; COMPUTE_PGM_RSRC3_GFX90A:TG_SPLIT: 0
	.section	.text._ZL9mul_mat_fI7__half2Li32ELi4ELi2ELb1EEvPKT_PKfPKiPfiiiiiiiiiiiiiiii,"axG",@progbits,_ZL9mul_mat_fI7__half2Li32ELi4ELi2ELb1EEvPKT_PKfPKiPfiiiiiiiiiiiiiiii,comdat
	.globl	_ZL9mul_mat_fI7__half2Li32ELi4ELi2ELb1EEvPKT_PKfPKiPfiiiiiiiiiiiiiiii ; -- Begin function _ZL9mul_mat_fI7__half2Li32ELi4ELi2ELb1EEvPKT_PKfPKiPfiiiiiiiiiiiiiiii
	.p2align	8
	.type	_ZL9mul_mat_fI7__half2Li32ELi4ELi2ELb1EEvPKT_PKfPKiPfiiiiiiiiiiiiiiii,@function
_ZL9mul_mat_fI7__half2Li32ELi4ELi2ELb1EEvPKT_PKfPKiPfiiiiiiiiiiiiiiii: ; @_ZL9mul_mat_fI7__half2Li32ELi4ELi2ELb1EEvPKT_PKfPKiPfiiiiiiiiiiiiiiii
; %bb.0:
	s_add_u32 flat_scratch_lo, s6, s9
	s_addc_u32 flat_scratch_hi, s7, 0
	s_add_u32 s0, s0, s9
	s_addc_u32 s1, s1, 0
	s_add_u32 s8, s4, 0x60
	s_addc_u32 s9, s5, 0
	s_getpc_b64 s[4:5]
	s_add_u32 s4, s4, __FUNCTION__._ZL9mul_mat_fIfLi32ELi4ELi1ELb1EEvPKT_PKfPKiPfiiiiiiiiiiiiiiii@rel32@lo+4
	s_addc_u32 s5, s5, __FUNCTION__._ZL9mul_mat_fIfLi32ELi4ELi1ELb1EEvPKT_PKfPKiPfiiiiiiiiiiiiiiii@rel32@hi+12
	v_mov_b32_e32 v0, 64
	v_mov_b32_e32 v1, s4
	;; [unrolled: 1-line block ×3, first 2 shown]
	s_mov_b32 s32, 0
	s_getpc_b64 s[6:7]
	s_add_u32 s6, s6, _ZL14no_device_codePKciS0_iS0_@rel32@lo+4
	s_addc_u32 s7, s7, _ZL14no_device_codePKciS0_iS0_@rel32@hi+12
	s_swappc_b64 s[30:31], s[6:7]
	.section	.rodata,"a",@progbits
	.p2align	6, 0x0
	.amdhsa_kernel _ZL9mul_mat_fI7__half2Li32ELi4ELi2ELb1EEvPKT_PKfPKiPfiiiiiiiiiiiiiiii
		.amdhsa_group_segment_fixed_size 0
		.amdhsa_private_segment_fixed_size 16
		.amdhsa_kernarg_size 352
		.amdhsa_user_sgpr_count 8
		.amdhsa_user_sgpr_private_segment_buffer 1
		.amdhsa_user_sgpr_dispatch_ptr 0
		.amdhsa_user_sgpr_queue_ptr 0
		.amdhsa_user_sgpr_kernarg_segment_ptr 1
		.amdhsa_user_sgpr_dispatch_id 0
		.amdhsa_user_sgpr_flat_scratch_init 1
		.amdhsa_user_sgpr_kernarg_preload_length 0
		.amdhsa_user_sgpr_kernarg_preload_offset 0
		.amdhsa_user_sgpr_private_segment_size 0
		.amdhsa_uses_dynamic_stack 0
		.amdhsa_system_sgpr_private_segment_wavefront_offset 1
		.amdhsa_system_sgpr_workgroup_id_x 1
		.amdhsa_system_sgpr_workgroup_id_y 0
		.amdhsa_system_sgpr_workgroup_id_z 0
		.amdhsa_system_sgpr_workgroup_info 0
		.amdhsa_system_vgpr_workitem_id 0
		.amdhsa_next_free_vgpr 41
		.amdhsa_next_free_sgpr 34
		.amdhsa_accum_offset 44
		.amdhsa_reserve_vcc 1
		.amdhsa_reserve_flat_scratch 1
		.amdhsa_float_round_mode_32 0
		.amdhsa_float_round_mode_16_64 0
		.amdhsa_float_denorm_mode_32 3
		.amdhsa_float_denorm_mode_16_64 3
		.amdhsa_dx10_clamp 1
		.amdhsa_ieee_mode 1
		.amdhsa_fp16_overflow 0
		.amdhsa_tg_split 0
		.amdhsa_exception_fp_ieee_invalid_op 0
		.amdhsa_exception_fp_denorm_src 0
		.amdhsa_exception_fp_ieee_div_zero 0
		.amdhsa_exception_fp_ieee_overflow 0
		.amdhsa_exception_fp_ieee_underflow 0
		.amdhsa_exception_fp_ieee_inexact 0
		.amdhsa_exception_int_div_zero 0
	.end_amdhsa_kernel
	.section	.text._ZL9mul_mat_fI7__half2Li32ELi4ELi2ELb1EEvPKT_PKfPKiPfiiiiiiiiiiiiiiii,"axG",@progbits,_ZL9mul_mat_fI7__half2Li32ELi4ELi2ELb1EEvPKT_PKfPKiPfiiiiiiiiiiiiiiii,comdat
.Lfunc_end31:
	.size	_ZL9mul_mat_fI7__half2Li32ELi4ELi2ELb1EEvPKT_PKfPKiPfiiiiiiiiiiiiiiii, .Lfunc_end31-_ZL9mul_mat_fI7__half2Li32ELi4ELi2ELb1EEvPKT_PKfPKiPfiiiiiiiiiiiiiiii
                                        ; -- End function
	.section	.AMDGPU.csdata,"",@progbits
; Kernel info:
; codeLenInByte = 88
; NumSgprs: 40
; NumVgprs: 41
; NumAgprs: 0
; TotalNumVgprs: 41
; ScratchSize: 16
; MemoryBound: 0
; FloatMode: 240
; IeeeMode: 1
; LDSByteSize: 0 bytes/workgroup (compile time only)
; SGPRBlocks: 4
; VGPRBlocks: 5
; NumSGPRsForWavesPerEU: 40
; NumVGPRsForWavesPerEU: 41
; AccumOffset: 44
; Occupancy: 8
; WaveLimiterHint : 1
; COMPUTE_PGM_RSRC2:SCRATCH_EN: 1
; COMPUTE_PGM_RSRC2:USER_SGPR: 8
; COMPUTE_PGM_RSRC2:TRAP_HANDLER: 0
; COMPUTE_PGM_RSRC2:TGID_X_EN: 1
; COMPUTE_PGM_RSRC2:TGID_Y_EN: 0
; COMPUTE_PGM_RSRC2:TGID_Z_EN: 0
; COMPUTE_PGM_RSRC2:TIDIG_COMP_CNT: 0
; COMPUTE_PGM_RSRC3_GFX90A:ACCUM_OFFSET: 10
; COMPUTE_PGM_RSRC3_GFX90A:TG_SPLIT: 0
	.section	.text._ZL9mul_mat_fI7__half2Li32ELi4ELi2ELb0EEvPKT_PKfPKiPfiiiiiiiiiiiiiiii,"axG",@progbits,_ZL9mul_mat_fI7__half2Li32ELi4ELi2ELb0EEvPKT_PKfPKiPfiiiiiiiiiiiiiiii,comdat
	.globl	_ZL9mul_mat_fI7__half2Li32ELi4ELi2ELb0EEvPKT_PKfPKiPfiiiiiiiiiiiiiiii ; -- Begin function _ZL9mul_mat_fI7__half2Li32ELi4ELi2ELb0EEvPKT_PKfPKiPfiiiiiiiiiiiiiiii
	.p2align	8
	.type	_ZL9mul_mat_fI7__half2Li32ELi4ELi2ELb0EEvPKT_PKfPKiPfiiiiiiiiiiiiiiii,@function
_ZL9mul_mat_fI7__half2Li32ELi4ELi2ELb0EEvPKT_PKfPKiPfiiiiiiiiiiiiiiii: ; @_ZL9mul_mat_fI7__half2Li32ELi4ELi2ELb0EEvPKT_PKfPKiPfiiiiiiiiiiiiiiii
; %bb.0:
	s_add_u32 flat_scratch_lo, s6, s9
	s_addc_u32 flat_scratch_hi, s7, 0
	s_add_u32 s0, s0, s9
	s_addc_u32 s1, s1, 0
	s_add_u32 s8, s4, 0x60
	s_addc_u32 s9, s5, 0
	s_getpc_b64 s[4:5]
	s_add_u32 s4, s4, __FUNCTION__._ZL9mul_mat_fIfLi32ELi4ELi1ELb1EEvPKT_PKfPKiPfiiiiiiiiiiiiiiii@rel32@lo+4
	s_addc_u32 s5, s5, __FUNCTION__._ZL9mul_mat_fIfLi32ELi4ELi1ELb1EEvPKT_PKfPKiPfiiiiiiiiiiiiiiii@rel32@hi+12
	v_mov_b32_e32 v0, 64
	v_mov_b32_e32 v1, s4
	;; [unrolled: 1-line block ×3, first 2 shown]
	s_mov_b32 s32, 0
	s_getpc_b64 s[6:7]
	s_add_u32 s6, s6, _ZL14no_device_codePKciS0_iS0_@rel32@lo+4
	s_addc_u32 s7, s7, _ZL14no_device_codePKciS0_iS0_@rel32@hi+12
	s_swappc_b64 s[30:31], s[6:7]
	.section	.rodata,"a",@progbits
	.p2align	6, 0x0
	.amdhsa_kernel _ZL9mul_mat_fI7__half2Li32ELi4ELi2ELb0EEvPKT_PKfPKiPfiiiiiiiiiiiiiiii
		.amdhsa_group_segment_fixed_size 0
		.amdhsa_private_segment_fixed_size 16
		.amdhsa_kernarg_size 352
		.amdhsa_user_sgpr_count 8
		.amdhsa_user_sgpr_private_segment_buffer 1
		.amdhsa_user_sgpr_dispatch_ptr 0
		.amdhsa_user_sgpr_queue_ptr 0
		.amdhsa_user_sgpr_kernarg_segment_ptr 1
		.amdhsa_user_sgpr_dispatch_id 0
		.amdhsa_user_sgpr_flat_scratch_init 1
		.amdhsa_user_sgpr_kernarg_preload_length 0
		.amdhsa_user_sgpr_kernarg_preload_offset 0
		.amdhsa_user_sgpr_private_segment_size 0
		.amdhsa_uses_dynamic_stack 0
		.amdhsa_system_sgpr_private_segment_wavefront_offset 1
		.amdhsa_system_sgpr_workgroup_id_x 1
		.amdhsa_system_sgpr_workgroup_id_y 0
		.amdhsa_system_sgpr_workgroup_id_z 0
		.amdhsa_system_sgpr_workgroup_info 0
		.amdhsa_system_vgpr_workitem_id 0
		.amdhsa_next_free_vgpr 41
		.amdhsa_next_free_sgpr 34
		.amdhsa_accum_offset 44
		.amdhsa_reserve_vcc 1
		.amdhsa_reserve_flat_scratch 1
		.amdhsa_float_round_mode_32 0
		.amdhsa_float_round_mode_16_64 0
		.amdhsa_float_denorm_mode_32 3
		.amdhsa_float_denorm_mode_16_64 3
		.amdhsa_dx10_clamp 1
		.amdhsa_ieee_mode 1
		.amdhsa_fp16_overflow 0
		.amdhsa_tg_split 0
		.amdhsa_exception_fp_ieee_invalid_op 0
		.amdhsa_exception_fp_denorm_src 0
		.amdhsa_exception_fp_ieee_div_zero 0
		.amdhsa_exception_fp_ieee_overflow 0
		.amdhsa_exception_fp_ieee_underflow 0
		.amdhsa_exception_fp_ieee_inexact 0
		.amdhsa_exception_int_div_zero 0
	.end_amdhsa_kernel
	.section	.text._ZL9mul_mat_fI7__half2Li32ELi4ELi2ELb0EEvPKT_PKfPKiPfiiiiiiiiiiiiiiii,"axG",@progbits,_ZL9mul_mat_fI7__half2Li32ELi4ELi2ELb0EEvPKT_PKfPKiPfiiiiiiiiiiiiiiii,comdat
.Lfunc_end32:
	.size	_ZL9mul_mat_fI7__half2Li32ELi4ELi2ELb0EEvPKT_PKfPKiPfiiiiiiiiiiiiiiii, .Lfunc_end32-_ZL9mul_mat_fI7__half2Li32ELi4ELi2ELb0EEvPKT_PKfPKiPfiiiiiiiiiiiiiiii
                                        ; -- End function
	.section	.AMDGPU.csdata,"",@progbits
; Kernel info:
; codeLenInByte = 88
; NumSgprs: 40
; NumVgprs: 41
; NumAgprs: 0
; TotalNumVgprs: 41
; ScratchSize: 16
; MemoryBound: 0
; FloatMode: 240
; IeeeMode: 1
; LDSByteSize: 0 bytes/workgroup (compile time only)
; SGPRBlocks: 4
; VGPRBlocks: 5
; NumSGPRsForWavesPerEU: 40
; NumVGPRsForWavesPerEU: 41
; AccumOffset: 44
; Occupancy: 8
; WaveLimiterHint : 1
; COMPUTE_PGM_RSRC2:SCRATCH_EN: 1
; COMPUTE_PGM_RSRC2:USER_SGPR: 8
; COMPUTE_PGM_RSRC2:TRAP_HANDLER: 0
; COMPUTE_PGM_RSRC2:TGID_X_EN: 1
; COMPUTE_PGM_RSRC2:TGID_Y_EN: 0
; COMPUTE_PGM_RSRC2:TGID_Z_EN: 0
; COMPUTE_PGM_RSRC2:TIDIG_COMP_CNT: 0
; COMPUTE_PGM_RSRC3_GFX90A:ACCUM_OFFSET: 10
; COMPUTE_PGM_RSRC3_GFX90A:TG_SPLIT: 0
	.section	.text._ZL13mul_mat_f_idsI7__half2Li32ELi4ELi3EEvPKT_PKfPKiS7_S7_Pfiiiiiiiiiiiiii15HIP_vector_typeIjLj3EESA_,"axG",@progbits,_ZL13mul_mat_f_idsI7__half2Li32ELi4ELi3EEvPKT_PKfPKiS7_S7_Pfiiiiiiiiiiiiii15HIP_vector_typeIjLj3EESA_,comdat
	.globl	_ZL13mul_mat_f_idsI7__half2Li32ELi4ELi3EEvPKT_PKfPKiS7_S7_Pfiiiiiiiiiiiiii15HIP_vector_typeIjLj3EESA_ ; -- Begin function _ZL13mul_mat_f_idsI7__half2Li32ELi4ELi3EEvPKT_PKfPKiS7_S7_Pfiiiiiiiiiiiiii15HIP_vector_typeIjLj3EESA_
	.p2align	8
	.type	_ZL13mul_mat_f_idsI7__half2Li32ELi4ELi3EEvPKT_PKfPKiS7_S7_Pfiiiiiiiiiiiiii15HIP_vector_typeIjLj3EESA_,@function
_ZL13mul_mat_f_idsI7__half2Li32ELi4ELi3EEvPKT_PKfPKiS7_S7_Pfiiiiiiiiiiiiii15HIP_vector_typeIjLj3EESA_: ; @_ZL13mul_mat_f_idsI7__half2Li32ELi4ELi3EEvPKT_PKfPKiS7_S7_Pfiiiiiiiiiiiiii15HIP_vector_typeIjLj3EESA_
; %bb.0:
	s_add_u32 flat_scratch_lo, s6, s9
	s_addc_u32 flat_scratch_hi, s7, 0
	s_add_u32 s0, s0, s9
	s_addc_u32 s1, s1, 0
	s_add_u32 s8, s4, 0x80
	s_addc_u32 s9, s5, 0
	s_getpc_b64 s[4:5]
	s_add_u32 s4, s4, __FUNCTION__._ZL13mul_mat_f_idsIfLi32ELi4ELi1EEvPKT_PKfPKiS6_S6_Pfiiiiiiiiiiiiii15HIP_vector_typeIjLj3EES9_@rel32@lo+4
	s_addc_u32 s5, s5, __FUNCTION__._ZL13mul_mat_f_idsIfLi32ELi4ELi1EEvPKT_PKfPKiS6_S6_Pfiiiiiiiiiiiiii15HIP_vector_typeIjLj3EES9_@rel32@hi+12
	v_mov_b32_e32 v0, 0x13b
	v_mov_b32_e32 v1, s4
	;; [unrolled: 1-line block ×3, first 2 shown]
	s_mov_b32 s32, 0
	s_getpc_b64 s[6:7]
	s_add_u32 s6, s6, _ZL14no_device_codePKciS0_iS0_@rel32@lo+4
	s_addc_u32 s7, s7, _ZL14no_device_codePKciS0_iS0_@rel32@hi+12
	s_swappc_b64 s[30:31], s[6:7]
	.section	.rodata,"a",@progbits
	.p2align	6, 0x0
	.amdhsa_kernel _ZL13mul_mat_f_idsI7__half2Li32ELi4ELi3EEvPKT_PKfPKiS7_S7_Pfiiiiiiiiiiiiii15HIP_vector_typeIjLj3EESA_
		.amdhsa_group_segment_fixed_size 0
		.amdhsa_private_segment_fixed_size 16
		.amdhsa_kernarg_size 384
		.amdhsa_user_sgpr_count 8
		.amdhsa_user_sgpr_private_segment_buffer 1
		.amdhsa_user_sgpr_dispatch_ptr 0
		.amdhsa_user_sgpr_queue_ptr 0
		.amdhsa_user_sgpr_kernarg_segment_ptr 1
		.amdhsa_user_sgpr_dispatch_id 0
		.amdhsa_user_sgpr_flat_scratch_init 1
		.amdhsa_user_sgpr_kernarg_preload_length 0
		.amdhsa_user_sgpr_kernarg_preload_offset 0
		.amdhsa_user_sgpr_private_segment_size 0
		.amdhsa_uses_dynamic_stack 0
		.amdhsa_system_sgpr_private_segment_wavefront_offset 1
		.amdhsa_system_sgpr_workgroup_id_x 1
		.amdhsa_system_sgpr_workgroup_id_y 0
		.amdhsa_system_sgpr_workgroup_id_z 0
		.amdhsa_system_sgpr_workgroup_info 0
		.amdhsa_system_vgpr_workitem_id 0
		.amdhsa_next_free_vgpr 41
		.amdhsa_next_free_sgpr 34
		.amdhsa_accum_offset 44
		.amdhsa_reserve_vcc 1
		.amdhsa_reserve_flat_scratch 1
		.amdhsa_float_round_mode_32 0
		.amdhsa_float_round_mode_16_64 0
		.amdhsa_float_denorm_mode_32 3
		.amdhsa_float_denorm_mode_16_64 3
		.amdhsa_dx10_clamp 1
		.amdhsa_ieee_mode 1
		.amdhsa_fp16_overflow 0
		.amdhsa_tg_split 0
		.amdhsa_exception_fp_ieee_invalid_op 0
		.amdhsa_exception_fp_denorm_src 0
		.amdhsa_exception_fp_ieee_div_zero 0
		.amdhsa_exception_fp_ieee_overflow 0
		.amdhsa_exception_fp_ieee_underflow 0
		.amdhsa_exception_fp_ieee_inexact 0
		.amdhsa_exception_int_div_zero 0
	.end_amdhsa_kernel
	.section	.text._ZL13mul_mat_f_idsI7__half2Li32ELi4ELi3EEvPKT_PKfPKiS7_S7_Pfiiiiiiiiiiiiii15HIP_vector_typeIjLj3EESA_,"axG",@progbits,_ZL13mul_mat_f_idsI7__half2Li32ELi4ELi3EEvPKT_PKfPKiS7_S7_Pfiiiiiiiiiiiiii15HIP_vector_typeIjLj3EESA_,comdat
.Lfunc_end33:
	.size	_ZL13mul_mat_f_idsI7__half2Li32ELi4ELi3EEvPKT_PKfPKiS7_S7_Pfiiiiiiiiiiiiii15HIP_vector_typeIjLj3EESA_, .Lfunc_end33-_ZL13mul_mat_f_idsI7__half2Li32ELi4ELi3EEvPKT_PKfPKiS7_S7_Pfiiiiiiiiiiiiii15HIP_vector_typeIjLj3EESA_
                                        ; -- End function
	.section	.AMDGPU.csdata,"",@progbits
; Kernel info:
; codeLenInByte = 92
; NumSgprs: 40
; NumVgprs: 41
; NumAgprs: 0
; TotalNumVgprs: 41
; ScratchSize: 16
; MemoryBound: 0
; FloatMode: 240
; IeeeMode: 1
; LDSByteSize: 0 bytes/workgroup (compile time only)
; SGPRBlocks: 4
; VGPRBlocks: 5
; NumSGPRsForWavesPerEU: 40
; NumVGPRsForWavesPerEU: 41
; AccumOffset: 44
; Occupancy: 8
; WaveLimiterHint : 1
; COMPUTE_PGM_RSRC2:SCRATCH_EN: 1
; COMPUTE_PGM_RSRC2:USER_SGPR: 8
; COMPUTE_PGM_RSRC2:TRAP_HANDLER: 0
; COMPUTE_PGM_RSRC2:TGID_X_EN: 1
; COMPUTE_PGM_RSRC2:TGID_Y_EN: 0
; COMPUTE_PGM_RSRC2:TGID_Z_EN: 0
; COMPUTE_PGM_RSRC2:TIDIG_COMP_CNT: 0
; COMPUTE_PGM_RSRC3_GFX90A:ACCUM_OFFSET: 10
; COMPUTE_PGM_RSRC3_GFX90A:TG_SPLIT: 0
	.section	.text._ZL9mul_mat_fI7__half2Li32ELi4ELi3ELb1EEvPKT_PKfPKiPfiiiiiiiiiiiiiiii,"axG",@progbits,_ZL9mul_mat_fI7__half2Li32ELi4ELi3ELb1EEvPKT_PKfPKiPfiiiiiiiiiiiiiiii,comdat
	.globl	_ZL9mul_mat_fI7__half2Li32ELi4ELi3ELb1EEvPKT_PKfPKiPfiiiiiiiiiiiiiiii ; -- Begin function _ZL9mul_mat_fI7__half2Li32ELi4ELi3ELb1EEvPKT_PKfPKiPfiiiiiiiiiiiiiiii
	.p2align	8
	.type	_ZL9mul_mat_fI7__half2Li32ELi4ELi3ELb1EEvPKT_PKfPKiPfiiiiiiiiiiiiiiii,@function
_ZL9mul_mat_fI7__half2Li32ELi4ELi3ELb1EEvPKT_PKfPKiPfiiiiiiiiiiiiiiii: ; @_ZL9mul_mat_fI7__half2Li32ELi4ELi3ELb1EEvPKT_PKfPKiPfiiiiiiiiiiiiiiii
; %bb.0:
	s_add_u32 flat_scratch_lo, s6, s9
	s_addc_u32 flat_scratch_hi, s7, 0
	s_add_u32 s0, s0, s9
	s_addc_u32 s1, s1, 0
	s_add_u32 s8, s4, 0x60
	s_addc_u32 s9, s5, 0
	s_getpc_b64 s[4:5]
	s_add_u32 s4, s4, __FUNCTION__._ZL9mul_mat_fIfLi32ELi4ELi1ELb1EEvPKT_PKfPKiPfiiiiiiiiiiiiiiii@rel32@lo+4
	s_addc_u32 s5, s5, __FUNCTION__._ZL9mul_mat_fIfLi32ELi4ELi1ELb1EEvPKT_PKfPKiPfiiiiiiiiiiiiiiii@rel32@hi+12
	v_mov_b32_e32 v0, 64
	v_mov_b32_e32 v1, s4
	v_mov_b32_e32 v2, s5
	s_mov_b32 s32, 0
	s_getpc_b64 s[6:7]
	s_add_u32 s6, s6, _ZL14no_device_codePKciS0_iS0_@rel32@lo+4
	s_addc_u32 s7, s7, _ZL14no_device_codePKciS0_iS0_@rel32@hi+12
	s_swappc_b64 s[30:31], s[6:7]
	.section	.rodata,"a",@progbits
	.p2align	6, 0x0
	.amdhsa_kernel _ZL9mul_mat_fI7__half2Li32ELi4ELi3ELb1EEvPKT_PKfPKiPfiiiiiiiiiiiiiiii
		.amdhsa_group_segment_fixed_size 0
		.amdhsa_private_segment_fixed_size 16
		.amdhsa_kernarg_size 352
		.amdhsa_user_sgpr_count 8
		.amdhsa_user_sgpr_private_segment_buffer 1
		.amdhsa_user_sgpr_dispatch_ptr 0
		.amdhsa_user_sgpr_queue_ptr 0
		.amdhsa_user_sgpr_kernarg_segment_ptr 1
		.amdhsa_user_sgpr_dispatch_id 0
		.amdhsa_user_sgpr_flat_scratch_init 1
		.amdhsa_user_sgpr_kernarg_preload_length 0
		.amdhsa_user_sgpr_kernarg_preload_offset 0
		.amdhsa_user_sgpr_private_segment_size 0
		.amdhsa_uses_dynamic_stack 0
		.amdhsa_system_sgpr_private_segment_wavefront_offset 1
		.amdhsa_system_sgpr_workgroup_id_x 1
		.amdhsa_system_sgpr_workgroup_id_y 0
		.amdhsa_system_sgpr_workgroup_id_z 0
		.amdhsa_system_sgpr_workgroup_info 0
		.amdhsa_system_vgpr_workitem_id 0
		.amdhsa_next_free_vgpr 41
		.amdhsa_next_free_sgpr 34
		.amdhsa_accum_offset 44
		.amdhsa_reserve_vcc 1
		.amdhsa_reserve_flat_scratch 1
		.amdhsa_float_round_mode_32 0
		.amdhsa_float_round_mode_16_64 0
		.amdhsa_float_denorm_mode_32 3
		.amdhsa_float_denorm_mode_16_64 3
		.amdhsa_dx10_clamp 1
		.amdhsa_ieee_mode 1
		.amdhsa_fp16_overflow 0
		.amdhsa_tg_split 0
		.amdhsa_exception_fp_ieee_invalid_op 0
		.amdhsa_exception_fp_denorm_src 0
		.amdhsa_exception_fp_ieee_div_zero 0
		.amdhsa_exception_fp_ieee_overflow 0
		.amdhsa_exception_fp_ieee_underflow 0
		.amdhsa_exception_fp_ieee_inexact 0
		.amdhsa_exception_int_div_zero 0
	.end_amdhsa_kernel
	.section	.text._ZL9mul_mat_fI7__half2Li32ELi4ELi3ELb1EEvPKT_PKfPKiPfiiiiiiiiiiiiiiii,"axG",@progbits,_ZL9mul_mat_fI7__half2Li32ELi4ELi3ELb1EEvPKT_PKfPKiPfiiiiiiiiiiiiiiii,comdat
.Lfunc_end34:
	.size	_ZL9mul_mat_fI7__half2Li32ELi4ELi3ELb1EEvPKT_PKfPKiPfiiiiiiiiiiiiiiii, .Lfunc_end34-_ZL9mul_mat_fI7__half2Li32ELi4ELi3ELb1EEvPKT_PKfPKiPfiiiiiiiiiiiiiiii
                                        ; -- End function
	.section	.AMDGPU.csdata,"",@progbits
; Kernel info:
; codeLenInByte = 88
; NumSgprs: 40
; NumVgprs: 41
; NumAgprs: 0
; TotalNumVgprs: 41
; ScratchSize: 16
; MemoryBound: 0
; FloatMode: 240
; IeeeMode: 1
; LDSByteSize: 0 bytes/workgroup (compile time only)
; SGPRBlocks: 4
; VGPRBlocks: 5
; NumSGPRsForWavesPerEU: 40
; NumVGPRsForWavesPerEU: 41
; AccumOffset: 44
; Occupancy: 8
; WaveLimiterHint : 1
; COMPUTE_PGM_RSRC2:SCRATCH_EN: 1
; COMPUTE_PGM_RSRC2:USER_SGPR: 8
; COMPUTE_PGM_RSRC2:TRAP_HANDLER: 0
; COMPUTE_PGM_RSRC2:TGID_X_EN: 1
; COMPUTE_PGM_RSRC2:TGID_Y_EN: 0
; COMPUTE_PGM_RSRC2:TGID_Z_EN: 0
; COMPUTE_PGM_RSRC2:TIDIG_COMP_CNT: 0
; COMPUTE_PGM_RSRC3_GFX90A:ACCUM_OFFSET: 10
; COMPUTE_PGM_RSRC3_GFX90A:TG_SPLIT: 0
	.section	.text._ZL9mul_mat_fI7__half2Li32ELi4ELi3ELb0EEvPKT_PKfPKiPfiiiiiiiiiiiiiiii,"axG",@progbits,_ZL9mul_mat_fI7__half2Li32ELi4ELi3ELb0EEvPKT_PKfPKiPfiiiiiiiiiiiiiiii,comdat
	.globl	_ZL9mul_mat_fI7__half2Li32ELi4ELi3ELb0EEvPKT_PKfPKiPfiiiiiiiiiiiiiiii ; -- Begin function _ZL9mul_mat_fI7__half2Li32ELi4ELi3ELb0EEvPKT_PKfPKiPfiiiiiiiiiiiiiiii
	.p2align	8
	.type	_ZL9mul_mat_fI7__half2Li32ELi4ELi3ELb0EEvPKT_PKfPKiPfiiiiiiiiiiiiiiii,@function
_ZL9mul_mat_fI7__half2Li32ELi4ELi3ELb0EEvPKT_PKfPKiPfiiiiiiiiiiiiiiii: ; @_ZL9mul_mat_fI7__half2Li32ELi4ELi3ELb0EEvPKT_PKfPKiPfiiiiiiiiiiiiiiii
; %bb.0:
	s_add_u32 flat_scratch_lo, s6, s9
	s_addc_u32 flat_scratch_hi, s7, 0
	s_add_u32 s0, s0, s9
	s_addc_u32 s1, s1, 0
	s_add_u32 s8, s4, 0x60
	s_addc_u32 s9, s5, 0
	s_getpc_b64 s[4:5]
	s_add_u32 s4, s4, __FUNCTION__._ZL9mul_mat_fIfLi32ELi4ELi1ELb1EEvPKT_PKfPKiPfiiiiiiiiiiiiiiii@rel32@lo+4
	s_addc_u32 s5, s5, __FUNCTION__._ZL9mul_mat_fIfLi32ELi4ELi1ELb1EEvPKT_PKfPKiPfiiiiiiiiiiiiiiii@rel32@hi+12
	v_mov_b32_e32 v0, 64
	v_mov_b32_e32 v1, s4
	;; [unrolled: 1-line block ×3, first 2 shown]
	s_mov_b32 s32, 0
	s_getpc_b64 s[6:7]
	s_add_u32 s6, s6, _ZL14no_device_codePKciS0_iS0_@rel32@lo+4
	s_addc_u32 s7, s7, _ZL14no_device_codePKciS0_iS0_@rel32@hi+12
	s_swappc_b64 s[30:31], s[6:7]
	.section	.rodata,"a",@progbits
	.p2align	6, 0x0
	.amdhsa_kernel _ZL9mul_mat_fI7__half2Li32ELi4ELi3ELb0EEvPKT_PKfPKiPfiiiiiiiiiiiiiiii
		.amdhsa_group_segment_fixed_size 0
		.amdhsa_private_segment_fixed_size 16
		.amdhsa_kernarg_size 352
		.amdhsa_user_sgpr_count 8
		.amdhsa_user_sgpr_private_segment_buffer 1
		.amdhsa_user_sgpr_dispatch_ptr 0
		.amdhsa_user_sgpr_queue_ptr 0
		.amdhsa_user_sgpr_kernarg_segment_ptr 1
		.amdhsa_user_sgpr_dispatch_id 0
		.amdhsa_user_sgpr_flat_scratch_init 1
		.amdhsa_user_sgpr_kernarg_preload_length 0
		.amdhsa_user_sgpr_kernarg_preload_offset 0
		.amdhsa_user_sgpr_private_segment_size 0
		.amdhsa_uses_dynamic_stack 0
		.amdhsa_system_sgpr_private_segment_wavefront_offset 1
		.amdhsa_system_sgpr_workgroup_id_x 1
		.amdhsa_system_sgpr_workgroup_id_y 0
		.amdhsa_system_sgpr_workgroup_id_z 0
		.amdhsa_system_sgpr_workgroup_info 0
		.amdhsa_system_vgpr_workitem_id 0
		.amdhsa_next_free_vgpr 41
		.amdhsa_next_free_sgpr 34
		.amdhsa_accum_offset 44
		.amdhsa_reserve_vcc 1
		.amdhsa_reserve_flat_scratch 1
		.amdhsa_float_round_mode_32 0
		.amdhsa_float_round_mode_16_64 0
		.amdhsa_float_denorm_mode_32 3
		.amdhsa_float_denorm_mode_16_64 3
		.amdhsa_dx10_clamp 1
		.amdhsa_ieee_mode 1
		.amdhsa_fp16_overflow 0
		.amdhsa_tg_split 0
		.amdhsa_exception_fp_ieee_invalid_op 0
		.amdhsa_exception_fp_denorm_src 0
		.amdhsa_exception_fp_ieee_div_zero 0
		.amdhsa_exception_fp_ieee_overflow 0
		.amdhsa_exception_fp_ieee_underflow 0
		.amdhsa_exception_fp_ieee_inexact 0
		.amdhsa_exception_int_div_zero 0
	.end_amdhsa_kernel
	.section	.text._ZL9mul_mat_fI7__half2Li32ELi4ELi3ELb0EEvPKT_PKfPKiPfiiiiiiiiiiiiiiii,"axG",@progbits,_ZL9mul_mat_fI7__half2Li32ELi4ELi3ELb0EEvPKT_PKfPKiPfiiiiiiiiiiiiiiii,comdat
.Lfunc_end35:
	.size	_ZL9mul_mat_fI7__half2Li32ELi4ELi3ELb0EEvPKT_PKfPKiPfiiiiiiiiiiiiiiii, .Lfunc_end35-_ZL9mul_mat_fI7__half2Li32ELi4ELi3ELb0EEvPKT_PKfPKiPfiiiiiiiiiiiiiiii
                                        ; -- End function
	.section	.AMDGPU.csdata,"",@progbits
; Kernel info:
; codeLenInByte = 88
; NumSgprs: 40
; NumVgprs: 41
; NumAgprs: 0
; TotalNumVgprs: 41
; ScratchSize: 16
; MemoryBound: 0
; FloatMode: 240
; IeeeMode: 1
; LDSByteSize: 0 bytes/workgroup (compile time only)
; SGPRBlocks: 4
; VGPRBlocks: 5
; NumSGPRsForWavesPerEU: 40
; NumVGPRsForWavesPerEU: 41
; AccumOffset: 44
; Occupancy: 8
; WaveLimiterHint : 1
; COMPUTE_PGM_RSRC2:SCRATCH_EN: 1
; COMPUTE_PGM_RSRC2:USER_SGPR: 8
; COMPUTE_PGM_RSRC2:TRAP_HANDLER: 0
; COMPUTE_PGM_RSRC2:TGID_X_EN: 1
; COMPUTE_PGM_RSRC2:TGID_Y_EN: 0
; COMPUTE_PGM_RSRC2:TGID_Z_EN: 0
; COMPUTE_PGM_RSRC2:TIDIG_COMP_CNT: 0
; COMPUTE_PGM_RSRC3_GFX90A:ACCUM_OFFSET: 10
; COMPUTE_PGM_RSRC3_GFX90A:TG_SPLIT: 0
	.section	.text._ZL13mul_mat_f_idsI7__half2Li32ELi4ELi4EEvPKT_PKfPKiS7_S7_Pfiiiiiiiiiiiiii15HIP_vector_typeIjLj3EESA_,"axG",@progbits,_ZL13mul_mat_f_idsI7__half2Li32ELi4ELi4EEvPKT_PKfPKiS7_S7_Pfiiiiiiiiiiiiii15HIP_vector_typeIjLj3EESA_,comdat
	.globl	_ZL13mul_mat_f_idsI7__half2Li32ELi4ELi4EEvPKT_PKfPKiS7_S7_Pfiiiiiiiiiiiiii15HIP_vector_typeIjLj3EESA_ ; -- Begin function _ZL13mul_mat_f_idsI7__half2Li32ELi4ELi4EEvPKT_PKfPKiS7_S7_Pfiiiiiiiiiiiiii15HIP_vector_typeIjLj3EESA_
	.p2align	8
	.type	_ZL13mul_mat_f_idsI7__half2Li32ELi4ELi4EEvPKT_PKfPKiS7_S7_Pfiiiiiiiiiiiiii15HIP_vector_typeIjLj3EESA_,@function
_ZL13mul_mat_f_idsI7__half2Li32ELi4ELi4EEvPKT_PKfPKiS7_S7_Pfiiiiiiiiiiiiii15HIP_vector_typeIjLj3EESA_: ; @_ZL13mul_mat_f_idsI7__half2Li32ELi4ELi4EEvPKT_PKfPKiS7_S7_Pfiiiiiiiiiiiiii15HIP_vector_typeIjLj3EESA_
; %bb.0:
	s_add_u32 flat_scratch_lo, s6, s9
	s_addc_u32 flat_scratch_hi, s7, 0
	s_add_u32 s0, s0, s9
	s_addc_u32 s1, s1, 0
	s_add_u32 s8, s4, 0x80
	s_addc_u32 s9, s5, 0
	s_getpc_b64 s[4:5]
	s_add_u32 s4, s4, __FUNCTION__._ZL13mul_mat_f_idsIfLi32ELi4ELi1EEvPKT_PKfPKiS6_S6_Pfiiiiiiiiiiiiii15HIP_vector_typeIjLj3EES9_@rel32@lo+4
	s_addc_u32 s5, s5, __FUNCTION__._ZL13mul_mat_f_idsIfLi32ELi4ELi1EEvPKT_PKfPKiS6_S6_Pfiiiiiiiiiiiiii15HIP_vector_typeIjLj3EES9_@rel32@hi+12
	v_mov_b32_e32 v0, 0x13b
	v_mov_b32_e32 v1, s4
	;; [unrolled: 1-line block ×3, first 2 shown]
	s_mov_b32 s32, 0
	s_getpc_b64 s[6:7]
	s_add_u32 s6, s6, _ZL14no_device_codePKciS0_iS0_@rel32@lo+4
	s_addc_u32 s7, s7, _ZL14no_device_codePKciS0_iS0_@rel32@hi+12
	s_swappc_b64 s[30:31], s[6:7]
	.section	.rodata,"a",@progbits
	.p2align	6, 0x0
	.amdhsa_kernel _ZL13mul_mat_f_idsI7__half2Li32ELi4ELi4EEvPKT_PKfPKiS7_S7_Pfiiiiiiiiiiiiii15HIP_vector_typeIjLj3EESA_
		.amdhsa_group_segment_fixed_size 0
		.amdhsa_private_segment_fixed_size 16
		.amdhsa_kernarg_size 384
		.amdhsa_user_sgpr_count 8
		.amdhsa_user_sgpr_private_segment_buffer 1
		.amdhsa_user_sgpr_dispatch_ptr 0
		.amdhsa_user_sgpr_queue_ptr 0
		.amdhsa_user_sgpr_kernarg_segment_ptr 1
		.amdhsa_user_sgpr_dispatch_id 0
		.amdhsa_user_sgpr_flat_scratch_init 1
		.amdhsa_user_sgpr_kernarg_preload_length 0
		.amdhsa_user_sgpr_kernarg_preload_offset 0
		.amdhsa_user_sgpr_private_segment_size 0
		.amdhsa_uses_dynamic_stack 0
		.amdhsa_system_sgpr_private_segment_wavefront_offset 1
		.amdhsa_system_sgpr_workgroup_id_x 1
		.amdhsa_system_sgpr_workgroup_id_y 0
		.amdhsa_system_sgpr_workgroup_id_z 0
		.amdhsa_system_sgpr_workgroup_info 0
		.amdhsa_system_vgpr_workitem_id 0
		.amdhsa_next_free_vgpr 41
		.amdhsa_next_free_sgpr 34
		.amdhsa_accum_offset 44
		.amdhsa_reserve_vcc 1
		.amdhsa_reserve_flat_scratch 1
		.amdhsa_float_round_mode_32 0
		.amdhsa_float_round_mode_16_64 0
		.amdhsa_float_denorm_mode_32 3
		.amdhsa_float_denorm_mode_16_64 3
		.amdhsa_dx10_clamp 1
		.amdhsa_ieee_mode 1
		.amdhsa_fp16_overflow 0
		.amdhsa_tg_split 0
		.amdhsa_exception_fp_ieee_invalid_op 0
		.amdhsa_exception_fp_denorm_src 0
		.amdhsa_exception_fp_ieee_div_zero 0
		.amdhsa_exception_fp_ieee_overflow 0
		.amdhsa_exception_fp_ieee_underflow 0
		.amdhsa_exception_fp_ieee_inexact 0
		.amdhsa_exception_int_div_zero 0
	.end_amdhsa_kernel
	.section	.text._ZL13mul_mat_f_idsI7__half2Li32ELi4ELi4EEvPKT_PKfPKiS7_S7_Pfiiiiiiiiiiiiii15HIP_vector_typeIjLj3EESA_,"axG",@progbits,_ZL13mul_mat_f_idsI7__half2Li32ELi4ELi4EEvPKT_PKfPKiS7_S7_Pfiiiiiiiiiiiiii15HIP_vector_typeIjLj3EESA_,comdat
.Lfunc_end36:
	.size	_ZL13mul_mat_f_idsI7__half2Li32ELi4ELi4EEvPKT_PKfPKiS7_S7_Pfiiiiiiiiiiiiii15HIP_vector_typeIjLj3EESA_, .Lfunc_end36-_ZL13mul_mat_f_idsI7__half2Li32ELi4ELi4EEvPKT_PKfPKiS7_S7_Pfiiiiiiiiiiiiii15HIP_vector_typeIjLj3EESA_
                                        ; -- End function
	.section	.AMDGPU.csdata,"",@progbits
; Kernel info:
; codeLenInByte = 92
; NumSgprs: 40
; NumVgprs: 41
; NumAgprs: 0
; TotalNumVgprs: 41
; ScratchSize: 16
; MemoryBound: 0
; FloatMode: 240
; IeeeMode: 1
; LDSByteSize: 0 bytes/workgroup (compile time only)
; SGPRBlocks: 4
; VGPRBlocks: 5
; NumSGPRsForWavesPerEU: 40
; NumVGPRsForWavesPerEU: 41
; AccumOffset: 44
; Occupancy: 8
; WaveLimiterHint : 1
; COMPUTE_PGM_RSRC2:SCRATCH_EN: 1
; COMPUTE_PGM_RSRC2:USER_SGPR: 8
; COMPUTE_PGM_RSRC2:TRAP_HANDLER: 0
; COMPUTE_PGM_RSRC2:TGID_X_EN: 1
; COMPUTE_PGM_RSRC2:TGID_Y_EN: 0
; COMPUTE_PGM_RSRC2:TGID_Z_EN: 0
; COMPUTE_PGM_RSRC2:TIDIG_COMP_CNT: 0
; COMPUTE_PGM_RSRC3_GFX90A:ACCUM_OFFSET: 10
; COMPUTE_PGM_RSRC3_GFX90A:TG_SPLIT: 0
	.section	.text._ZL9mul_mat_fI7__half2Li32ELi4ELi4ELb1EEvPKT_PKfPKiPfiiiiiiiiiiiiiiii,"axG",@progbits,_ZL9mul_mat_fI7__half2Li32ELi4ELi4ELb1EEvPKT_PKfPKiPfiiiiiiiiiiiiiiii,comdat
	.globl	_ZL9mul_mat_fI7__half2Li32ELi4ELi4ELb1EEvPKT_PKfPKiPfiiiiiiiiiiiiiiii ; -- Begin function _ZL9mul_mat_fI7__half2Li32ELi4ELi4ELb1EEvPKT_PKfPKiPfiiiiiiiiiiiiiiii
	.p2align	8
	.type	_ZL9mul_mat_fI7__half2Li32ELi4ELi4ELb1EEvPKT_PKfPKiPfiiiiiiiiiiiiiiii,@function
_ZL9mul_mat_fI7__half2Li32ELi4ELi4ELb1EEvPKT_PKfPKiPfiiiiiiiiiiiiiiii: ; @_ZL9mul_mat_fI7__half2Li32ELi4ELi4ELb1EEvPKT_PKfPKiPfiiiiiiiiiiiiiiii
; %bb.0:
	s_add_u32 flat_scratch_lo, s6, s9
	s_addc_u32 flat_scratch_hi, s7, 0
	s_add_u32 s0, s0, s9
	s_addc_u32 s1, s1, 0
	s_add_u32 s8, s4, 0x60
	s_addc_u32 s9, s5, 0
	s_getpc_b64 s[4:5]
	s_add_u32 s4, s4, __FUNCTION__._ZL9mul_mat_fIfLi32ELi4ELi1ELb1EEvPKT_PKfPKiPfiiiiiiiiiiiiiiii@rel32@lo+4
	s_addc_u32 s5, s5, __FUNCTION__._ZL9mul_mat_fIfLi32ELi4ELi1ELb1EEvPKT_PKfPKiPfiiiiiiiiiiiiiiii@rel32@hi+12
	v_mov_b32_e32 v0, 64
	v_mov_b32_e32 v1, s4
	;; [unrolled: 1-line block ×3, first 2 shown]
	s_mov_b32 s32, 0
	s_getpc_b64 s[6:7]
	s_add_u32 s6, s6, _ZL14no_device_codePKciS0_iS0_@rel32@lo+4
	s_addc_u32 s7, s7, _ZL14no_device_codePKciS0_iS0_@rel32@hi+12
	s_swappc_b64 s[30:31], s[6:7]
	.section	.rodata,"a",@progbits
	.p2align	6, 0x0
	.amdhsa_kernel _ZL9mul_mat_fI7__half2Li32ELi4ELi4ELb1EEvPKT_PKfPKiPfiiiiiiiiiiiiiiii
		.amdhsa_group_segment_fixed_size 0
		.amdhsa_private_segment_fixed_size 16
		.amdhsa_kernarg_size 352
		.amdhsa_user_sgpr_count 8
		.amdhsa_user_sgpr_private_segment_buffer 1
		.amdhsa_user_sgpr_dispatch_ptr 0
		.amdhsa_user_sgpr_queue_ptr 0
		.amdhsa_user_sgpr_kernarg_segment_ptr 1
		.amdhsa_user_sgpr_dispatch_id 0
		.amdhsa_user_sgpr_flat_scratch_init 1
		.amdhsa_user_sgpr_kernarg_preload_length 0
		.amdhsa_user_sgpr_kernarg_preload_offset 0
		.amdhsa_user_sgpr_private_segment_size 0
		.amdhsa_uses_dynamic_stack 0
		.amdhsa_system_sgpr_private_segment_wavefront_offset 1
		.amdhsa_system_sgpr_workgroup_id_x 1
		.amdhsa_system_sgpr_workgroup_id_y 0
		.amdhsa_system_sgpr_workgroup_id_z 0
		.amdhsa_system_sgpr_workgroup_info 0
		.amdhsa_system_vgpr_workitem_id 0
		.amdhsa_next_free_vgpr 41
		.amdhsa_next_free_sgpr 34
		.amdhsa_accum_offset 44
		.amdhsa_reserve_vcc 1
		.amdhsa_reserve_flat_scratch 1
		.amdhsa_float_round_mode_32 0
		.amdhsa_float_round_mode_16_64 0
		.amdhsa_float_denorm_mode_32 3
		.amdhsa_float_denorm_mode_16_64 3
		.amdhsa_dx10_clamp 1
		.amdhsa_ieee_mode 1
		.amdhsa_fp16_overflow 0
		.amdhsa_tg_split 0
		.amdhsa_exception_fp_ieee_invalid_op 0
		.amdhsa_exception_fp_denorm_src 0
		.amdhsa_exception_fp_ieee_div_zero 0
		.amdhsa_exception_fp_ieee_overflow 0
		.amdhsa_exception_fp_ieee_underflow 0
		.amdhsa_exception_fp_ieee_inexact 0
		.amdhsa_exception_int_div_zero 0
	.end_amdhsa_kernel
	.section	.text._ZL9mul_mat_fI7__half2Li32ELi4ELi4ELb1EEvPKT_PKfPKiPfiiiiiiiiiiiiiiii,"axG",@progbits,_ZL9mul_mat_fI7__half2Li32ELi4ELi4ELb1EEvPKT_PKfPKiPfiiiiiiiiiiiiiiii,comdat
.Lfunc_end37:
	.size	_ZL9mul_mat_fI7__half2Li32ELi4ELi4ELb1EEvPKT_PKfPKiPfiiiiiiiiiiiiiiii, .Lfunc_end37-_ZL9mul_mat_fI7__half2Li32ELi4ELi4ELb1EEvPKT_PKfPKiPfiiiiiiiiiiiiiiii
                                        ; -- End function
	.section	.AMDGPU.csdata,"",@progbits
; Kernel info:
; codeLenInByte = 88
; NumSgprs: 40
; NumVgprs: 41
; NumAgprs: 0
; TotalNumVgprs: 41
; ScratchSize: 16
; MemoryBound: 0
; FloatMode: 240
; IeeeMode: 1
; LDSByteSize: 0 bytes/workgroup (compile time only)
; SGPRBlocks: 4
; VGPRBlocks: 5
; NumSGPRsForWavesPerEU: 40
; NumVGPRsForWavesPerEU: 41
; AccumOffset: 44
; Occupancy: 8
; WaveLimiterHint : 1
; COMPUTE_PGM_RSRC2:SCRATCH_EN: 1
; COMPUTE_PGM_RSRC2:USER_SGPR: 8
; COMPUTE_PGM_RSRC2:TRAP_HANDLER: 0
; COMPUTE_PGM_RSRC2:TGID_X_EN: 1
; COMPUTE_PGM_RSRC2:TGID_Y_EN: 0
; COMPUTE_PGM_RSRC2:TGID_Z_EN: 0
; COMPUTE_PGM_RSRC2:TIDIG_COMP_CNT: 0
; COMPUTE_PGM_RSRC3_GFX90A:ACCUM_OFFSET: 10
; COMPUTE_PGM_RSRC3_GFX90A:TG_SPLIT: 0
	.section	.text._ZL9mul_mat_fI7__half2Li32ELi4ELi4ELb0EEvPKT_PKfPKiPfiiiiiiiiiiiiiiii,"axG",@progbits,_ZL9mul_mat_fI7__half2Li32ELi4ELi4ELb0EEvPKT_PKfPKiPfiiiiiiiiiiiiiiii,comdat
	.globl	_ZL9mul_mat_fI7__half2Li32ELi4ELi4ELb0EEvPKT_PKfPKiPfiiiiiiiiiiiiiiii ; -- Begin function _ZL9mul_mat_fI7__half2Li32ELi4ELi4ELb0EEvPKT_PKfPKiPfiiiiiiiiiiiiiiii
	.p2align	8
	.type	_ZL9mul_mat_fI7__half2Li32ELi4ELi4ELb0EEvPKT_PKfPKiPfiiiiiiiiiiiiiiii,@function
_ZL9mul_mat_fI7__half2Li32ELi4ELi4ELb0EEvPKT_PKfPKiPfiiiiiiiiiiiiiiii: ; @_ZL9mul_mat_fI7__half2Li32ELi4ELi4ELb0EEvPKT_PKfPKiPfiiiiiiiiiiiiiiii
; %bb.0:
	s_add_u32 flat_scratch_lo, s6, s9
	s_addc_u32 flat_scratch_hi, s7, 0
	s_add_u32 s0, s0, s9
	s_addc_u32 s1, s1, 0
	s_add_u32 s8, s4, 0x60
	s_addc_u32 s9, s5, 0
	s_getpc_b64 s[4:5]
	s_add_u32 s4, s4, __FUNCTION__._ZL9mul_mat_fIfLi32ELi4ELi1ELb1EEvPKT_PKfPKiPfiiiiiiiiiiiiiiii@rel32@lo+4
	s_addc_u32 s5, s5, __FUNCTION__._ZL9mul_mat_fIfLi32ELi4ELi1ELb1EEvPKT_PKfPKiPfiiiiiiiiiiiiiiii@rel32@hi+12
	v_mov_b32_e32 v0, 64
	v_mov_b32_e32 v1, s4
	;; [unrolled: 1-line block ×3, first 2 shown]
	s_mov_b32 s32, 0
	s_getpc_b64 s[6:7]
	s_add_u32 s6, s6, _ZL14no_device_codePKciS0_iS0_@rel32@lo+4
	s_addc_u32 s7, s7, _ZL14no_device_codePKciS0_iS0_@rel32@hi+12
	s_swappc_b64 s[30:31], s[6:7]
	.section	.rodata,"a",@progbits
	.p2align	6, 0x0
	.amdhsa_kernel _ZL9mul_mat_fI7__half2Li32ELi4ELi4ELb0EEvPKT_PKfPKiPfiiiiiiiiiiiiiiii
		.amdhsa_group_segment_fixed_size 0
		.amdhsa_private_segment_fixed_size 16
		.amdhsa_kernarg_size 352
		.amdhsa_user_sgpr_count 8
		.amdhsa_user_sgpr_private_segment_buffer 1
		.amdhsa_user_sgpr_dispatch_ptr 0
		.amdhsa_user_sgpr_queue_ptr 0
		.amdhsa_user_sgpr_kernarg_segment_ptr 1
		.amdhsa_user_sgpr_dispatch_id 0
		.amdhsa_user_sgpr_flat_scratch_init 1
		.amdhsa_user_sgpr_kernarg_preload_length 0
		.amdhsa_user_sgpr_kernarg_preload_offset 0
		.amdhsa_user_sgpr_private_segment_size 0
		.amdhsa_uses_dynamic_stack 0
		.amdhsa_system_sgpr_private_segment_wavefront_offset 1
		.amdhsa_system_sgpr_workgroup_id_x 1
		.amdhsa_system_sgpr_workgroup_id_y 0
		.amdhsa_system_sgpr_workgroup_id_z 0
		.amdhsa_system_sgpr_workgroup_info 0
		.amdhsa_system_vgpr_workitem_id 0
		.amdhsa_next_free_vgpr 41
		.amdhsa_next_free_sgpr 34
		.amdhsa_accum_offset 44
		.amdhsa_reserve_vcc 1
		.amdhsa_reserve_flat_scratch 1
		.amdhsa_float_round_mode_32 0
		.amdhsa_float_round_mode_16_64 0
		.amdhsa_float_denorm_mode_32 3
		.amdhsa_float_denorm_mode_16_64 3
		.amdhsa_dx10_clamp 1
		.amdhsa_ieee_mode 1
		.amdhsa_fp16_overflow 0
		.amdhsa_tg_split 0
		.amdhsa_exception_fp_ieee_invalid_op 0
		.amdhsa_exception_fp_denorm_src 0
		.amdhsa_exception_fp_ieee_div_zero 0
		.amdhsa_exception_fp_ieee_overflow 0
		.amdhsa_exception_fp_ieee_underflow 0
		.amdhsa_exception_fp_ieee_inexact 0
		.amdhsa_exception_int_div_zero 0
	.end_amdhsa_kernel
	.section	.text._ZL9mul_mat_fI7__half2Li32ELi4ELi4ELb0EEvPKT_PKfPKiPfiiiiiiiiiiiiiiii,"axG",@progbits,_ZL9mul_mat_fI7__half2Li32ELi4ELi4ELb0EEvPKT_PKfPKiPfiiiiiiiiiiiiiiii,comdat
.Lfunc_end38:
	.size	_ZL9mul_mat_fI7__half2Li32ELi4ELi4ELb0EEvPKT_PKfPKiPfiiiiiiiiiiiiiiii, .Lfunc_end38-_ZL9mul_mat_fI7__half2Li32ELi4ELi4ELb0EEvPKT_PKfPKiPfiiiiiiiiiiiiiiii
                                        ; -- End function
	.section	.AMDGPU.csdata,"",@progbits
; Kernel info:
; codeLenInByte = 88
; NumSgprs: 40
; NumVgprs: 41
; NumAgprs: 0
; TotalNumVgprs: 41
; ScratchSize: 16
; MemoryBound: 0
; FloatMode: 240
; IeeeMode: 1
; LDSByteSize: 0 bytes/workgroup (compile time only)
; SGPRBlocks: 4
; VGPRBlocks: 5
; NumSGPRsForWavesPerEU: 40
; NumVGPRsForWavesPerEU: 41
; AccumOffset: 44
; Occupancy: 8
; WaveLimiterHint : 1
; COMPUTE_PGM_RSRC2:SCRATCH_EN: 1
; COMPUTE_PGM_RSRC2:USER_SGPR: 8
; COMPUTE_PGM_RSRC2:TRAP_HANDLER: 0
; COMPUTE_PGM_RSRC2:TGID_X_EN: 1
; COMPUTE_PGM_RSRC2:TGID_Y_EN: 0
; COMPUTE_PGM_RSRC2:TGID_Z_EN: 0
; COMPUTE_PGM_RSRC2:TIDIG_COMP_CNT: 0
; COMPUTE_PGM_RSRC3_GFX90A:ACCUM_OFFSET: 10
; COMPUTE_PGM_RSRC3_GFX90A:TG_SPLIT: 0
	.section	.text._ZL13mul_mat_f_idsI7__half2Li32ELi4ELi5EEvPKT_PKfPKiS7_S7_Pfiiiiiiiiiiiiii15HIP_vector_typeIjLj3EESA_,"axG",@progbits,_ZL13mul_mat_f_idsI7__half2Li32ELi4ELi5EEvPKT_PKfPKiS7_S7_Pfiiiiiiiiiiiiii15HIP_vector_typeIjLj3EESA_,comdat
	.globl	_ZL13mul_mat_f_idsI7__half2Li32ELi4ELi5EEvPKT_PKfPKiS7_S7_Pfiiiiiiiiiiiiii15HIP_vector_typeIjLj3EESA_ ; -- Begin function _ZL13mul_mat_f_idsI7__half2Li32ELi4ELi5EEvPKT_PKfPKiS7_S7_Pfiiiiiiiiiiiiii15HIP_vector_typeIjLj3EESA_
	.p2align	8
	.type	_ZL13mul_mat_f_idsI7__half2Li32ELi4ELi5EEvPKT_PKfPKiS7_S7_Pfiiiiiiiiiiiiii15HIP_vector_typeIjLj3EESA_,@function
_ZL13mul_mat_f_idsI7__half2Li32ELi4ELi5EEvPKT_PKfPKiS7_S7_Pfiiiiiiiiiiiiii15HIP_vector_typeIjLj3EESA_: ; @_ZL13mul_mat_f_idsI7__half2Li32ELi4ELi5EEvPKT_PKfPKiS7_S7_Pfiiiiiiiiiiiiii15HIP_vector_typeIjLj3EESA_
; %bb.0:
	s_add_u32 flat_scratch_lo, s6, s9
	s_addc_u32 flat_scratch_hi, s7, 0
	s_add_u32 s0, s0, s9
	s_addc_u32 s1, s1, 0
	s_add_u32 s8, s4, 0x80
	s_addc_u32 s9, s5, 0
	s_getpc_b64 s[4:5]
	s_add_u32 s4, s4, __FUNCTION__._ZL13mul_mat_f_idsIfLi32ELi4ELi1EEvPKT_PKfPKiS6_S6_Pfiiiiiiiiiiiiii15HIP_vector_typeIjLj3EES9_@rel32@lo+4
	s_addc_u32 s5, s5, __FUNCTION__._ZL13mul_mat_f_idsIfLi32ELi4ELi1EEvPKT_PKfPKiS6_S6_Pfiiiiiiiiiiiiii15HIP_vector_typeIjLj3EES9_@rel32@hi+12
	v_mov_b32_e32 v0, 0x13b
	v_mov_b32_e32 v1, s4
	v_mov_b32_e32 v2, s5
	s_mov_b32 s32, 0
	s_getpc_b64 s[6:7]
	s_add_u32 s6, s6, _ZL14no_device_codePKciS0_iS0_@rel32@lo+4
	s_addc_u32 s7, s7, _ZL14no_device_codePKciS0_iS0_@rel32@hi+12
	s_swappc_b64 s[30:31], s[6:7]
	.section	.rodata,"a",@progbits
	.p2align	6, 0x0
	.amdhsa_kernel _ZL13mul_mat_f_idsI7__half2Li32ELi4ELi5EEvPKT_PKfPKiS7_S7_Pfiiiiiiiiiiiiii15HIP_vector_typeIjLj3EESA_
		.amdhsa_group_segment_fixed_size 0
		.amdhsa_private_segment_fixed_size 16
		.amdhsa_kernarg_size 384
		.amdhsa_user_sgpr_count 8
		.amdhsa_user_sgpr_private_segment_buffer 1
		.amdhsa_user_sgpr_dispatch_ptr 0
		.amdhsa_user_sgpr_queue_ptr 0
		.amdhsa_user_sgpr_kernarg_segment_ptr 1
		.amdhsa_user_sgpr_dispatch_id 0
		.amdhsa_user_sgpr_flat_scratch_init 1
		.amdhsa_user_sgpr_kernarg_preload_length 0
		.amdhsa_user_sgpr_kernarg_preload_offset 0
		.amdhsa_user_sgpr_private_segment_size 0
		.amdhsa_uses_dynamic_stack 0
		.amdhsa_system_sgpr_private_segment_wavefront_offset 1
		.amdhsa_system_sgpr_workgroup_id_x 1
		.amdhsa_system_sgpr_workgroup_id_y 0
		.amdhsa_system_sgpr_workgroup_id_z 0
		.amdhsa_system_sgpr_workgroup_info 0
		.amdhsa_system_vgpr_workitem_id 0
		.amdhsa_next_free_vgpr 41
		.amdhsa_next_free_sgpr 34
		.amdhsa_accum_offset 44
		.amdhsa_reserve_vcc 1
		.amdhsa_reserve_flat_scratch 1
		.amdhsa_float_round_mode_32 0
		.amdhsa_float_round_mode_16_64 0
		.amdhsa_float_denorm_mode_32 3
		.amdhsa_float_denorm_mode_16_64 3
		.amdhsa_dx10_clamp 1
		.amdhsa_ieee_mode 1
		.amdhsa_fp16_overflow 0
		.amdhsa_tg_split 0
		.amdhsa_exception_fp_ieee_invalid_op 0
		.amdhsa_exception_fp_denorm_src 0
		.amdhsa_exception_fp_ieee_div_zero 0
		.amdhsa_exception_fp_ieee_overflow 0
		.amdhsa_exception_fp_ieee_underflow 0
		.amdhsa_exception_fp_ieee_inexact 0
		.amdhsa_exception_int_div_zero 0
	.end_amdhsa_kernel
	.section	.text._ZL13mul_mat_f_idsI7__half2Li32ELi4ELi5EEvPKT_PKfPKiS7_S7_Pfiiiiiiiiiiiiii15HIP_vector_typeIjLj3EESA_,"axG",@progbits,_ZL13mul_mat_f_idsI7__half2Li32ELi4ELi5EEvPKT_PKfPKiS7_S7_Pfiiiiiiiiiiiiii15HIP_vector_typeIjLj3EESA_,comdat
.Lfunc_end39:
	.size	_ZL13mul_mat_f_idsI7__half2Li32ELi4ELi5EEvPKT_PKfPKiS7_S7_Pfiiiiiiiiiiiiii15HIP_vector_typeIjLj3EESA_, .Lfunc_end39-_ZL13mul_mat_f_idsI7__half2Li32ELi4ELi5EEvPKT_PKfPKiS7_S7_Pfiiiiiiiiiiiiii15HIP_vector_typeIjLj3EESA_
                                        ; -- End function
	.section	.AMDGPU.csdata,"",@progbits
; Kernel info:
; codeLenInByte = 92
; NumSgprs: 40
; NumVgprs: 41
; NumAgprs: 0
; TotalNumVgprs: 41
; ScratchSize: 16
; MemoryBound: 0
; FloatMode: 240
; IeeeMode: 1
; LDSByteSize: 0 bytes/workgroup (compile time only)
; SGPRBlocks: 4
; VGPRBlocks: 5
; NumSGPRsForWavesPerEU: 40
; NumVGPRsForWavesPerEU: 41
; AccumOffset: 44
; Occupancy: 8
; WaveLimiterHint : 1
; COMPUTE_PGM_RSRC2:SCRATCH_EN: 1
; COMPUTE_PGM_RSRC2:USER_SGPR: 8
; COMPUTE_PGM_RSRC2:TRAP_HANDLER: 0
; COMPUTE_PGM_RSRC2:TGID_X_EN: 1
; COMPUTE_PGM_RSRC2:TGID_Y_EN: 0
; COMPUTE_PGM_RSRC2:TGID_Z_EN: 0
; COMPUTE_PGM_RSRC2:TIDIG_COMP_CNT: 0
; COMPUTE_PGM_RSRC3_GFX90A:ACCUM_OFFSET: 10
; COMPUTE_PGM_RSRC3_GFX90A:TG_SPLIT: 0
	.section	.text._ZL9mul_mat_fI7__half2Li32ELi4ELi5ELb1EEvPKT_PKfPKiPfiiiiiiiiiiiiiiii,"axG",@progbits,_ZL9mul_mat_fI7__half2Li32ELi4ELi5ELb1EEvPKT_PKfPKiPfiiiiiiiiiiiiiiii,comdat
	.globl	_ZL9mul_mat_fI7__half2Li32ELi4ELi5ELb1EEvPKT_PKfPKiPfiiiiiiiiiiiiiiii ; -- Begin function _ZL9mul_mat_fI7__half2Li32ELi4ELi5ELb1EEvPKT_PKfPKiPfiiiiiiiiiiiiiiii
	.p2align	8
	.type	_ZL9mul_mat_fI7__half2Li32ELi4ELi5ELb1EEvPKT_PKfPKiPfiiiiiiiiiiiiiiii,@function
_ZL9mul_mat_fI7__half2Li32ELi4ELi5ELb1EEvPKT_PKfPKiPfiiiiiiiiiiiiiiii: ; @_ZL9mul_mat_fI7__half2Li32ELi4ELi5ELb1EEvPKT_PKfPKiPfiiiiiiiiiiiiiiii
; %bb.0:
	s_add_u32 flat_scratch_lo, s6, s9
	s_addc_u32 flat_scratch_hi, s7, 0
	s_add_u32 s0, s0, s9
	s_addc_u32 s1, s1, 0
	s_add_u32 s8, s4, 0x60
	s_addc_u32 s9, s5, 0
	s_getpc_b64 s[4:5]
	s_add_u32 s4, s4, __FUNCTION__._ZL9mul_mat_fIfLi32ELi4ELi1ELb1EEvPKT_PKfPKiPfiiiiiiiiiiiiiiii@rel32@lo+4
	s_addc_u32 s5, s5, __FUNCTION__._ZL9mul_mat_fIfLi32ELi4ELi1ELb1EEvPKT_PKfPKiPfiiiiiiiiiiiiiiii@rel32@hi+12
	v_mov_b32_e32 v0, 64
	v_mov_b32_e32 v1, s4
	;; [unrolled: 1-line block ×3, first 2 shown]
	s_mov_b32 s32, 0
	s_getpc_b64 s[6:7]
	s_add_u32 s6, s6, _ZL14no_device_codePKciS0_iS0_@rel32@lo+4
	s_addc_u32 s7, s7, _ZL14no_device_codePKciS0_iS0_@rel32@hi+12
	s_swappc_b64 s[30:31], s[6:7]
	.section	.rodata,"a",@progbits
	.p2align	6, 0x0
	.amdhsa_kernel _ZL9mul_mat_fI7__half2Li32ELi4ELi5ELb1EEvPKT_PKfPKiPfiiiiiiiiiiiiiiii
		.amdhsa_group_segment_fixed_size 0
		.amdhsa_private_segment_fixed_size 16
		.amdhsa_kernarg_size 352
		.amdhsa_user_sgpr_count 8
		.amdhsa_user_sgpr_private_segment_buffer 1
		.amdhsa_user_sgpr_dispatch_ptr 0
		.amdhsa_user_sgpr_queue_ptr 0
		.amdhsa_user_sgpr_kernarg_segment_ptr 1
		.amdhsa_user_sgpr_dispatch_id 0
		.amdhsa_user_sgpr_flat_scratch_init 1
		.amdhsa_user_sgpr_kernarg_preload_length 0
		.amdhsa_user_sgpr_kernarg_preload_offset 0
		.amdhsa_user_sgpr_private_segment_size 0
		.amdhsa_uses_dynamic_stack 0
		.amdhsa_system_sgpr_private_segment_wavefront_offset 1
		.amdhsa_system_sgpr_workgroup_id_x 1
		.amdhsa_system_sgpr_workgroup_id_y 0
		.amdhsa_system_sgpr_workgroup_id_z 0
		.amdhsa_system_sgpr_workgroup_info 0
		.amdhsa_system_vgpr_workitem_id 0
		.amdhsa_next_free_vgpr 41
		.amdhsa_next_free_sgpr 34
		.amdhsa_accum_offset 44
		.amdhsa_reserve_vcc 1
		.amdhsa_reserve_flat_scratch 1
		.amdhsa_float_round_mode_32 0
		.amdhsa_float_round_mode_16_64 0
		.amdhsa_float_denorm_mode_32 3
		.amdhsa_float_denorm_mode_16_64 3
		.amdhsa_dx10_clamp 1
		.amdhsa_ieee_mode 1
		.amdhsa_fp16_overflow 0
		.amdhsa_tg_split 0
		.amdhsa_exception_fp_ieee_invalid_op 0
		.amdhsa_exception_fp_denorm_src 0
		.amdhsa_exception_fp_ieee_div_zero 0
		.amdhsa_exception_fp_ieee_overflow 0
		.amdhsa_exception_fp_ieee_underflow 0
		.amdhsa_exception_fp_ieee_inexact 0
		.amdhsa_exception_int_div_zero 0
	.end_amdhsa_kernel
	.section	.text._ZL9mul_mat_fI7__half2Li32ELi4ELi5ELb1EEvPKT_PKfPKiPfiiiiiiiiiiiiiiii,"axG",@progbits,_ZL9mul_mat_fI7__half2Li32ELi4ELi5ELb1EEvPKT_PKfPKiPfiiiiiiiiiiiiiiii,comdat
.Lfunc_end40:
	.size	_ZL9mul_mat_fI7__half2Li32ELi4ELi5ELb1EEvPKT_PKfPKiPfiiiiiiiiiiiiiiii, .Lfunc_end40-_ZL9mul_mat_fI7__half2Li32ELi4ELi5ELb1EEvPKT_PKfPKiPfiiiiiiiiiiiiiiii
                                        ; -- End function
	.section	.AMDGPU.csdata,"",@progbits
; Kernel info:
; codeLenInByte = 88
; NumSgprs: 40
; NumVgprs: 41
; NumAgprs: 0
; TotalNumVgprs: 41
; ScratchSize: 16
; MemoryBound: 0
; FloatMode: 240
; IeeeMode: 1
; LDSByteSize: 0 bytes/workgroup (compile time only)
; SGPRBlocks: 4
; VGPRBlocks: 5
; NumSGPRsForWavesPerEU: 40
; NumVGPRsForWavesPerEU: 41
; AccumOffset: 44
; Occupancy: 8
; WaveLimiterHint : 1
; COMPUTE_PGM_RSRC2:SCRATCH_EN: 1
; COMPUTE_PGM_RSRC2:USER_SGPR: 8
; COMPUTE_PGM_RSRC2:TRAP_HANDLER: 0
; COMPUTE_PGM_RSRC2:TGID_X_EN: 1
; COMPUTE_PGM_RSRC2:TGID_Y_EN: 0
; COMPUTE_PGM_RSRC2:TGID_Z_EN: 0
; COMPUTE_PGM_RSRC2:TIDIG_COMP_CNT: 0
; COMPUTE_PGM_RSRC3_GFX90A:ACCUM_OFFSET: 10
; COMPUTE_PGM_RSRC3_GFX90A:TG_SPLIT: 0
	.section	.text._ZL9mul_mat_fI7__half2Li32ELi4ELi5ELb0EEvPKT_PKfPKiPfiiiiiiiiiiiiiiii,"axG",@progbits,_ZL9mul_mat_fI7__half2Li32ELi4ELi5ELb0EEvPKT_PKfPKiPfiiiiiiiiiiiiiiii,comdat
	.globl	_ZL9mul_mat_fI7__half2Li32ELi4ELi5ELb0EEvPKT_PKfPKiPfiiiiiiiiiiiiiiii ; -- Begin function _ZL9mul_mat_fI7__half2Li32ELi4ELi5ELb0EEvPKT_PKfPKiPfiiiiiiiiiiiiiiii
	.p2align	8
	.type	_ZL9mul_mat_fI7__half2Li32ELi4ELi5ELb0EEvPKT_PKfPKiPfiiiiiiiiiiiiiiii,@function
_ZL9mul_mat_fI7__half2Li32ELi4ELi5ELb0EEvPKT_PKfPKiPfiiiiiiiiiiiiiiii: ; @_ZL9mul_mat_fI7__half2Li32ELi4ELi5ELb0EEvPKT_PKfPKiPfiiiiiiiiiiiiiiii
; %bb.0:
	s_add_u32 flat_scratch_lo, s6, s9
	s_addc_u32 flat_scratch_hi, s7, 0
	s_add_u32 s0, s0, s9
	s_addc_u32 s1, s1, 0
	s_add_u32 s8, s4, 0x60
	s_addc_u32 s9, s5, 0
	s_getpc_b64 s[4:5]
	s_add_u32 s4, s4, __FUNCTION__._ZL9mul_mat_fIfLi32ELi4ELi1ELb1EEvPKT_PKfPKiPfiiiiiiiiiiiiiiii@rel32@lo+4
	s_addc_u32 s5, s5, __FUNCTION__._ZL9mul_mat_fIfLi32ELi4ELi1ELb1EEvPKT_PKfPKiPfiiiiiiiiiiiiiiii@rel32@hi+12
	v_mov_b32_e32 v0, 64
	v_mov_b32_e32 v1, s4
	;; [unrolled: 1-line block ×3, first 2 shown]
	s_mov_b32 s32, 0
	s_getpc_b64 s[6:7]
	s_add_u32 s6, s6, _ZL14no_device_codePKciS0_iS0_@rel32@lo+4
	s_addc_u32 s7, s7, _ZL14no_device_codePKciS0_iS0_@rel32@hi+12
	s_swappc_b64 s[30:31], s[6:7]
	.section	.rodata,"a",@progbits
	.p2align	6, 0x0
	.amdhsa_kernel _ZL9mul_mat_fI7__half2Li32ELi4ELi5ELb0EEvPKT_PKfPKiPfiiiiiiiiiiiiiiii
		.amdhsa_group_segment_fixed_size 0
		.amdhsa_private_segment_fixed_size 16
		.amdhsa_kernarg_size 352
		.amdhsa_user_sgpr_count 8
		.amdhsa_user_sgpr_private_segment_buffer 1
		.amdhsa_user_sgpr_dispatch_ptr 0
		.amdhsa_user_sgpr_queue_ptr 0
		.amdhsa_user_sgpr_kernarg_segment_ptr 1
		.amdhsa_user_sgpr_dispatch_id 0
		.amdhsa_user_sgpr_flat_scratch_init 1
		.amdhsa_user_sgpr_kernarg_preload_length 0
		.amdhsa_user_sgpr_kernarg_preload_offset 0
		.amdhsa_user_sgpr_private_segment_size 0
		.amdhsa_uses_dynamic_stack 0
		.amdhsa_system_sgpr_private_segment_wavefront_offset 1
		.amdhsa_system_sgpr_workgroup_id_x 1
		.amdhsa_system_sgpr_workgroup_id_y 0
		.amdhsa_system_sgpr_workgroup_id_z 0
		.amdhsa_system_sgpr_workgroup_info 0
		.amdhsa_system_vgpr_workitem_id 0
		.amdhsa_next_free_vgpr 41
		.amdhsa_next_free_sgpr 34
		.amdhsa_accum_offset 44
		.amdhsa_reserve_vcc 1
		.amdhsa_reserve_flat_scratch 1
		.amdhsa_float_round_mode_32 0
		.amdhsa_float_round_mode_16_64 0
		.amdhsa_float_denorm_mode_32 3
		.amdhsa_float_denorm_mode_16_64 3
		.amdhsa_dx10_clamp 1
		.amdhsa_ieee_mode 1
		.amdhsa_fp16_overflow 0
		.amdhsa_tg_split 0
		.amdhsa_exception_fp_ieee_invalid_op 0
		.amdhsa_exception_fp_denorm_src 0
		.amdhsa_exception_fp_ieee_div_zero 0
		.amdhsa_exception_fp_ieee_overflow 0
		.amdhsa_exception_fp_ieee_underflow 0
		.amdhsa_exception_fp_ieee_inexact 0
		.amdhsa_exception_int_div_zero 0
	.end_amdhsa_kernel
	.section	.text._ZL9mul_mat_fI7__half2Li32ELi4ELi5ELb0EEvPKT_PKfPKiPfiiiiiiiiiiiiiiii,"axG",@progbits,_ZL9mul_mat_fI7__half2Li32ELi4ELi5ELb0EEvPKT_PKfPKiPfiiiiiiiiiiiiiiii,comdat
.Lfunc_end41:
	.size	_ZL9mul_mat_fI7__half2Li32ELi4ELi5ELb0EEvPKT_PKfPKiPfiiiiiiiiiiiiiiii, .Lfunc_end41-_ZL9mul_mat_fI7__half2Li32ELi4ELi5ELb0EEvPKT_PKfPKiPfiiiiiiiiiiiiiiii
                                        ; -- End function
	.section	.AMDGPU.csdata,"",@progbits
; Kernel info:
; codeLenInByte = 88
; NumSgprs: 40
; NumVgprs: 41
; NumAgprs: 0
; TotalNumVgprs: 41
; ScratchSize: 16
; MemoryBound: 0
; FloatMode: 240
; IeeeMode: 1
; LDSByteSize: 0 bytes/workgroup (compile time only)
; SGPRBlocks: 4
; VGPRBlocks: 5
; NumSGPRsForWavesPerEU: 40
; NumVGPRsForWavesPerEU: 41
; AccumOffset: 44
; Occupancy: 8
; WaveLimiterHint : 1
; COMPUTE_PGM_RSRC2:SCRATCH_EN: 1
; COMPUTE_PGM_RSRC2:USER_SGPR: 8
; COMPUTE_PGM_RSRC2:TRAP_HANDLER: 0
; COMPUTE_PGM_RSRC2:TGID_X_EN: 1
; COMPUTE_PGM_RSRC2:TGID_Y_EN: 0
; COMPUTE_PGM_RSRC2:TGID_Z_EN: 0
; COMPUTE_PGM_RSRC2:TIDIG_COMP_CNT: 0
; COMPUTE_PGM_RSRC3_GFX90A:ACCUM_OFFSET: 10
; COMPUTE_PGM_RSRC3_GFX90A:TG_SPLIT: 0
	.section	.text._ZL13mul_mat_f_idsI7__half2Li32ELi4ELi6EEvPKT_PKfPKiS7_S7_Pfiiiiiiiiiiiiii15HIP_vector_typeIjLj3EESA_,"axG",@progbits,_ZL13mul_mat_f_idsI7__half2Li32ELi4ELi6EEvPKT_PKfPKiS7_S7_Pfiiiiiiiiiiiiii15HIP_vector_typeIjLj3EESA_,comdat
	.globl	_ZL13mul_mat_f_idsI7__half2Li32ELi4ELi6EEvPKT_PKfPKiS7_S7_Pfiiiiiiiiiiiiii15HIP_vector_typeIjLj3EESA_ ; -- Begin function _ZL13mul_mat_f_idsI7__half2Li32ELi4ELi6EEvPKT_PKfPKiS7_S7_Pfiiiiiiiiiiiiii15HIP_vector_typeIjLj3EESA_
	.p2align	8
	.type	_ZL13mul_mat_f_idsI7__half2Li32ELi4ELi6EEvPKT_PKfPKiS7_S7_Pfiiiiiiiiiiiiii15HIP_vector_typeIjLj3EESA_,@function
_ZL13mul_mat_f_idsI7__half2Li32ELi4ELi6EEvPKT_PKfPKiS7_S7_Pfiiiiiiiiiiiiii15HIP_vector_typeIjLj3EESA_: ; @_ZL13mul_mat_f_idsI7__half2Li32ELi4ELi6EEvPKT_PKfPKiS7_S7_Pfiiiiiiiiiiiiii15HIP_vector_typeIjLj3EESA_
; %bb.0:
	s_add_u32 flat_scratch_lo, s6, s9
	s_addc_u32 flat_scratch_hi, s7, 0
	s_add_u32 s0, s0, s9
	s_addc_u32 s1, s1, 0
	s_add_u32 s8, s4, 0x80
	s_addc_u32 s9, s5, 0
	s_getpc_b64 s[4:5]
	s_add_u32 s4, s4, __FUNCTION__._ZL13mul_mat_f_idsIfLi32ELi4ELi1EEvPKT_PKfPKiS6_S6_Pfiiiiiiiiiiiiii15HIP_vector_typeIjLj3EES9_@rel32@lo+4
	s_addc_u32 s5, s5, __FUNCTION__._ZL13mul_mat_f_idsIfLi32ELi4ELi1EEvPKT_PKfPKiS6_S6_Pfiiiiiiiiiiiiii15HIP_vector_typeIjLj3EES9_@rel32@hi+12
	v_mov_b32_e32 v0, 0x13b
	v_mov_b32_e32 v1, s4
	;; [unrolled: 1-line block ×3, first 2 shown]
	s_mov_b32 s32, 0
	s_getpc_b64 s[6:7]
	s_add_u32 s6, s6, _ZL14no_device_codePKciS0_iS0_@rel32@lo+4
	s_addc_u32 s7, s7, _ZL14no_device_codePKciS0_iS0_@rel32@hi+12
	s_swappc_b64 s[30:31], s[6:7]
	.section	.rodata,"a",@progbits
	.p2align	6, 0x0
	.amdhsa_kernel _ZL13mul_mat_f_idsI7__half2Li32ELi4ELi6EEvPKT_PKfPKiS7_S7_Pfiiiiiiiiiiiiii15HIP_vector_typeIjLj3EESA_
		.amdhsa_group_segment_fixed_size 0
		.amdhsa_private_segment_fixed_size 16
		.amdhsa_kernarg_size 384
		.amdhsa_user_sgpr_count 8
		.amdhsa_user_sgpr_private_segment_buffer 1
		.amdhsa_user_sgpr_dispatch_ptr 0
		.amdhsa_user_sgpr_queue_ptr 0
		.amdhsa_user_sgpr_kernarg_segment_ptr 1
		.amdhsa_user_sgpr_dispatch_id 0
		.amdhsa_user_sgpr_flat_scratch_init 1
		.amdhsa_user_sgpr_kernarg_preload_length 0
		.amdhsa_user_sgpr_kernarg_preload_offset 0
		.amdhsa_user_sgpr_private_segment_size 0
		.amdhsa_uses_dynamic_stack 0
		.amdhsa_system_sgpr_private_segment_wavefront_offset 1
		.amdhsa_system_sgpr_workgroup_id_x 1
		.amdhsa_system_sgpr_workgroup_id_y 0
		.amdhsa_system_sgpr_workgroup_id_z 0
		.amdhsa_system_sgpr_workgroup_info 0
		.amdhsa_system_vgpr_workitem_id 0
		.amdhsa_next_free_vgpr 41
		.amdhsa_next_free_sgpr 34
		.amdhsa_accum_offset 44
		.amdhsa_reserve_vcc 1
		.amdhsa_reserve_flat_scratch 1
		.amdhsa_float_round_mode_32 0
		.amdhsa_float_round_mode_16_64 0
		.amdhsa_float_denorm_mode_32 3
		.amdhsa_float_denorm_mode_16_64 3
		.amdhsa_dx10_clamp 1
		.amdhsa_ieee_mode 1
		.amdhsa_fp16_overflow 0
		.amdhsa_tg_split 0
		.amdhsa_exception_fp_ieee_invalid_op 0
		.amdhsa_exception_fp_denorm_src 0
		.amdhsa_exception_fp_ieee_div_zero 0
		.amdhsa_exception_fp_ieee_overflow 0
		.amdhsa_exception_fp_ieee_underflow 0
		.amdhsa_exception_fp_ieee_inexact 0
		.amdhsa_exception_int_div_zero 0
	.end_amdhsa_kernel
	.section	.text._ZL13mul_mat_f_idsI7__half2Li32ELi4ELi6EEvPKT_PKfPKiS7_S7_Pfiiiiiiiiiiiiii15HIP_vector_typeIjLj3EESA_,"axG",@progbits,_ZL13mul_mat_f_idsI7__half2Li32ELi4ELi6EEvPKT_PKfPKiS7_S7_Pfiiiiiiiiiiiiii15HIP_vector_typeIjLj3EESA_,comdat
.Lfunc_end42:
	.size	_ZL13mul_mat_f_idsI7__half2Li32ELi4ELi6EEvPKT_PKfPKiS7_S7_Pfiiiiiiiiiiiiii15HIP_vector_typeIjLj3EESA_, .Lfunc_end42-_ZL13mul_mat_f_idsI7__half2Li32ELi4ELi6EEvPKT_PKfPKiS7_S7_Pfiiiiiiiiiiiiii15HIP_vector_typeIjLj3EESA_
                                        ; -- End function
	.section	.AMDGPU.csdata,"",@progbits
; Kernel info:
; codeLenInByte = 92
; NumSgprs: 40
; NumVgprs: 41
; NumAgprs: 0
; TotalNumVgprs: 41
; ScratchSize: 16
; MemoryBound: 0
; FloatMode: 240
; IeeeMode: 1
; LDSByteSize: 0 bytes/workgroup (compile time only)
; SGPRBlocks: 4
; VGPRBlocks: 5
; NumSGPRsForWavesPerEU: 40
; NumVGPRsForWavesPerEU: 41
; AccumOffset: 44
; Occupancy: 8
; WaveLimiterHint : 1
; COMPUTE_PGM_RSRC2:SCRATCH_EN: 1
; COMPUTE_PGM_RSRC2:USER_SGPR: 8
; COMPUTE_PGM_RSRC2:TRAP_HANDLER: 0
; COMPUTE_PGM_RSRC2:TGID_X_EN: 1
; COMPUTE_PGM_RSRC2:TGID_Y_EN: 0
; COMPUTE_PGM_RSRC2:TGID_Z_EN: 0
; COMPUTE_PGM_RSRC2:TIDIG_COMP_CNT: 0
; COMPUTE_PGM_RSRC3_GFX90A:ACCUM_OFFSET: 10
; COMPUTE_PGM_RSRC3_GFX90A:TG_SPLIT: 0
	.section	.text._ZL9mul_mat_fI7__half2Li32ELi4ELi6ELb1EEvPKT_PKfPKiPfiiiiiiiiiiiiiiii,"axG",@progbits,_ZL9mul_mat_fI7__half2Li32ELi4ELi6ELb1EEvPKT_PKfPKiPfiiiiiiiiiiiiiiii,comdat
	.globl	_ZL9mul_mat_fI7__half2Li32ELi4ELi6ELb1EEvPKT_PKfPKiPfiiiiiiiiiiiiiiii ; -- Begin function _ZL9mul_mat_fI7__half2Li32ELi4ELi6ELb1EEvPKT_PKfPKiPfiiiiiiiiiiiiiiii
	.p2align	8
	.type	_ZL9mul_mat_fI7__half2Li32ELi4ELi6ELb1EEvPKT_PKfPKiPfiiiiiiiiiiiiiiii,@function
_ZL9mul_mat_fI7__half2Li32ELi4ELi6ELb1EEvPKT_PKfPKiPfiiiiiiiiiiiiiiii: ; @_ZL9mul_mat_fI7__half2Li32ELi4ELi6ELb1EEvPKT_PKfPKiPfiiiiiiiiiiiiiiii
; %bb.0:
	s_add_u32 flat_scratch_lo, s6, s9
	s_addc_u32 flat_scratch_hi, s7, 0
	s_add_u32 s0, s0, s9
	s_addc_u32 s1, s1, 0
	s_add_u32 s8, s4, 0x60
	s_addc_u32 s9, s5, 0
	s_getpc_b64 s[4:5]
	s_add_u32 s4, s4, __FUNCTION__._ZL9mul_mat_fIfLi32ELi4ELi1ELb1EEvPKT_PKfPKiPfiiiiiiiiiiiiiiii@rel32@lo+4
	s_addc_u32 s5, s5, __FUNCTION__._ZL9mul_mat_fIfLi32ELi4ELi1ELb1EEvPKT_PKfPKiPfiiiiiiiiiiiiiiii@rel32@hi+12
	v_mov_b32_e32 v0, 64
	v_mov_b32_e32 v1, s4
	;; [unrolled: 1-line block ×3, first 2 shown]
	s_mov_b32 s32, 0
	s_getpc_b64 s[6:7]
	s_add_u32 s6, s6, _ZL14no_device_codePKciS0_iS0_@rel32@lo+4
	s_addc_u32 s7, s7, _ZL14no_device_codePKciS0_iS0_@rel32@hi+12
	s_swappc_b64 s[30:31], s[6:7]
	.section	.rodata,"a",@progbits
	.p2align	6, 0x0
	.amdhsa_kernel _ZL9mul_mat_fI7__half2Li32ELi4ELi6ELb1EEvPKT_PKfPKiPfiiiiiiiiiiiiiiii
		.amdhsa_group_segment_fixed_size 0
		.amdhsa_private_segment_fixed_size 16
		.amdhsa_kernarg_size 352
		.amdhsa_user_sgpr_count 8
		.amdhsa_user_sgpr_private_segment_buffer 1
		.amdhsa_user_sgpr_dispatch_ptr 0
		.amdhsa_user_sgpr_queue_ptr 0
		.amdhsa_user_sgpr_kernarg_segment_ptr 1
		.amdhsa_user_sgpr_dispatch_id 0
		.amdhsa_user_sgpr_flat_scratch_init 1
		.amdhsa_user_sgpr_kernarg_preload_length 0
		.amdhsa_user_sgpr_kernarg_preload_offset 0
		.amdhsa_user_sgpr_private_segment_size 0
		.amdhsa_uses_dynamic_stack 0
		.amdhsa_system_sgpr_private_segment_wavefront_offset 1
		.amdhsa_system_sgpr_workgroup_id_x 1
		.amdhsa_system_sgpr_workgroup_id_y 0
		.amdhsa_system_sgpr_workgroup_id_z 0
		.amdhsa_system_sgpr_workgroup_info 0
		.amdhsa_system_vgpr_workitem_id 0
		.amdhsa_next_free_vgpr 41
		.amdhsa_next_free_sgpr 34
		.amdhsa_accum_offset 44
		.amdhsa_reserve_vcc 1
		.amdhsa_reserve_flat_scratch 1
		.amdhsa_float_round_mode_32 0
		.amdhsa_float_round_mode_16_64 0
		.amdhsa_float_denorm_mode_32 3
		.amdhsa_float_denorm_mode_16_64 3
		.amdhsa_dx10_clamp 1
		.amdhsa_ieee_mode 1
		.amdhsa_fp16_overflow 0
		.amdhsa_tg_split 0
		.amdhsa_exception_fp_ieee_invalid_op 0
		.amdhsa_exception_fp_denorm_src 0
		.amdhsa_exception_fp_ieee_div_zero 0
		.amdhsa_exception_fp_ieee_overflow 0
		.amdhsa_exception_fp_ieee_underflow 0
		.amdhsa_exception_fp_ieee_inexact 0
		.amdhsa_exception_int_div_zero 0
	.end_amdhsa_kernel
	.section	.text._ZL9mul_mat_fI7__half2Li32ELi4ELi6ELb1EEvPKT_PKfPKiPfiiiiiiiiiiiiiiii,"axG",@progbits,_ZL9mul_mat_fI7__half2Li32ELi4ELi6ELb1EEvPKT_PKfPKiPfiiiiiiiiiiiiiiii,comdat
.Lfunc_end43:
	.size	_ZL9mul_mat_fI7__half2Li32ELi4ELi6ELb1EEvPKT_PKfPKiPfiiiiiiiiiiiiiiii, .Lfunc_end43-_ZL9mul_mat_fI7__half2Li32ELi4ELi6ELb1EEvPKT_PKfPKiPfiiiiiiiiiiiiiiii
                                        ; -- End function
	.section	.AMDGPU.csdata,"",@progbits
; Kernel info:
; codeLenInByte = 88
; NumSgprs: 40
; NumVgprs: 41
; NumAgprs: 0
; TotalNumVgprs: 41
; ScratchSize: 16
; MemoryBound: 0
; FloatMode: 240
; IeeeMode: 1
; LDSByteSize: 0 bytes/workgroup (compile time only)
; SGPRBlocks: 4
; VGPRBlocks: 5
; NumSGPRsForWavesPerEU: 40
; NumVGPRsForWavesPerEU: 41
; AccumOffset: 44
; Occupancy: 8
; WaveLimiterHint : 1
; COMPUTE_PGM_RSRC2:SCRATCH_EN: 1
; COMPUTE_PGM_RSRC2:USER_SGPR: 8
; COMPUTE_PGM_RSRC2:TRAP_HANDLER: 0
; COMPUTE_PGM_RSRC2:TGID_X_EN: 1
; COMPUTE_PGM_RSRC2:TGID_Y_EN: 0
; COMPUTE_PGM_RSRC2:TGID_Z_EN: 0
; COMPUTE_PGM_RSRC2:TIDIG_COMP_CNT: 0
; COMPUTE_PGM_RSRC3_GFX90A:ACCUM_OFFSET: 10
; COMPUTE_PGM_RSRC3_GFX90A:TG_SPLIT: 0
	.section	.text._ZL9mul_mat_fI7__half2Li32ELi4ELi6ELb0EEvPKT_PKfPKiPfiiiiiiiiiiiiiiii,"axG",@progbits,_ZL9mul_mat_fI7__half2Li32ELi4ELi6ELb0EEvPKT_PKfPKiPfiiiiiiiiiiiiiiii,comdat
	.globl	_ZL9mul_mat_fI7__half2Li32ELi4ELi6ELb0EEvPKT_PKfPKiPfiiiiiiiiiiiiiiii ; -- Begin function _ZL9mul_mat_fI7__half2Li32ELi4ELi6ELb0EEvPKT_PKfPKiPfiiiiiiiiiiiiiiii
	.p2align	8
	.type	_ZL9mul_mat_fI7__half2Li32ELi4ELi6ELb0EEvPKT_PKfPKiPfiiiiiiiiiiiiiiii,@function
_ZL9mul_mat_fI7__half2Li32ELi4ELi6ELb0EEvPKT_PKfPKiPfiiiiiiiiiiiiiiii: ; @_ZL9mul_mat_fI7__half2Li32ELi4ELi6ELb0EEvPKT_PKfPKiPfiiiiiiiiiiiiiiii
; %bb.0:
	s_add_u32 flat_scratch_lo, s6, s9
	s_addc_u32 flat_scratch_hi, s7, 0
	s_add_u32 s0, s0, s9
	s_addc_u32 s1, s1, 0
	s_add_u32 s8, s4, 0x60
	s_addc_u32 s9, s5, 0
	s_getpc_b64 s[4:5]
	s_add_u32 s4, s4, __FUNCTION__._ZL9mul_mat_fIfLi32ELi4ELi1ELb1EEvPKT_PKfPKiPfiiiiiiiiiiiiiiii@rel32@lo+4
	s_addc_u32 s5, s5, __FUNCTION__._ZL9mul_mat_fIfLi32ELi4ELi1ELb1EEvPKT_PKfPKiPfiiiiiiiiiiiiiiii@rel32@hi+12
	v_mov_b32_e32 v0, 64
	v_mov_b32_e32 v1, s4
	;; [unrolled: 1-line block ×3, first 2 shown]
	s_mov_b32 s32, 0
	s_getpc_b64 s[6:7]
	s_add_u32 s6, s6, _ZL14no_device_codePKciS0_iS0_@rel32@lo+4
	s_addc_u32 s7, s7, _ZL14no_device_codePKciS0_iS0_@rel32@hi+12
	s_swappc_b64 s[30:31], s[6:7]
	.section	.rodata,"a",@progbits
	.p2align	6, 0x0
	.amdhsa_kernel _ZL9mul_mat_fI7__half2Li32ELi4ELi6ELb0EEvPKT_PKfPKiPfiiiiiiiiiiiiiiii
		.amdhsa_group_segment_fixed_size 0
		.amdhsa_private_segment_fixed_size 16
		.amdhsa_kernarg_size 352
		.amdhsa_user_sgpr_count 8
		.amdhsa_user_sgpr_private_segment_buffer 1
		.amdhsa_user_sgpr_dispatch_ptr 0
		.amdhsa_user_sgpr_queue_ptr 0
		.amdhsa_user_sgpr_kernarg_segment_ptr 1
		.amdhsa_user_sgpr_dispatch_id 0
		.amdhsa_user_sgpr_flat_scratch_init 1
		.amdhsa_user_sgpr_kernarg_preload_length 0
		.amdhsa_user_sgpr_kernarg_preload_offset 0
		.amdhsa_user_sgpr_private_segment_size 0
		.amdhsa_uses_dynamic_stack 0
		.amdhsa_system_sgpr_private_segment_wavefront_offset 1
		.amdhsa_system_sgpr_workgroup_id_x 1
		.amdhsa_system_sgpr_workgroup_id_y 0
		.amdhsa_system_sgpr_workgroup_id_z 0
		.amdhsa_system_sgpr_workgroup_info 0
		.amdhsa_system_vgpr_workitem_id 0
		.amdhsa_next_free_vgpr 41
		.amdhsa_next_free_sgpr 34
		.amdhsa_accum_offset 44
		.amdhsa_reserve_vcc 1
		.amdhsa_reserve_flat_scratch 1
		.amdhsa_float_round_mode_32 0
		.amdhsa_float_round_mode_16_64 0
		.amdhsa_float_denorm_mode_32 3
		.amdhsa_float_denorm_mode_16_64 3
		.amdhsa_dx10_clamp 1
		.amdhsa_ieee_mode 1
		.amdhsa_fp16_overflow 0
		.amdhsa_tg_split 0
		.amdhsa_exception_fp_ieee_invalid_op 0
		.amdhsa_exception_fp_denorm_src 0
		.amdhsa_exception_fp_ieee_div_zero 0
		.amdhsa_exception_fp_ieee_overflow 0
		.amdhsa_exception_fp_ieee_underflow 0
		.amdhsa_exception_fp_ieee_inexact 0
		.amdhsa_exception_int_div_zero 0
	.end_amdhsa_kernel
	.section	.text._ZL9mul_mat_fI7__half2Li32ELi4ELi6ELb0EEvPKT_PKfPKiPfiiiiiiiiiiiiiiii,"axG",@progbits,_ZL9mul_mat_fI7__half2Li32ELi4ELi6ELb0EEvPKT_PKfPKiPfiiiiiiiiiiiiiiii,comdat
.Lfunc_end44:
	.size	_ZL9mul_mat_fI7__half2Li32ELi4ELi6ELb0EEvPKT_PKfPKiPfiiiiiiiiiiiiiiii, .Lfunc_end44-_ZL9mul_mat_fI7__half2Li32ELi4ELi6ELb0EEvPKT_PKfPKiPfiiiiiiiiiiiiiiii
                                        ; -- End function
	.section	.AMDGPU.csdata,"",@progbits
; Kernel info:
; codeLenInByte = 88
; NumSgprs: 40
; NumVgprs: 41
; NumAgprs: 0
; TotalNumVgprs: 41
; ScratchSize: 16
; MemoryBound: 0
; FloatMode: 240
; IeeeMode: 1
; LDSByteSize: 0 bytes/workgroup (compile time only)
; SGPRBlocks: 4
; VGPRBlocks: 5
; NumSGPRsForWavesPerEU: 40
; NumVGPRsForWavesPerEU: 41
; AccumOffset: 44
; Occupancy: 8
; WaveLimiterHint : 1
; COMPUTE_PGM_RSRC2:SCRATCH_EN: 1
; COMPUTE_PGM_RSRC2:USER_SGPR: 8
; COMPUTE_PGM_RSRC2:TRAP_HANDLER: 0
; COMPUTE_PGM_RSRC2:TGID_X_EN: 1
; COMPUTE_PGM_RSRC2:TGID_Y_EN: 0
; COMPUTE_PGM_RSRC2:TGID_Z_EN: 0
; COMPUTE_PGM_RSRC2:TIDIG_COMP_CNT: 0
; COMPUTE_PGM_RSRC3_GFX90A:ACCUM_OFFSET: 10
; COMPUTE_PGM_RSRC3_GFX90A:TG_SPLIT: 0
	.section	.text._ZL13mul_mat_f_idsI7__half2Li32ELi4ELi7EEvPKT_PKfPKiS7_S7_Pfiiiiiiiiiiiiii15HIP_vector_typeIjLj3EESA_,"axG",@progbits,_ZL13mul_mat_f_idsI7__half2Li32ELi4ELi7EEvPKT_PKfPKiS7_S7_Pfiiiiiiiiiiiiii15HIP_vector_typeIjLj3EESA_,comdat
	.globl	_ZL13mul_mat_f_idsI7__half2Li32ELi4ELi7EEvPKT_PKfPKiS7_S7_Pfiiiiiiiiiiiiii15HIP_vector_typeIjLj3EESA_ ; -- Begin function _ZL13mul_mat_f_idsI7__half2Li32ELi4ELi7EEvPKT_PKfPKiS7_S7_Pfiiiiiiiiiiiiii15HIP_vector_typeIjLj3EESA_
	.p2align	8
	.type	_ZL13mul_mat_f_idsI7__half2Li32ELi4ELi7EEvPKT_PKfPKiS7_S7_Pfiiiiiiiiiiiiii15HIP_vector_typeIjLj3EESA_,@function
_ZL13mul_mat_f_idsI7__half2Li32ELi4ELi7EEvPKT_PKfPKiS7_S7_Pfiiiiiiiiiiiiii15HIP_vector_typeIjLj3EESA_: ; @_ZL13mul_mat_f_idsI7__half2Li32ELi4ELi7EEvPKT_PKfPKiS7_S7_Pfiiiiiiiiiiiiii15HIP_vector_typeIjLj3EESA_
; %bb.0:
	s_add_u32 flat_scratch_lo, s6, s9
	s_addc_u32 flat_scratch_hi, s7, 0
	s_add_u32 s0, s0, s9
	s_addc_u32 s1, s1, 0
	s_add_u32 s8, s4, 0x80
	s_addc_u32 s9, s5, 0
	s_getpc_b64 s[4:5]
	s_add_u32 s4, s4, __FUNCTION__._ZL13mul_mat_f_idsIfLi32ELi4ELi1EEvPKT_PKfPKiS6_S6_Pfiiiiiiiiiiiiii15HIP_vector_typeIjLj3EES9_@rel32@lo+4
	s_addc_u32 s5, s5, __FUNCTION__._ZL13mul_mat_f_idsIfLi32ELi4ELi1EEvPKT_PKfPKiS6_S6_Pfiiiiiiiiiiiiii15HIP_vector_typeIjLj3EES9_@rel32@hi+12
	v_mov_b32_e32 v0, 0x13b
	v_mov_b32_e32 v1, s4
	;; [unrolled: 1-line block ×3, first 2 shown]
	s_mov_b32 s32, 0
	s_getpc_b64 s[6:7]
	s_add_u32 s6, s6, _ZL14no_device_codePKciS0_iS0_@rel32@lo+4
	s_addc_u32 s7, s7, _ZL14no_device_codePKciS0_iS0_@rel32@hi+12
	s_swappc_b64 s[30:31], s[6:7]
	.section	.rodata,"a",@progbits
	.p2align	6, 0x0
	.amdhsa_kernel _ZL13mul_mat_f_idsI7__half2Li32ELi4ELi7EEvPKT_PKfPKiS7_S7_Pfiiiiiiiiiiiiii15HIP_vector_typeIjLj3EESA_
		.amdhsa_group_segment_fixed_size 0
		.amdhsa_private_segment_fixed_size 16
		.amdhsa_kernarg_size 384
		.amdhsa_user_sgpr_count 8
		.amdhsa_user_sgpr_private_segment_buffer 1
		.amdhsa_user_sgpr_dispatch_ptr 0
		.amdhsa_user_sgpr_queue_ptr 0
		.amdhsa_user_sgpr_kernarg_segment_ptr 1
		.amdhsa_user_sgpr_dispatch_id 0
		.amdhsa_user_sgpr_flat_scratch_init 1
		.amdhsa_user_sgpr_kernarg_preload_length 0
		.amdhsa_user_sgpr_kernarg_preload_offset 0
		.amdhsa_user_sgpr_private_segment_size 0
		.amdhsa_uses_dynamic_stack 0
		.amdhsa_system_sgpr_private_segment_wavefront_offset 1
		.amdhsa_system_sgpr_workgroup_id_x 1
		.amdhsa_system_sgpr_workgroup_id_y 0
		.amdhsa_system_sgpr_workgroup_id_z 0
		.amdhsa_system_sgpr_workgroup_info 0
		.amdhsa_system_vgpr_workitem_id 0
		.amdhsa_next_free_vgpr 41
		.amdhsa_next_free_sgpr 34
		.amdhsa_accum_offset 44
		.amdhsa_reserve_vcc 1
		.amdhsa_reserve_flat_scratch 1
		.amdhsa_float_round_mode_32 0
		.amdhsa_float_round_mode_16_64 0
		.amdhsa_float_denorm_mode_32 3
		.amdhsa_float_denorm_mode_16_64 3
		.amdhsa_dx10_clamp 1
		.amdhsa_ieee_mode 1
		.amdhsa_fp16_overflow 0
		.amdhsa_tg_split 0
		.amdhsa_exception_fp_ieee_invalid_op 0
		.amdhsa_exception_fp_denorm_src 0
		.amdhsa_exception_fp_ieee_div_zero 0
		.amdhsa_exception_fp_ieee_overflow 0
		.amdhsa_exception_fp_ieee_underflow 0
		.amdhsa_exception_fp_ieee_inexact 0
		.amdhsa_exception_int_div_zero 0
	.end_amdhsa_kernel
	.section	.text._ZL13mul_mat_f_idsI7__half2Li32ELi4ELi7EEvPKT_PKfPKiS7_S7_Pfiiiiiiiiiiiiii15HIP_vector_typeIjLj3EESA_,"axG",@progbits,_ZL13mul_mat_f_idsI7__half2Li32ELi4ELi7EEvPKT_PKfPKiS7_S7_Pfiiiiiiiiiiiiii15HIP_vector_typeIjLj3EESA_,comdat
.Lfunc_end45:
	.size	_ZL13mul_mat_f_idsI7__half2Li32ELi4ELi7EEvPKT_PKfPKiS7_S7_Pfiiiiiiiiiiiiii15HIP_vector_typeIjLj3EESA_, .Lfunc_end45-_ZL13mul_mat_f_idsI7__half2Li32ELi4ELi7EEvPKT_PKfPKiS7_S7_Pfiiiiiiiiiiiiii15HIP_vector_typeIjLj3EESA_
                                        ; -- End function
	.section	.AMDGPU.csdata,"",@progbits
; Kernel info:
; codeLenInByte = 92
; NumSgprs: 40
; NumVgprs: 41
; NumAgprs: 0
; TotalNumVgprs: 41
; ScratchSize: 16
; MemoryBound: 0
; FloatMode: 240
; IeeeMode: 1
; LDSByteSize: 0 bytes/workgroup (compile time only)
; SGPRBlocks: 4
; VGPRBlocks: 5
; NumSGPRsForWavesPerEU: 40
; NumVGPRsForWavesPerEU: 41
; AccumOffset: 44
; Occupancy: 7
; WaveLimiterHint : 1
; COMPUTE_PGM_RSRC2:SCRATCH_EN: 1
; COMPUTE_PGM_RSRC2:USER_SGPR: 8
; COMPUTE_PGM_RSRC2:TRAP_HANDLER: 0
; COMPUTE_PGM_RSRC2:TGID_X_EN: 1
; COMPUTE_PGM_RSRC2:TGID_Y_EN: 0
; COMPUTE_PGM_RSRC2:TGID_Z_EN: 0
; COMPUTE_PGM_RSRC2:TIDIG_COMP_CNT: 0
; COMPUTE_PGM_RSRC3_GFX90A:ACCUM_OFFSET: 10
; COMPUTE_PGM_RSRC3_GFX90A:TG_SPLIT: 0
	.section	.text._ZL9mul_mat_fI7__half2Li32ELi4ELi7ELb1EEvPKT_PKfPKiPfiiiiiiiiiiiiiiii,"axG",@progbits,_ZL9mul_mat_fI7__half2Li32ELi4ELi7ELb1EEvPKT_PKfPKiPfiiiiiiiiiiiiiiii,comdat
	.globl	_ZL9mul_mat_fI7__half2Li32ELi4ELi7ELb1EEvPKT_PKfPKiPfiiiiiiiiiiiiiiii ; -- Begin function _ZL9mul_mat_fI7__half2Li32ELi4ELi7ELb1EEvPKT_PKfPKiPfiiiiiiiiiiiiiiii
	.p2align	8
	.type	_ZL9mul_mat_fI7__half2Li32ELi4ELi7ELb1EEvPKT_PKfPKiPfiiiiiiiiiiiiiiii,@function
_ZL9mul_mat_fI7__half2Li32ELi4ELi7ELb1EEvPKT_PKfPKiPfiiiiiiiiiiiiiiii: ; @_ZL9mul_mat_fI7__half2Li32ELi4ELi7ELb1EEvPKT_PKfPKiPfiiiiiiiiiiiiiiii
; %bb.0:
	s_add_u32 flat_scratch_lo, s6, s9
	s_addc_u32 flat_scratch_hi, s7, 0
	s_add_u32 s0, s0, s9
	s_addc_u32 s1, s1, 0
	s_add_u32 s8, s4, 0x60
	s_addc_u32 s9, s5, 0
	s_getpc_b64 s[4:5]
	s_add_u32 s4, s4, __FUNCTION__._ZL9mul_mat_fIfLi32ELi4ELi1ELb1EEvPKT_PKfPKiPfiiiiiiiiiiiiiiii@rel32@lo+4
	s_addc_u32 s5, s5, __FUNCTION__._ZL9mul_mat_fIfLi32ELi4ELi1ELb1EEvPKT_PKfPKiPfiiiiiiiiiiiiiiii@rel32@hi+12
	v_mov_b32_e32 v0, 64
	v_mov_b32_e32 v1, s4
	;; [unrolled: 1-line block ×3, first 2 shown]
	s_mov_b32 s32, 0
	s_getpc_b64 s[6:7]
	s_add_u32 s6, s6, _ZL14no_device_codePKciS0_iS0_@rel32@lo+4
	s_addc_u32 s7, s7, _ZL14no_device_codePKciS0_iS0_@rel32@hi+12
	s_swappc_b64 s[30:31], s[6:7]
	.section	.rodata,"a",@progbits
	.p2align	6, 0x0
	.amdhsa_kernel _ZL9mul_mat_fI7__half2Li32ELi4ELi7ELb1EEvPKT_PKfPKiPfiiiiiiiiiiiiiiii
		.amdhsa_group_segment_fixed_size 0
		.amdhsa_private_segment_fixed_size 16
		.amdhsa_kernarg_size 352
		.amdhsa_user_sgpr_count 8
		.amdhsa_user_sgpr_private_segment_buffer 1
		.amdhsa_user_sgpr_dispatch_ptr 0
		.amdhsa_user_sgpr_queue_ptr 0
		.amdhsa_user_sgpr_kernarg_segment_ptr 1
		.amdhsa_user_sgpr_dispatch_id 0
		.amdhsa_user_sgpr_flat_scratch_init 1
		.amdhsa_user_sgpr_kernarg_preload_length 0
		.amdhsa_user_sgpr_kernarg_preload_offset 0
		.amdhsa_user_sgpr_private_segment_size 0
		.amdhsa_uses_dynamic_stack 0
		.amdhsa_system_sgpr_private_segment_wavefront_offset 1
		.amdhsa_system_sgpr_workgroup_id_x 1
		.amdhsa_system_sgpr_workgroup_id_y 0
		.amdhsa_system_sgpr_workgroup_id_z 0
		.amdhsa_system_sgpr_workgroup_info 0
		.amdhsa_system_vgpr_workitem_id 0
		.amdhsa_next_free_vgpr 41
		.amdhsa_next_free_sgpr 34
		.amdhsa_accum_offset 44
		.amdhsa_reserve_vcc 1
		.amdhsa_reserve_flat_scratch 1
		.amdhsa_float_round_mode_32 0
		.amdhsa_float_round_mode_16_64 0
		.amdhsa_float_denorm_mode_32 3
		.amdhsa_float_denorm_mode_16_64 3
		.amdhsa_dx10_clamp 1
		.amdhsa_ieee_mode 1
		.amdhsa_fp16_overflow 0
		.amdhsa_tg_split 0
		.amdhsa_exception_fp_ieee_invalid_op 0
		.amdhsa_exception_fp_denorm_src 0
		.amdhsa_exception_fp_ieee_div_zero 0
		.amdhsa_exception_fp_ieee_overflow 0
		.amdhsa_exception_fp_ieee_underflow 0
		.amdhsa_exception_fp_ieee_inexact 0
		.amdhsa_exception_int_div_zero 0
	.end_amdhsa_kernel
	.section	.text._ZL9mul_mat_fI7__half2Li32ELi4ELi7ELb1EEvPKT_PKfPKiPfiiiiiiiiiiiiiiii,"axG",@progbits,_ZL9mul_mat_fI7__half2Li32ELi4ELi7ELb1EEvPKT_PKfPKiPfiiiiiiiiiiiiiiii,comdat
.Lfunc_end46:
	.size	_ZL9mul_mat_fI7__half2Li32ELi4ELi7ELb1EEvPKT_PKfPKiPfiiiiiiiiiiiiiiii, .Lfunc_end46-_ZL9mul_mat_fI7__half2Li32ELi4ELi7ELb1EEvPKT_PKfPKiPfiiiiiiiiiiiiiiii
                                        ; -- End function
	.section	.AMDGPU.csdata,"",@progbits
; Kernel info:
; codeLenInByte = 88
; NumSgprs: 40
; NumVgprs: 41
; NumAgprs: 0
; TotalNumVgprs: 41
; ScratchSize: 16
; MemoryBound: 0
; FloatMode: 240
; IeeeMode: 1
; LDSByteSize: 0 bytes/workgroup (compile time only)
; SGPRBlocks: 4
; VGPRBlocks: 5
; NumSGPRsForWavesPerEU: 40
; NumVGPRsForWavesPerEU: 41
; AccumOffset: 44
; Occupancy: 7
; WaveLimiterHint : 1
; COMPUTE_PGM_RSRC2:SCRATCH_EN: 1
; COMPUTE_PGM_RSRC2:USER_SGPR: 8
; COMPUTE_PGM_RSRC2:TRAP_HANDLER: 0
; COMPUTE_PGM_RSRC2:TGID_X_EN: 1
; COMPUTE_PGM_RSRC2:TGID_Y_EN: 0
; COMPUTE_PGM_RSRC2:TGID_Z_EN: 0
; COMPUTE_PGM_RSRC2:TIDIG_COMP_CNT: 0
; COMPUTE_PGM_RSRC3_GFX90A:ACCUM_OFFSET: 10
; COMPUTE_PGM_RSRC3_GFX90A:TG_SPLIT: 0
	.section	.text._ZL9mul_mat_fI7__half2Li32ELi4ELi7ELb0EEvPKT_PKfPKiPfiiiiiiiiiiiiiiii,"axG",@progbits,_ZL9mul_mat_fI7__half2Li32ELi4ELi7ELb0EEvPKT_PKfPKiPfiiiiiiiiiiiiiiii,comdat
	.globl	_ZL9mul_mat_fI7__half2Li32ELi4ELi7ELb0EEvPKT_PKfPKiPfiiiiiiiiiiiiiiii ; -- Begin function _ZL9mul_mat_fI7__half2Li32ELi4ELi7ELb0EEvPKT_PKfPKiPfiiiiiiiiiiiiiiii
	.p2align	8
	.type	_ZL9mul_mat_fI7__half2Li32ELi4ELi7ELb0EEvPKT_PKfPKiPfiiiiiiiiiiiiiiii,@function
_ZL9mul_mat_fI7__half2Li32ELi4ELi7ELb0EEvPKT_PKfPKiPfiiiiiiiiiiiiiiii: ; @_ZL9mul_mat_fI7__half2Li32ELi4ELi7ELb0EEvPKT_PKfPKiPfiiiiiiiiiiiiiiii
; %bb.0:
	s_add_u32 flat_scratch_lo, s6, s9
	s_addc_u32 flat_scratch_hi, s7, 0
	s_add_u32 s0, s0, s9
	s_addc_u32 s1, s1, 0
	s_add_u32 s8, s4, 0x60
	s_addc_u32 s9, s5, 0
	s_getpc_b64 s[4:5]
	s_add_u32 s4, s4, __FUNCTION__._ZL9mul_mat_fIfLi32ELi4ELi1ELb1EEvPKT_PKfPKiPfiiiiiiiiiiiiiiii@rel32@lo+4
	s_addc_u32 s5, s5, __FUNCTION__._ZL9mul_mat_fIfLi32ELi4ELi1ELb1EEvPKT_PKfPKiPfiiiiiiiiiiiiiiii@rel32@hi+12
	v_mov_b32_e32 v0, 64
	v_mov_b32_e32 v1, s4
	v_mov_b32_e32 v2, s5
	s_mov_b32 s32, 0
	s_getpc_b64 s[6:7]
	s_add_u32 s6, s6, _ZL14no_device_codePKciS0_iS0_@rel32@lo+4
	s_addc_u32 s7, s7, _ZL14no_device_codePKciS0_iS0_@rel32@hi+12
	s_swappc_b64 s[30:31], s[6:7]
	.section	.rodata,"a",@progbits
	.p2align	6, 0x0
	.amdhsa_kernel _ZL9mul_mat_fI7__half2Li32ELi4ELi7ELb0EEvPKT_PKfPKiPfiiiiiiiiiiiiiiii
		.amdhsa_group_segment_fixed_size 0
		.amdhsa_private_segment_fixed_size 16
		.amdhsa_kernarg_size 352
		.amdhsa_user_sgpr_count 8
		.amdhsa_user_sgpr_private_segment_buffer 1
		.amdhsa_user_sgpr_dispatch_ptr 0
		.amdhsa_user_sgpr_queue_ptr 0
		.amdhsa_user_sgpr_kernarg_segment_ptr 1
		.amdhsa_user_sgpr_dispatch_id 0
		.amdhsa_user_sgpr_flat_scratch_init 1
		.amdhsa_user_sgpr_kernarg_preload_length 0
		.amdhsa_user_sgpr_kernarg_preload_offset 0
		.amdhsa_user_sgpr_private_segment_size 0
		.amdhsa_uses_dynamic_stack 0
		.amdhsa_system_sgpr_private_segment_wavefront_offset 1
		.amdhsa_system_sgpr_workgroup_id_x 1
		.amdhsa_system_sgpr_workgroup_id_y 0
		.amdhsa_system_sgpr_workgroup_id_z 0
		.amdhsa_system_sgpr_workgroup_info 0
		.amdhsa_system_vgpr_workitem_id 0
		.amdhsa_next_free_vgpr 41
		.amdhsa_next_free_sgpr 34
		.amdhsa_accum_offset 44
		.amdhsa_reserve_vcc 1
		.amdhsa_reserve_flat_scratch 1
		.amdhsa_float_round_mode_32 0
		.amdhsa_float_round_mode_16_64 0
		.amdhsa_float_denorm_mode_32 3
		.amdhsa_float_denorm_mode_16_64 3
		.amdhsa_dx10_clamp 1
		.amdhsa_ieee_mode 1
		.amdhsa_fp16_overflow 0
		.amdhsa_tg_split 0
		.amdhsa_exception_fp_ieee_invalid_op 0
		.amdhsa_exception_fp_denorm_src 0
		.amdhsa_exception_fp_ieee_div_zero 0
		.amdhsa_exception_fp_ieee_overflow 0
		.amdhsa_exception_fp_ieee_underflow 0
		.amdhsa_exception_fp_ieee_inexact 0
		.amdhsa_exception_int_div_zero 0
	.end_amdhsa_kernel
	.section	.text._ZL9mul_mat_fI7__half2Li32ELi4ELi7ELb0EEvPKT_PKfPKiPfiiiiiiiiiiiiiiii,"axG",@progbits,_ZL9mul_mat_fI7__half2Li32ELi4ELi7ELb0EEvPKT_PKfPKiPfiiiiiiiiiiiiiiii,comdat
.Lfunc_end47:
	.size	_ZL9mul_mat_fI7__half2Li32ELi4ELi7ELb0EEvPKT_PKfPKiPfiiiiiiiiiiiiiiii, .Lfunc_end47-_ZL9mul_mat_fI7__half2Li32ELi4ELi7ELb0EEvPKT_PKfPKiPfiiiiiiiiiiiiiiii
                                        ; -- End function
	.section	.AMDGPU.csdata,"",@progbits
; Kernel info:
; codeLenInByte = 88
; NumSgprs: 40
; NumVgprs: 41
; NumAgprs: 0
; TotalNumVgprs: 41
; ScratchSize: 16
; MemoryBound: 0
; FloatMode: 240
; IeeeMode: 1
; LDSByteSize: 0 bytes/workgroup (compile time only)
; SGPRBlocks: 4
; VGPRBlocks: 5
; NumSGPRsForWavesPerEU: 40
; NumVGPRsForWavesPerEU: 41
; AccumOffset: 44
; Occupancy: 7
; WaveLimiterHint : 1
; COMPUTE_PGM_RSRC2:SCRATCH_EN: 1
; COMPUTE_PGM_RSRC2:USER_SGPR: 8
; COMPUTE_PGM_RSRC2:TRAP_HANDLER: 0
; COMPUTE_PGM_RSRC2:TGID_X_EN: 1
; COMPUTE_PGM_RSRC2:TGID_Y_EN: 0
; COMPUTE_PGM_RSRC2:TGID_Z_EN: 0
; COMPUTE_PGM_RSRC2:TIDIG_COMP_CNT: 0
; COMPUTE_PGM_RSRC3_GFX90A:ACCUM_OFFSET: 10
; COMPUTE_PGM_RSRC3_GFX90A:TG_SPLIT: 0
	.section	.text._ZL13mul_mat_f_idsI7__half2Li32ELi4ELi8EEvPKT_PKfPKiS7_S7_Pfiiiiiiiiiiiiii15HIP_vector_typeIjLj3EESA_,"axG",@progbits,_ZL13mul_mat_f_idsI7__half2Li32ELi4ELi8EEvPKT_PKfPKiS7_S7_Pfiiiiiiiiiiiiii15HIP_vector_typeIjLj3EESA_,comdat
	.globl	_ZL13mul_mat_f_idsI7__half2Li32ELi4ELi8EEvPKT_PKfPKiS7_S7_Pfiiiiiiiiiiiiii15HIP_vector_typeIjLj3EESA_ ; -- Begin function _ZL13mul_mat_f_idsI7__half2Li32ELi4ELi8EEvPKT_PKfPKiS7_S7_Pfiiiiiiiiiiiiii15HIP_vector_typeIjLj3EESA_
	.p2align	8
	.type	_ZL13mul_mat_f_idsI7__half2Li32ELi4ELi8EEvPKT_PKfPKiS7_S7_Pfiiiiiiiiiiiiii15HIP_vector_typeIjLj3EESA_,@function
_ZL13mul_mat_f_idsI7__half2Li32ELi4ELi8EEvPKT_PKfPKiS7_S7_Pfiiiiiiiiiiiiii15HIP_vector_typeIjLj3EESA_: ; @_ZL13mul_mat_f_idsI7__half2Li32ELi4ELi8EEvPKT_PKfPKiS7_S7_Pfiiiiiiiiiiiiii15HIP_vector_typeIjLj3EESA_
; %bb.0:
	s_add_u32 flat_scratch_lo, s6, s9
	s_addc_u32 flat_scratch_hi, s7, 0
	s_add_u32 s0, s0, s9
	s_addc_u32 s1, s1, 0
	s_add_u32 s8, s4, 0x80
	s_addc_u32 s9, s5, 0
	s_getpc_b64 s[4:5]
	s_add_u32 s4, s4, __FUNCTION__._ZL13mul_mat_f_idsIfLi32ELi4ELi1EEvPKT_PKfPKiS6_S6_Pfiiiiiiiiiiiiii15HIP_vector_typeIjLj3EES9_@rel32@lo+4
	s_addc_u32 s5, s5, __FUNCTION__._ZL13mul_mat_f_idsIfLi32ELi4ELi1EEvPKT_PKfPKiS6_S6_Pfiiiiiiiiiiiiii15HIP_vector_typeIjLj3EES9_@rel32@hi+12
	v_mov_b32_e32 v0, 0x13b
	v_mov_b32_e32 v1, s4
	;; [unrolled: 1-line block ×3, first 2 shown]
	s_mov_b32 s32, 0
	s_getpc_b64 s[6:7]
	s_add_u32 s6, s6, _ZL14no_device_codePKciS0_iS0_@rel32@lo+4
	s_addc_u32 s7, s7, _ZL14no_device_codePKciS0_iS0_@rel32@hi+12
	s_swappc_b64 s[30:31], s[6:7]
	.section	.rodata,"a",@progbits
	.p2align	6, 0x0
	.amdhsa_kernel _ZL13mul_mat_f_idsI7__half2Li32ELi4ELi8EEvPKT_PKfPKiS7_S7_Pfiiiiiiiiiiiiii15HIP_vector_typeIjLj3EESA_
		.amdhsa_group_segment_fixed_size 0
		.amdhsa_private_segment_fixed_size 16
		.amdhsa_kernarg_size 384
		.amdhsa_user_sgpr_count 8
		.amdhsa_user_sgpr_private_segment_buffer 1
		.amdhsa_user_sgpr_dispatch_ptr 0
		.amdhsa_user_sgpr_queue_ptr 0
		.amdhsa_user_sgpr_kernarg_segment_ptr 1
		.amdhsa_user_sgpr_dispatch_id 0
		.amdhsa_user_sgpr_flat_scratch_init 1
		.amdhsa_user_sgpr_kernarg_preload_length 0
		.amdhsa_user_sgpr_kernarg_preload_offset 0
		.amdhsa_user_sgpr_private_segment_size 0
		.amdhsa_uses_dynamic_stack 0
		.amdhsa_system_sgpr_private_segment_wavefront_offset 1
		.amdhsa_system_sgpr_workgroup_id_x 1
		.amdhsa_system_sgpr_workgroup_id_y 0
		.amdhsa_system_sgpr_workgroup_id_z 0
		.amdhsa_system_sgpr_workgroup_info 0
		.amdhsa_system_vgpr_workitem_id 0
		.amdhsa_next_free_vgpr 41
		.amdhsa_next_free_sgpr 34
		.amdhsa_accum_offset 44
		.amdhsa_reserve_vcc 1
		.amdhsa_reserve_flat_scratch 1
		.amdhsa_float_round_mode_32 0
		.amdhsa_float_round_mode_16_64 0
		.amdhsa_float_denorm_mode_32 3
		.amdhsa_float_denorm_mode_16_64 3
		.amdhsa_dx10_clamp 1
		.amdhsa_ieee_mode 1
		.amdhsa_fp16_overflow 0
		.amdhsa_tg_split 0
		.amdhsa_exception_fp_ieee_invalid_op 0
		.amdhsa_exception_fp_denorm_src 0
		.amdhsa_exception_fp_ieee_div_zero 0
		.amdhsa_exception_fp_ieee_overflow 0
		.amdhsa_exception_fp_ieee_underflow 0
		.amdhsa_exception_fp_ieee_inexact 0
		.amdhsa_exception_int_div_zero 0
	.end_amdhsa_kernel
	.section	.text._ZL13mul_mat_f_idsI7__half2Li32ELi4ELi8EEvPKT_PKfPKiS7_S7_Pfiiiiiiiiiiiiii15HIP_vector_typeIjLj3EESA_,"axG",@progbits,_ZL13mul_mat_f_idsI7__half2Li32ELi4ELi8EEvPKT_PKfPKiS7_S7_Pfiiiiiiiiiiiiii15HIP_vector_typeIjLj3EESA_,comdat
.Lfunc_end48:
	.size	_ZL13mul_mat_f_idsI7__half2Li32ELi4ELi8EEvPKT_PKfPKiS7_S7_Pfiiiiiiiiiiiiii15HIP_vector_typeIjLj3EESA_, .Lfunc_end48-_ZL13mul_mat_f_idsI7__half2Li32ELi4ELi8EEvPKT_PKfPKiS7_S7_Pfiiiiiiiiiiiiii15HIP_vector_typeIjLj3EESA_
                                        ; -- End function
	.section	.AMDGPU.csdata,"",@progbits
; Kernel info:
; codeLenInByte = 92
; NumSgprs: 40
; NumVgprs: 41
; NumAgprs: 0
; TotalNumVgprs: 41
; ScratchSize: 16
; MemoryBound: 0
; FloatMode: 240
; IeeeMode: 1
; LDSByteSize: 0 bytes/workgroup (compile time only)
; SGPRBlocks: 4
; VGPRBlocks: 5
; NumSGPRsForWavesPerEU: 40
; NumVGPRsForWavesPerEU: 41
; AccumOffset: 44
; Occupancy: 8
; WaveLimiterHint : 1
; COMPUTE_PGM_RSRC2:SCRATCH_EN: 1
; COMPUTE_PGM_RSRC2:USER_SGPR: 8
; COMPUTE_PGM_RSRC2:TRAP_HANDLER: 0
; COMPUTE_PGM_RSRC2:TGID_X_EN: 1
; COMPUTE_PGM_RSRC2:TGID_Y_EN: 0
; COMPUTE_PGM_RSRC2:TGID_Z_EN: 0
; COMPUTE_PGM_RSRC2:TIDIG_COMP_CNT: 0
; COMPUTE_PGM_RSRC3_GFX90A:ACCUM_OFFSET: 10
; COMPUTE_PGM_RSRC3_GFX90A:TG_SPLIT: 0
	.section	.text._ZL9mul_mat_fI7__half2Li32ELi4ELi8ELb1EEvPKT_PKfPKiPfiiiiiiiiiiiiiiii,"axG",@progbits,_ZL9mul_mat_fI7__half2Li32ELi4ELi8ELb1EEvPKT_PKfPKiPfiiiiiiiiiiiiiiii,comdat
	.globl	_ZL9mul_mat_fI7__half2Li32ELi4ELi8ELb1EEvPKT_PKfPKiPfiiiiiiiiiiiiiiii ; -- Begin function _ZL9mul_mat_fI7__half2Li32ELi4ELi8ELb1EEvPKT_PKfPKiPfiiiiiiiiiiiiiiii
	.p2align	8
	.type	_ZL9mul_mat_fI7__half2Li32ELi4ELi8ELb1EEvPKT_PKfPKiPfiiiiiiiiiiiiiiii,@function
_ZL9mul_mat_fI7__half2Li32ELi4ELi8ELb1EEvPKT_PKfPKiPfiiiiiiiiiiiiiiii: ; @_ZL9mul_mat_fI7__half2Li32ELi4ELi8ELb1EEvPKT_PKfPKiPfiiiiiiiiiiiiiiii
; %bb.0:
	s_add_u32 flat_scratch_lo, s6, s9
	s_addc_u32 flat_scratch_hi, s7, 0
	s_add_u32 s0, s0, s9
	s_addc_u32 s1, s1, 0
	s_add_u32 s8, s4, 0x60
	s_addc_u32 s9, s5, 0
	s_getpc_b64 s[4:5]
	s_add_u32 s4, s4, __FUNCTION__._ZL9mul_mat_fIfLi32ELi4ELi1ELb1EEvPKT_PKfPKiPfiiiiiiiiiiiiiiii@rel32@lo+4
	s_addc_u32 s5, s5, __FUNCTION__._ZL9mul_mat_fIfLi32ELi4ELi1ELb1EEvPKT_PKfPKiPfiiiiiiiiiiiiiiii@rel32@hi+12
	v_mov_b32_e32 v0, 64
	v_mov_b32_e32 v1, s4
	;; [unrolled: 1-line block ×3, first 2 shown]
	s_mov_b32 s32, 0
	s_getpc_b64 s[6:7]
	s_add_u32 s6, s6, _ZL14no_device_codePKciS0_iS0_@rel32@lo+4
	s_addc_u32 s7, s7, _ZL14no_device_codePKciS0_iS0_@rel32@hi+12
	s_swappc_b64 s[30:31], s[6:7]
	.section	.rodata,"a",@progbits
	.p2align	6, 0x0
	.amdhsa_kernel _ZL9mul_mat_fI7__half2Li32ELi4ELi8ELb1EEvPKT_PKfPKiPfiiiiiiiiiiiiiiii
		.amdhsa_group_segment_fixed_size 0
		.amdhsa_private_segment_fixed_size 16
		.amdhsa_kernarg_size 352
		.amdhsa_user_sgpr_count 8
		.amdhsa_user_sgpr_private_segment_buffer 1
		.amdhsa_user_sgpr_dispatch_ptr 0
		.amdhsa_user_sgpr_queue_ptr 0
		.amdhsa_user_sgpr_kernarg_segment_ptr 1
		.amdhsa_user_sgpr_dispatch_id 0
		.amdhsa_user_sgpr_flat_scratch_init 1
		.amdhsa_user_sgpr_kernarg_preload_length 0
		.amdhsa_user_sgpr_kernarg_preload_offset 0
		.amdhsa_user_sgpr_private_segment_size 0
		.amdhsa_uses_dynamic_stack 0
		.amdhsa_system_sgpr_private_segment_wavefront_offset 1
		.amdhsa_system_sgpr_workgroup_id_x 1
		.amdhsa_system_sgpr_workgroup_id_y 0
		.amdhsa_system_sgpr_workgroup_id_z 0
		.amdhsa_system_sgpr_workgroup_info 0
		.amdhsa_system_vgpr_workitem_id 0
		.amdhsa_next_free_vgpr 41
		.amdhsa_next_free_sgpr 34
		.amdhsa_accum_offset 44
		.amdhsa_reserve_vcc 1
		.amdhsa_reserve_flat_scratch 1
		.amdhsa_float_round_mode_32 0
		.amdhsa_float_round_mode_16_64 0
		.amdhsa_float_denorm_mode_32 3
		.amdhsa_float_denorm_mode_16_64 3
		.amdhsa_dx10_clamp 1
		.amdhsa_ieee_mode 1
		.amdhsa_fp16_overflow 0
		.amdhsa_tg_split 0
		.amdhsa_exception_fp_ieee_invalid_op 0
		.amdhsa_exception_fp_denorm_src 0
		.amdhsa_exception_fp_ieee_div_zero 0
		.amdhsa_exception_fp_ieee_overflow 0
		.amdhsa_exception_fp_ieee_underflow 0
		.amdhsa_exception_fp_ieee_inexact 0
		.amdhsa_exception_int_div_zero 0
	.end_amdhsa_kernel
	.section	.text._ZL9mul_mat_fI7__half2Li32ELi4ELi8ELb1EEvPKT_PKfPKiPfiiiiiiiiiiiiiiii,"axG",@progbits,_ZL9mul_mat_fI7__half2Li32ELi4ELi8ELb1EEvPKT_PKfPKiPfiiiiiiiiiiiiiiii,comdat
.Lfunc_end49:
	.size	_ZL9mul_mat_fI7__half2Li32ELi4ELi8ELb1EEvPKT_PKfPKiPfiiiiiiiiiiiiiiii, .Lfunc_end49-_ZL9mul_mat_fI7__half2Li32ELi4ELi8ELb1EEvPKT_PKfPKiPfiiiiiiiiiiiiiiii
                                        ; -- End function
	.section	.AMDGPU.csdata,"",@progbits
; Kernel info:
; codeLenInByte = 88
; NumSgprs: 40
; NumVgprs: 41
; NumAgprs: 0
; TotalNumVgprs: 41
; ScratchSize: 16
; MemoryBound: 0
; FloatMode: 240
; IeeeMode: 1
; LDSByteSize: 0 bytes/workgroup (compile time only)
; SGPRBlocks: 4
; VGPRBlocks: 5
; NumSGPRsForWavesPerEU: 40
; NumVGPRsForWavesPerEU: 41
; AccumOffset: 44
; Occupancy: 8
; WaveLimiterHint : 1
; COMPUTE_PGM_RSRC2:SCRATCH_EN: 1
; COMPUTE_PGM_RSRC2:USER_SGPR: 8
; COMPUTE_PGM_RSRC2:TRAP_HANDLER: 0
; COMPUTE_PGM_RSRC2:TGID_X_EN: 1
; COMPUTE_PGM_RSRC2:TGID_Y_EN: 0
; COMPUTE_PGM_RSRC2:TGID_Z_EN: 0
; COMPUTE_PGM_RSRC2:TIDIG_COMP_CNT: 0
; COMPUTE_PGM_RSRC3_GFX90A:ACCUM_OFFSET: 10
; COMPUTE_PGM_RSRC3_GFX90A:TG_SPLIT: 0
	.section	.text._ZL9mul_mat_fI7__half2Li32ELi4ELi8ELb0EEvPKT_PKfPKiPfiiiiiiiiiiiiiiii,"axG",@progbits,_ZL9mul_mat_fI7__half2Li32ELi4ELi8ELb0EEvPKT_PKfPKiPfiiiiiiiiiiiiiiii,comdat
	.globl	_ZL9mul_mat_fI7__half2Li32ELi4ELi8ELb0EEvPKT_PKfPKiPfiiiiiiiiiiiiiiii ; -- Begin function _ZL9mul_mat_fI7__half2Li32ELi4ELi8ELb0EEvPKT_PKfPKiPfiiiiiiiiiiiiiiii
	.p2align	8
	.type	_ZL9mul_mat_fI7__half2Li32ELi4ELi8ELb0EEvPKT_PKfPKiPfiiiiiiiiiiiiiiii,@function
_ZL9mul_mat_fI7__half2Li32ELi4ELi8ELb0EEvPKT_PKfPKiPfiiiiiiiiiiiiiiii: ; @_ZL9mul_mat_fI7__half2Li32ELi4ELi8ELb0EEvPKT_PKfPKiPfiiiiiiiiiiiiiiii
; %bb.0:
	s_add_u32 flat_scratch_lo, s6, s9
	s_addc_u32 flat_scratch_hi, s7, 0
	s_add_u32 s0, s0, s9
	s_addc_u32 s1, s1, 0
	s_add_u32 s8, s4, 0x60
	s_addc_u32 s9, s5, 0
	s_getpc_b64 s[4:5]
	s_add_u32 s4, s4, __FUNCTION__._ZL9mul_mat_fIfLi32ELi4ELi1ELb1EEvPKT_PKfPKiPfiiiiiiiiiiiiiiii@rel32@lo+4
	s_addc_u32 s5, s5, __FUNCTION__._ZL9mul_mat_fIfLi32ELi4ELi1ELb1EEvPKT_PKfPKiPfiiiiiiiiiiiiiiii@rel32@hi+12
	v_mov_b32_e32 v0, 64
	v_mov_b32_e32 v1, s4
	;; [unrolled: 1-line block ×3, first 2 shown]
	s_mov_b32 s32, 0
	s_getpc_b64 s[6:7]
	s_add_u32 s6, s6, _ZL14no_device_codePKciS0_iS0_@rel32@lo+4
	s_addc_u32 s7, s7, _ZL14no_device_codePKciS0_iS0_@rel32@hi+12
	s_swappc_b64 s[30:31], s[6:7]
	.section	.rodata,"a",@progbits
	.p2align	6, 0x0
	.amdhsa_kernel _ZL9mul_mat_fI7__half2Li32ELi4ELi8ELb0EEvPKT_PKfPKiPfiiiiiiiiiiiiiiii
		.amdhsa_group_segment_fixed_size 0
		.amdhsa_private_segment_fixed_size 16
		.amdhsa_kernarg_size 352
		.amdhsa_user_sgpr_count 8
		.amdhsa_user_sgpr_private_segment_buffer 1
		.amdhsa_user_sgpr_dispatch_ptr 0
		.amdhsa_user_sgpr_queue_ptr 0
		.amdhsa_user_sgpr_kernarg_segment_ptr 1
		.amdhsa_user_sgpr_dispatch_id 0
		.amdhsa_user_sgpr_flat_scratch_init 1
		.amdhsa_user_sgpr_kernarg_preload_length 0
		.amdhsa_user_sgpr_kernarg_preload_offset 0
		.amdhsa_user_sgpr_private_segment_size 0
		.amdhsa_uses_dynamic_stack 0
		.amdhsa_system_sgpr_private_segment_wavefront_offset 1
		.amdhsa_system_sgpr_workgroup_id_x 1
		.amdhsa_system_sgpr_workgroup_id_y 0
		.amdhsa_system_sgpr_workgroup_id_z 0
		.amdhsa_system_sgpr_workgroup_info 0
		.amdhsa_system_vgpr_workitem_id 0
		.amdhsa_next_free_vgpr 41
		.amdhsa_next_free_sgpr 34
		.amdhsa_accum_offset 44
		.amdhsa_reserve_vcc 1
		.amdhsa_reserve_flat_scratch 1
		.amdhsa_float_round_mode_32 0
		.amdhsa_float_round_mode_16_64 0
		.amdhsa_float_denorm_mode_32 3
		.amdhsa_float_denorm_mode_16_64 3
		.amdhsa_dx10_clamp 1
		.amdhsa_ieee_mode 1
		.amdhsa_fp16_overflow 0
		.amdhsa_tg_split 0
		.amdhsa_exception_fp_ieee_invalid_op 0
		.amdhsa_exception_fp_denorm_src 0
		.amdhsa_exception_fp_ieee_div_zero 0
		.amdhsa_exception_fp_ieee_overflow 0
		.amdhsa_exception_fp_ieee_underflow 0
		.amdhsa_exception_fp_ieee_inexact 0
		.amdhsa_exception_int_div_zero 0
	.end_amdhsa_kernel
	.section	.text._ZL9mul_mat_fI7__half2Li32ELi4ELi8ELb0EEvPKT_PKfPKiPfiiiiiiiiiiiiiiii,"axG",@progbits,_ZL9mul_mat_fI7__half2Li32ELi4ELi8ELb0EEvPKT_PKfPKiPfiiiiiiiiiiiiiiii,comdat
.Lfunc_end50:
	.size	_ZL9mul_mat_fI7__half2Li32ELi4ELi8ELb0EEvPKT_PKfPKiPfiiiiiiiiiiiiiiii, .Lfunc_end50-_ZL9mul_mat_fI7__half2Li32ELi4ELi8ELb0EEvPKT_PKfPKiPfiiiiiiiiiiiiiiii
                                        ; -- End function
	.section	.AMDGPU.csdata,"",@progbits
; Kernel info:
; codeLenInByte = 88
; NumSgprs: 40
; NumVgprs: 41
; NumAgprs: 0
; TotalNumVgprs: 41
; ScratchSize: 16
; MemoryBound: 0
; FloatMode: 240
; IeeeMode: 1
; LDSByteSize: 0 bytes/workgroup (compile time only)
; SGPRBlocks: 4
; VGPRBlocks: 5
; NumSGPRsForWavesPerEU: 40
; NumVGPRsForWavesPerEU: 41
; AccumOffset: 44
; Occupancy: 8
; WaveLimiterHint : 1
; COMPUTE_PGM_RSRC2:SCRATCH_EN: 1
; COMPUTE_PGM_RSRC2:USER_SGPR: 8
; COMPUTE_PGM_RSRC2:TRAP_HANDLER: 0
; COMPUTE_PGM_RSRC2:TGID_X_EN: 1
; COMPUTE_PGM_RSRC2:TGID_Y_EN: 0
; COMPUTE_PGM_RSRC2:TGID_Z_EN: 0
; COMPUTE_PGM_RSRC2:TIDIG_COMP_CNT: 0
; COMPUTE_PGM_RSRC3_GFX90A:ACCUM_OFFSET: 10
; COMPUTE_PGM_RSRC3_GFX90A:TG_SPLIT: 0
	.section	.text._ZL13mul_mat_f_idsI15__hip_bfloat162Li32ELi4ELi1EEvPKT_PKfPKiS7_S7_Pfiiiiiiiiiiiiii15HIP_vector_typeIjLj3EESA_,"axG",@progbits,_ZL13mul_mat_f_idsI15__hip_bfloat162Li32ELi4ELi1EEvPKT_PKfPKiS7_S7_Pfiiiiiiiiiiiiii15HIP_vector_typeIjLj3EESA_,comdat
	.globl	_ZL13mul_mat_f_idsI15__hip_bfloat162Li32ELi4ELi1EEvPKT_PKfPKiS7_S7_Pfiiiiiiiiiiiiii15HIP_vector_typeIjLj3EESA_ ; -- Begin function _ZL13mul_mat_f_idsI15__hip_bfloat162Li32ELi4ELi1EEvPKT_PKfPKiS7_S7_Pfiiiiiiiiiiiiii15HIP_vector_typeIjLj3EESA_
	.p2align	8
	.type	_ZL13mul_mat_f_idsI15__hip_bfloat162Li32ELi4ELi1EEvPKT_PKfPKiS7_S7_Pfiiiiiiiiiiiiii15HIP_vector_typeIjLj3EESA_,@function
_ZL13mul_mat_f_idsI15__hip_bfloat162Li32ELi4ELi1EEvPKT_PKfPKiS7_S7_Pfiiiiiiiiiiiiii15HIP_vector_typeIjLj3EESA_: ; @_ZL13mul_mat_f_idsI15__hip_bfloat162Li32ELi4ELi1EEvPKT_PKfPKiS7_S7_Pfiiiiiiiiiiiiii15HIP_vector_typeIjLj3EESA_
; %bb.0:
	s_add_u32 flat_scratch_lo, s6, s9
	s_addc_u32 flat_scratch_hi, s7, 0
	s_add_u32 s0, s0, s9
	s_addc_u32 s1, s1, 0
	s_add_u32 s8, s4, 0x80
	s_addc_u32 s9, s5, 0
	s_getpc_b64 s[4:5]
	s_add_u32 s4, s4, __FUNCTION__._ZL13mul_mat_f_idsIfLi32ELi4ELi1EEvPKT_PKfPKiS6_S6_Pfiiiiiiiiiiiiii15HIP_vector_typeIjLj3EES9_@rel32@lo+4
	s_addc_u32 s5, s5, __FUNCTION__._ZL13mul_mat_f_idsIfLi32ELi4ELi1EEvPKT_PKfPKiS6_S6_Pfiiiiiiiiiiiiii15HIP_vector_typeIjLj3EES9_@rel32@hi+12
	v_mov_b32_e32 v0, 0x13b
	v_mov_b32_e32 v1, s4
	;; [unrolled: 1-line block ×3, first 2 shown]
	s_mov_b32 s32, 0
	s_getpc_b64 s[6:7]
	s_add_u32 s6, s6, _ZL14no_device_codePKciS0_iS0_@rel32@lo+4
	s_addc_u32 s7, s7, _ZL14no_device_codePKciS0_iS0_@rel32@hi+12
	s_swappc_b64 s[30:31], s[6:7]
	.section	.rodata,"a",@progbits
	.p2align	6, 0x0
	.amdhsa_kernel _ZL13mul_mat_f_idsI15__hip_bfloat162Li32ELi4ELi1EEvPKT_PKfPKiS7_S7_Pfiiiiiiiiiiiiii15HIP_vector_typeIjLj3EESA_
		.amdhsa_group_segment_fixed_size 0
		.amdhsa_private_segment_fixed_size 16
		.amdhsa_kernarg_size 384
		.amdhsa_user_sgpr_count 8
		.amdhsa_user_sgpr_private_segment_buffer 1
		.amdhsa_user_sgpr_dispatch_ptr 0
		.amdhsa_user_sgpr_queue_ptr 0
		.amdhsa_user_sgpr_kernarg_segment_ptr 1
		.amdhsa_user_sgpr_dispatch_id 0
		.amdhsa_user_sgpr_flat_scratch_init 1
		.amdhsa_user_sgpr_kernarg_preload_length 0
		.amdhsa_user_sgpr_kernarg_preload_offset 0
		.amdhsa_user_sgpr_private_segment_size 0
		.amdhsa_uses_dynamic_stack 0
		.amdhsa_system_sgpr_private_segment_wavefront_offset 1
		.amdhsa_system_sgpr_workgroup_id_x 1
		.amdhsa_system_sgpr_workgroup_id_y 0
		.amdhsa_system_sgpr_workgroup_id_z 0
		.amdhsa_system_sgpr_workgroup_info 0
		.amdhsa_system_vgpr_workitem_id 0
		.amdhsa_next_free_vgpr 41
		.amdhsa_next_free_sgpr 34
		.amdhsa_accum_offset 44
		.amdhsa_reserve_vcc 1
		.amdhsa_reserve_flat_scratch 1
		.amdhsa_float_round_mode_32 0
		.amdhsa_float_round_mode_16_64 0
		.amdhsa_float_denorm_mode_32 3
		.amdhsa_float_denorm_mode_16_64 3
		.amdhsa_dx10_clamp 1
		.amdhsa_ieee_mode 1
		.amdhsa_fp16_overflow 0
		.amdhsa_tg_split 0
		.amdhsa_exception_fp_ieee_invalid_op 0
		.amdhsa_exception_fp_denorm_src 0
		.amdhsa_exception_fp_ieee_div_zero 0
		.amdhsa_exception_fp_ieee_overflow 0
		.amdhsa_exception_fp_ieee_underflow 0
		.amdhsa_exception_fp_ieee_inexact 0
		.amdhsa_exception_int_div_zero 0
	.end_amdhsa_kernel
	.section	.text._ZL13mul_mat_f_idsI15__hip_bfloat162Li32ELi4ELi1EEvPKT_PKfPKiS7_S7_Pfiiiiiiiiiiiiii15HIP_vector_typeIjLj3EESA_,"axG",@progbits,_ZL13mul_mat_f_idsI15__hip_bfloat162Li32ELi4ELi1EEvPKT_PKfPKiS7_S7_Pfiiiiiiiiiiiiii15HIP_vector_typeIjLj3EESA_,comdat
.Lfunc_end51:
	.size	_ZL13mul_mat_f_idsI15__hip_bfloat162Li32ELi4ELi1EEvPKT_PKfPKiS7_S7_Pfiiiiiiiiiiiiii15HIP_vector_typeIjLj3EESA_, .Lfunc_end51-_ZL13mul_mat_f_idsI15__hip_bfloat162Li32ELi4ELi1EEvPKT_PKfPKiS7_S7_Pfiiiiiiiiiiiiii15HIP_vector_typeIjLj3EESA_
                                        ; -- End function
	.section	.AMDGPU.csdata,"",@progbits
; Kernel info:
; codeLenInByte = 92
; NumSgprs: 40
; NumVgprs: 41
; NumAgprs: 0
; TotalNumVgprs: 41
; ScratchSize: 16
; MemoryBound: 0
; FloatMode: 240
; IeeeMode: 1
; LDSByteSize: 0 bytes/workgroup (compile time only)
; SGPRBlocks: 4
; VGPRBlocks: 5
; NumSGPRsForWavesPerEU: 40
; NumVGPRsForWavesPerEU: 41
; AccumOffset: 44
; Occupancy: 8
; WaveLimiterHint : 1
; COMPUTE_PGM_RSRC2:SCRATCH_EN: 1
; COMPUTE_PGM_RSRC2:USER_SGPR: 8
; COMPUTE_PGM_RSRC2:TRAP_HANDLER: 0
; COMPUTE_PGM_RSRC2:TGID_X_EN: 1
; COMPUTE_PGM_RSRC2:TGID_Y_EN: 0
; COMPUTE_PGM_RSRC2:TGID_Z_EN: 0
; COMPUTE_PGM_RSRC2:TIDIG_COMP_CNT: 0
; COMPUTE_PGM_RSRC3_GFX90A:ACCUM_OFFSET: 10
; COMPUTE_PGM_RSRC3_GFX90A:TG_SPLIT: 0
	.section	.text._ZL9mul_mat_fI15__hip_bfloat162Li32ELi4ELi1ELb1EEvPKT_PKfPKiPfiiiiiiiiiiiiiiii,"axG",@progbits,_ZL9mul_mat_fI15__hip_bfloat162Li32ELi4ELi1ELb1EEvPKT_PKfPKiPfiiiiiiiiiiiiiiii,comdat
	.globl	_ZL9mul_mat_fI15__hip_bfloat162Li32ELi4ELi1ELb1EEvPKT_PKfPKiPfiiiiiiiiiiiiiiii ; -- Begin function _ZL9mul_mat_fI15__hip_bfloat162Li32ELi4ELi1ELb1EEvPKT_PKfPKiPfiiiiiiiiiiiiiiii
	.p2align	8
	.type	_ZL9mul_mat_fI15__hip_bfloat162Li32ELi4ELi1ELb1EEvPKT_PKfPKiPfiiiiiiiiiiiiiiii,@function
_ZL9mul_mat_fI15__hip_bfloat162Li32ELi4ELi1ELb1EEvPKT_PKfPKiPfiiiiiiiiiiiiiiii: ; @_ZL9mul_mat_fI15__hip_bfloat162Li32ELi4ELi1ELb1EEvPKT_PKfPKiPfiiiiiiiiiiiiiiii
; %bb.0:
	s_add_u32 flat_scratch_lo, s6, s9
	s_addc_u32 flat_scratch_hi, s7, 0
	s_add_u32 s0, s0, s9
	s_addc_u32 s1, s1, 0
	s_add_u32 s8, s4, 0x60
	s_addc_u32 s9, s5, 0
	s_getpc_b64 s[4:5]
	s_add_u32 s4, s4, __FUNCTION__._ZL9mul_mat_fIfLi32ELi4ELi1ELb1EEvPKT_PKfPKiPfiiiiiiiiiiiiiiii@rel32@lo+4
	s_addc_u32 s5, s5, __FUNCTION__._ZL9mul_mat_fIfLi32ELi4ELi1ELb1EEvPKT_PKfPKiPfiiiiiiiiiiiiiiii@rel32@hi+12
	v_mov_b32_e32 v0, 64
	v_mov_b32_e32 v1, s4
	;; [unrolled: 1-line block ×3, first 2 shown]
	s_mov_b32 s32, 0
	s_getpc_b64 s[6:7]
	s_add_u32 s6, s6, _ZL14no_device_codePKciS0_iS0_@rel32@lo+4
	s_addc_u32 s7, s7, _ZL14no_device_codePKciS0_iS0_@rel32@hi+12
	s_swappc_b64 s[30:31], s[6:7]
	.section	.rodata,"a",@progbits
	.p2align	6, 0x0
	.amdhsa_kernel _ZL9mul_mat_fI15__hip_bfloat162Li32ELi4ELi1ELb1EEvPKT_PKfPKiPfiiiiiiiiiiiiiiii
		.amdhsa_group_segment_fixed_size 0
		.amdhsa_private_segment_fixed_size 16
		.amdhsa_kernarg_size 352
		.amdhsa_user_sgpr_count 8
		.amdhsa_user_sgpr_private_segment_buffer 1
		.amdhsa_user_sgpr_dispatch_ptr 0
		.amdhsa_user_sgpr_queue_ptr 0
		.amdhsa_user_sgpr_kernarg_segment_ptr 1
		.amdhsa_user_sgpr_dispatch_id 0
		.amdhsa_user_sgpr_flat_scratch_init 1
		.amdhsa_user_sgpr_kernarg_preload_length 0
		.amdhsa_user_sgpr_kernarg_preload_offset 0
		.amdhsa_user_sgpr_private_segment_size 0
		.amdhsa_uses_dynamic_stack 0
		.amdhsa_system_sgpr_private_segment_wavefront_offset 1
		.amdhsa_system_sgpr_workgroup_id_x 1
		.amdhsa_system_sgpr_workgroup_id_y 0
		.amdhsa_system_sgpr_workgroup_id_z 0
		.amdhsa_system_sgpr_workgroup_info 0
		.amdhsa_system_vgpr_workitem_id 0
		.amdhsa_next_free_vgpr 41
		.amdhsa_next_free_sgpr 34
		.amdhsa_accum_offset 44
		.amdhsa_reserve_vcc 1
		.amdhsa_reserve_flat_scratch 1
		.amdhsa_float_round_mode_32 0
		.amdhsa_float_round_mode_16_64 0
		.amdhsa_float_denorm_mode_32 3
		.amdhsa_float_denorm_mode_16_64 3
		.amdhsa_dx10_clamp 1
		.amdhsa_ieee_mode 1
		.amdhsa_fp16_overflow 0
		.amdhsa_tg_split 0
		.amdhsa_exception_fp_ieee_invalid_op 0
		.amdhsa_exception_fp_denorm_src 0
		.amdhsa_exception_fp_ieee_div_zero 0
		.amdhsa_exception_fp_ieee_overflow 0
		.amdhsa_exception_fp_ieee_underflow 0
		.amdhsa_exception_fp_ieee_inexact 0
		.amdhsa_exception_int_div_zero 0
	.end_amdhsa_kernel
	.section	.text._ZL9mul_mat_fI15__hip_bfloat162Li32ELi4ELi1ELb1EEvPKT_PKfPKiPfiiiiiiiiiiiiiiii,"axG",@progbits,_ZL9mul_mat_fI15__hip_bfloat162Li32ELi4ELi1ELb1EEvPKT_PKfPKiPfiiiiiiiiiiiiiiii,comdat
.Lfunc_end52:
	.size	_ZL9mul_mat_fI15__hip_bfloat162Li32ELi4ELi1ELb1EEvPKT_PKfPKiPfiiiiiiiiiiiiiiii, .Lfunc_end52-_ZL9mul_mat_fI15__hip_bfloat162Li32ELi4ELi1ELb1EEvPKT_PKfPKiPfiiiiiiiiiiiiiiii
                                        ; -- End function
	.section	.AMDGPU.csdata,"",@progbits
; Kernel info:
; codeLenInByte = 88
; NumSgprs: 40
; NumVgprs: 41
; NumAgprs: 0
; TotalNumVgprs: 41
; ScratchSize: 16
; MemoryBound: 0
; FloatMode: 240
; IeeeMode: 1
; LDSByteSize: 0 bytes/workgroup (compile time only)
; SGPRBlocks: 4
; VGPRBlocks: 5
; NumSGPRsForWavesPerEU: 40
; NumVGPRsForWavesPerEU: 41
; AccumOffset: 44
; Occupancy: 8
; WaveLimiterHint : 1
; COMPUTE_PGM_RSRC2:SCRATCH_EN: 1
; COMPUTE_PGM_RSRC2:USER_SGPR: 8
; COMPUTE_PGM_RSRC2:TRAP_HANDLER: 0
; COMPUTE_PGM_RSRC2:TGID_X_EN: 1
; COMPUTE_PGM_RSRC2:TGID_Y_EN: 0
; COMPUTE_PGM_RSRC2:TGID_Z_EN: 0
; COMPUTE_PGM_RSRC2:TIDIG_COMP_CNT: 0
; COMPUTE_PGM_RSRC3_GFX90A:ACCUM_OFFSET: 10
; COMPUTE_PGM_RSRC3_GFX90A:TG_SPLIT: 0
	.section	.text._ZL9mul_mat_fI15__hip_bfloat162Li32ELi4ELi1ELb0EEvPKT_PKfPKiPfiiiiiiiiiiiiiiii,"axG",@progbits,_ZL9mul_mat_fI15__hip_bfloat162Li32ELi4ELi1ELb0EEvPKT_PKfPKiPfiiiiiiiiiiiiiiii,comdat
	.globl	_ZL9mul_mat_fI15__hip_bfloat162Li32ELi4ELi1ELb0EEvPKT_PKfPKiPfiiiiiiiiiiiiiiii ; -- Begin function _ZL9mul_mat_fI15__hip_bfloat162Li32ELi4ELi1ELb0EEvPKT_PKfPKiPfiiiiiiiiiiiiiiii
	.p2align	8
	.type	_ZL9mul_mat_fI15__hip_bfloat162Li32ELi4ELi1ELb0EEvPKT_PKfPKiPfiiiiiiiiiiiiiiii,@function
_ZL9mul_mat_fI15__hip_bfloat162Li32ELi4ELi1ELb0EEvPKT_PKfPKiPfiiiiiiiiiiiiiiii: ; @_ZL9mul_mat_fI15__hip_bfloat162Li32ELi4ELi1ELb0EEvPKT_PKfPKiPfiiiiiiiiiiiiiiii
; %bb.0:
	s_add_u32 flat_scratch_lo, s6, s9
	s_addc_u32 flat_scratch_hi, s7, 0
	s_add_u32 s0, s0, s9
	s_addc_u32 s1, s1, 0
	s_add_u32 s8, s4, 0x60
	s_addc_u32 s9, s5, 0
	s_getpc_b64 s[4:5]
	s_add_u32 s4, s4, __FUNCTION__._ZL9mul_mat_fIfLi32ELi4ELi1ELb1EEvPKT_PKfPKiPfiiiiiiiiiiiiiiii@rel32@lo+4
	s_addc_u32 s5, s5, __FUNCTION__._ZL9mul_mat_fIfLi32ELi4ELi1ELb1EEvPKT_PKfPKiPfiiiiiiiiiiiiiiii@rel32@hi+12
	v_mov_b32_e32 v0, 64
	v_mov_b32_e32 v1, s4
	;; [unrolled: 1-line block ×3, first 2 shown]
	s_mov_b32 s32, 0
	s_getpc_b64 s[6:7]
	s_add_u32 s6, s6, _ZL14no_device_codePKciS0_iS0_@rel32@lo+4
	s_addc_u32 s7, s7, _ZL14no_device_codePKciS0_iS0_@rel32@hi+12
	s_swappc_b64 s[30:31], s[6:7]
	.section	.rodata,"a",@progbits
	.p2align	6, 0x0
	.amdhsa_kernel _ZL9mul_mat_fI15__hip_bfloat162Li32ELi4ELi1ELb0EEvPKT_PKfPKiPfiiiiiiiiiiiiiiii
		.amdhsa_group_segment_fixed_size 0
		.amdhsa_private_segment_fixed_size 16
		.amdhsa_kernarg_size 352
		.amdhsa_user_sgpr_count 8
		.amdhsa_user_sgpr_private_segment_buffer 1
		.amdhsa_user_sgpr_dispatch_ptr 0
		.amdhsa_user_sgpr_queue_ptr 0
		.amdhsa_user_sgpr_kernarg_segment_ptr 1
		.amdhsa_user_sgpr_dispatch_id 0
		.amdhsa_user_sgpr_flat_scratch_init 1
		.amdhsa_user_sgpr_kernarg_preload_length 0
		.amdhsa_user_sgpr_kernarg_preload_offset 0
		.amdhsa_user_sgpr_private_segment_size 0
		.amdhsa_uses_dynamic_stack 0
		.amdhsa_system_sgpr_private_segment_wavefront_offset 1
		.amdhsa_system_sgpr_workgroup_id_x 1
		.amdhsa_system_sgpr_workgroup_id_y 0
		.amdhsa_system_sgpr_workgroup_id_z 0
		.amdhsa_system_sgpr_workgroup_info 0
		.amdhsa_system_vgpr_workitem_id 0
		.amdhsa_next_free_vgpr 41
		.amdhsa_next_free_sgpr 34
		.amdhsa_accum_offset 44
		.amdhsa_reserve_vcc 1
		.amdhsa_reserve_flat_scratch 1
		.amdhsa_float_round_mode_32 0
		.amdhsa_float_round_mode_16_64 0
		.amdhsa_float_denorm_mode_32 3
		.amdhsa_float_denorm_mode_16_64 3
		.amdhsa_dx10_clamp 1
		.amdhsa_ieee_mode 1
		.amdhsa_fp16_overflow 0
		.amdhsa_tg_split 0
		.amdhsa_exception_fp_ieee_invalid_op 0
		.amdhsa_exception_fp_denorm_src 0
		.amdhsa_exception_fp_ieee_div_zero 0
		.amdhsa_exception_fp_ieee_overflow 0
		.amdhsa_exception_fp_ieee_underflow 0
		.amdhsa_exception_fp_ieee_inexact 0
		.amdhsa_exception_int_div_zero 0
	.end_amdhsa_kernel
	.section	.text._ZL9mul_mat_fI15__hip_bfloat162Li32ELi4ELi1ELb0EEvPKT_PKfPKiPfiiiiiiiiiiiiiiii,"axG",@progbits,_ZL9mul_mat_fI15__hip_bfloat162Li32ELi4ELi1ELb0EEvPKT_PKfPKiPfiiiiiiiiiiiiiiii,comdat
.Lfunc_end53:
	.size	_ZL9mul_mat_fI15__hip_bfloat162Li32ELi4ELi1ELb0EEvPKT_PKfPKiPfiiiiiiiiiiiiiiii, .Lfunc_end53-_ZL9mul_mat_fI15__hip_bfloat162Li32ELi4ELi1ELb0EEvPKT_PKfPKiPfiiiiiiiiiiiiiiii
                                        ; -- End function
	.section	.AMDGPU.csdata,"",@progbits
; Kernel info:
; codeLenInByte = 88
; NumSgprs: 40
; NumVgprs: 41
; NumAgprs: 0
; TotalNumVgprs: 41
; ScratchSize: 16
; MemoryBound: 0
; FloatMode: 240
; IeeeMode: 1
; LDSByteSize: 0 bytes/workgroup (compile time only)
; SGPRBlocks: 4
; VGPRBlocks: 5
; NumSGPRsForWavesPerEU: 40
; NumVGPRsForWavesPerEU: 41
; AccumOffset: 44
; Occupancy: 8
; WaveLimiterHint : 1
; COMPUTE_PGM_RSRC2:SCRATCH_EN: 1
; COMPUTE_PGM_RSRC2:USER_SGPR: 8
; COMPUTE_PGM_RSRC2:TRAP_HANDLER: 0
; COMPUTE_PGM_RSRC2:TGID_X_EN: 1
; COMPUTE_PGM_RSRC2:TGID_Y_EN: 0
; COMPUTE_PGM_RSRC2:TGID_Z_EN: 0
; COMPUTE_PGM_RSRC2:TIDIG_COMP_CNT: 0
; COMPUTE_PGM_RSRC3_GFX90A:ACCUM_OFFSET: 10
; COMPUTE_PGM_RSRC3_GFX90A:TG_SPLIT: 0
	.section	.text._ZL13mul_mat_f_idsI15__hip_bfloat162Li32ELi4ELi2EEvPKT_PKfPKiS7_S7_Pfiiiiiiiiiiiiii15HIP_vector_typeIjLj3EESA_,"axG",@progbits,_ZL13mul_mat_f_idsI15__hip_bfloat162Li32ELi4ELi2EEvPKT_PKfPKiS7_S7_Pfiiiiiiiiiiiiii15HIP_vector_typeIjLj3EESA_,comdat
	.globl	_ZL13mul_mat_f_idsI15__hip_bfloat162Li32ELi4ELi2EEvPKT_PKfPKiS7_S7_Pfiiiiiiiiiiiiii15HIP_vector_typeIjLj3EESA_ ; -- Begin function _ZL13mul_mat_f_idsI15__hip_bfloat162Li32ELi4ELi2EEvPKT_PKfPKiS7_S7_Pfiiiiiiiiiiiiii15HIP_vector_typeIjLj3EESA_
	.p2align	8
	.type	_ZL13mul_mat_f_idsI15__hip_bfloat162Li32ELi4ELi2EEvPKT_PKfPKiS7_S7_Pfiiiiiiiiiiiiii15HIP_vector_typeIjLj3EESA_,@function
_ZL13mul_mat_f_idsI15__hip_bfloat162Li32ELi4ELi2EEvPKT_PKfPKiS7_S7_Pfiiiiiiiiiiiiii15HIP_vector_typeIjLj3EESA_: ; @_ZL13mul_mat_f_idsI15__hip_bfloat162Li32ELi4ELi2EEvPKT_PKfPKiS7_S7_Pfiiiiiiiiiiiiii15HIP_vector_typeIjLj3EESA_
; %bb.0:
	s_add_u32 flat_scratch_lo, s6, s9
	s_addc_u32 flat_scratch_hi, s7, 0
	s_add_u32 s0, s0, s9
	s_addc_u32 s1, s1, 0
	s_add_u32 s8, s4, 0x80
	s_addc_u32 s9, s5, 0
	s_getpc_b64 s[4:5]
	s_add_u32 s4, s4, __FUNCTION__._ZL13mul_mat_f_idsIfLi32ELi4ELi1EEvPKT_PKfPKiS6_S6_Pfiiiiiiiiiiiiii15HIP_vector_typeIjLj3EES9_@rel32@lo+4
	s_addc_u32 s5, s5, __FUNCTION__._ZL13mul_mat_f_idsIfLi32ELi4ELi1EEvPKT_PKfPKiS6_S6_Pfiiiiiiiiiiiiii15HIP_vector_typeIjLj3EES9_@rel32@hi+12
	v_mov_b32_e32 v0, 0x13b
	v_mov_b32_e32 v1, s4
	;; [unrolled: 1-line block ×3, first 2 shown]
	s_mov_b32 s32, 0
	s_getpc_b64 s[6:7]
	s_add_u32 s6, s6, _ZL14no_device_codePKciS0_iS0_@rel32@lo+4
	s_addc_u32 s7, s7, _ZL14no_device_codePKciS0_iS0_@rel32@hi+12
	s_swappc_b64 s[30:31], s[6:7]
	.section	.rodata,"a",@progbits
	.p2align	6, 0x0
	.amdhsa_kernel _ZL13mul_mat_f_idsI15__hip_bfloat162Li32ELi4ELi2EEvPKT_PKfPKiS7_S7_Pfiiiiiiiiiiiiii15HIP_vector_typeIjLj3EESA_
		.amdhsa_group_segment_fixed_size 0
		.amdhsa_private_segment_fixed_size 16
		.amdhsa_kernarg_size 384
		.amdhsa_user_sgpr_count 8
		.amdhsa_user_sgpr_private_segment_buffer 1
		.amdhsa_user_sgpr_dispatch_ptr 0
		.amdhsa_user_sgpr_queue_ptr 0
		.amdhsa_user_sgpr_kernarg_segment_ptr 1
		.amdhsa_user_sgpr_dispatch_id 0
		.amdhsa_user_sgpr_flat_scratch_init 1
		.amdhsa_user_sgpr_kernarg_preload_length 0
		.amdhsa_user_sgpr_kernarg_preload_offset 0
		.amdhsa_user_sgpr_private_segment_size 0
		.amdhsa_uses_dynamic_stack 0
		.amdhsa_system_sgpr_private_segment_wavefront_offset 1
		.amdhsa_system_sgpr_workgroup_id_x 1
		.amdhsa_system_sgpr_workgroup_id_y 0
		.amdhsa_system_sgpr_workgroup_id_z 0
		.amdhsa_system_sgpr_workgroup_info 0
		.amdhsa_system_vgpr_workitem_id 0
		.amdhsa_next_free_vgpr 41
		.amdhsa_next_free_sgpr 34
		.amdhsa_accum_offset 44
		.amdhsa_reserve_vcc 1
		.amdhsa_reserve_flat_scratch 1
		.amdhsa_float_round_mode_32 0
		.amdhsa_float_round_mode_16_64 0
		.amdhsa_float_denorm_mode_32 3
		.amdhsa_float_denorm_mode_16_64 3
		.amdhsa_dx10_clamp 1
		.amdhsa_ieee_mode 1
		.amdhsa_fp16_overflow 0
		.amdhsa_tg_split 0
		.amdhsa_exception_fp_ieee_invalid_op 0
		.amdhsa_exception_fp_denorm_src 0
		.amdhsa_exception_fp_ieee_div_zero 0
		.amdhsa_exception_fp_ieee_overflow 0
		.amdhsa_exception_fp_ieee_underflow 0
		.amdhsa_exception_fp_ieee_inexact 0
		.amdhsa_exception_int_div_zero 0
	.end_amdhsa_kernel
	.section	.text._ZL13mul_mat_f_idsI15__hip_bfloat162Li32ELi4ELi2EEvPKT_PKfPKiS7_S7_Pfiiiiiiiiiiiiii15HIP_vector_typeIjLj3EESA_,"axG",@progbits,_ZL13mul_mat_f_idsI15__hip_bfloat162Li32ELi4ELi2EEvPKT_PKfPKiS7_S7_Pfiiiiiiiiiiiiii15HIP_vector_typeIjLj3EESA_,comdat
.Lfunc_end54:
	.size	_ZL13mul_mat_f_idsI15__hip_bfloat162Li32ELi4ELi2EEvPKT_PKfPKiS7_S7_Pfiiiiiiiiiiiiii15HIP_vector_typeIjLj3EESA_, .Lfunc_end54-_ZL13mul_mat_f_idsI15__hip_bfloat162Li32ELi4ELi2EEvPKT_PKfPKiS7_S7_Pfiiiiiiiiiiiiii15HIP_vector_typeIjLj3EESA_
                                        ; -- End function
	.section	.AMDGPU.csdata,"",@progbits
; Kernel info:
; codeLenInByte = 92
; NumSgprs: 40
; NumVgprs: 41
; NumAgprs: 0
; TotalNumVgprs: 41
; ScratchSize: 16
; MemoryBound: 0
; FloatMode: 240
; IeeeMode: 1
; LDSByteSize: 0 bytes/workgroup (compile time only)
; SGPRBlocks: 4
; VGPRBlocks: 5
; NumSGPRsForWavesPerEU: 40
; NumVGPRsForWavesPerEU: 41
; AccumOffset: 44
; Occupancy: 8
; WaveLimiterHint : 1
; COMPUTE_PGM_RSRC2:SCRATCH_EN: 1
; COMPUTE_PGM_RSRC2:USER_SGPR: 8
; COMPUTE_PGM_RSRC2:TRAP_HANDLER: 0
; COMPUTE_PGM_RSRC2:TGID_X_EN: 1
; COMPUTE_PGM_RSRC2:TGID_Y_EN: 0
; COMPUTE_PGM_RSRC2:TGID_Z_EN: 0
; COMPUTE_PGM_RSRC2:TIDIG_COMP_CNT: 0
; COMPUTE_PGM_RSRC3_GFX90A:ACCUM_OFFSET: 10
; COMPUTE_PGM_RSRC3_GFX90A:TG_SPLIT: 0
	.section	.text._ZL9mul_mat_fI15__hip_bfloat162Li32ELi4ELi2ELb1EEvPKT_PKfPKiPfiiiiiiiiiiiiiiii,"axG",@progbits,_ZL9mul_mat_fI15__hip_bfloat162Li32ELi4ELi2ELb1EEvPKT_PKfPKiPfiiiiiiiiiiiiiiii,comdat
	.globl	_ZL9mul_mat_fI15__hip_bfloat162Li32ELi4ELi2ELb1EEvPKT_PKfPKiPfiiiiiiiiiiiiiiii ; -- Begin function _ZL9mul_mat_fI15__hip_bfloat162Li32ELi4ELi2ELb1EEvPKT_PKfPKiPfiiiiiiiiiiiiiiii
	.p2align	8
	.type	_ZL9mul_mat_fI15__hip_bfloat162Li32ELi4ELi2ELb1EEvPKT_PKfPKiPfiiiiiiiiiiiiiiii,@function
_ZL9mul_mat_fI15__hip_bfloat162Li32ELi4ELi2ELb1EEvPKT_PKfPKiPfiiiiiiiiiiiiiiii: ; @_ZL9mul_mat_fI15__hip_bfloat162Li32ELi4ELi2ELb1EEvPKT_PKfPKiPfiiiiiiiiiiiiiiii
; %bb.0:
	s_add_u32 flat_scratch_lo, s6, s9
	s_addc_u32 flat_scratch_hi, s7, 0
	s_add_u32 s0, s0, s9
	s_addc_u32 s1, s1, 0
	s_add_u32 s8, s4, 0x60
	s_addc_u32 s9, s5, 0
	s_getpc_b64 s[4:5]
	s_add_u32 s4, s4, __FUNCTION__._ZL9mul_mat_fIfLi32ELi4ELi1ELb1EEvPKT_PKfPKiPfiiiiiiiiiiiiiiii@rel32@lo+4
	s_addc_u32 s5, s5, __FUNCTION__._ZL9mul_mat_fIfLi32ELi4ELi1ELb1EEvPKT_PKfPKiPfiiiiiiiiiiiiiiii@rel32@hi+12
	v_mov_b32_e32 v0, 64
	v_mov_b32_e32 v1, s4
	;; [unrolled: 1-line block ×3, first 2 shown]
	s_mov_b32 s32, 0
	s_getpc_b64 s[6:7]
	s_add_u32 s6, s6, _ZL14no_device_codePKciS0_iS0_@rel32@lo+4
	s_addc_u32 s7, s7, _ZL14no_device_codePKciS0_iS0_@rel32@hi+12
	s_swappc_b64 s[30:31], s[6:7]
	.section	.rodata,"a",@progbits
	.p2align	6, 0x0
	.amdhsa_kernel _ZL9mul_mat_fI15__hip_bfloat162Li32ELi4ELi2ELb1EEvPKT_PKfPKiPfiiiiiiiiiiiiiiii
		.amdhsa_group_segment_fixed_size 0
		.amdhsa_private_segment_fixed_size 16
		.amdhsa_kernarg_size 352
		.amdhsa_user_sgpr_count 8
		.amdhsa_user_sgpr_private_segment_buffer 1
		.amdhsa_user_sgpr_dispatch_ptr 0
		.amdhsa_user_sgpr_queue_ptr 0
		.amdhsa_user_sgpr_kernarg_segment_ptr 1
		.amdhsa_user_sgpr_dispatch_id 0
		.amdhsa_user_sgpr_flat_scratch_init 1
		.amdhsa_user_sgpr_kernarg_preload_length 0
		.amdhsa_user_sgpr_kernarg_preload_offset 0
		.amdhsa_user_sgpr_private_segment_size 0
		.amdhsa_uses_dynamic_stack 0
		.amdhsa_system_sgpr_private_segment_wavefront_offset 1
		.amdhsa_system_sgpr_workgroup_id_x 1
		.amdhsa_system_sgpr_workgroup_id_y 0
		.amdhsa_system_sgpr_workgroup_id_z 0
		.amdhsa_system_sgpr_workgroup_info 0
		.amdhsa_system_vgpr_workitem_id 0
		.amdhsa_next_free_vgpr 41
		.amdhsa_next_free_sgpr 34
		.amdhsa_accum_offset 44
		.amdhsa_reserve_vcc 1
		.amdhsa_reserve_flat_scratch 1
		.amdhsa_float_round_mode_32 0
		.amdhsa_float_round_mode_16_64 0
		.amdhsa_float_denorm_mode_32 3
		.amdhsa_float_denorm_mode_16_64 3
		.amdhsa_dx10_clamp 1
		.amdhsa_ieee_mode 1
		.amdhsa_fp16_overflow 0
		.amdhsa_tg_split 0
		.amdhsa_exception_fp_ieee_invalid_op 0
		.amdhsa_exception_fp_denorm_src 0
		.amdhsa_exception_fp_ieee_div_zero 0
		.amdhsa_exception_fp_ieee_overflow 0
		.amdhsa_exception_fp_ieee_underflow 0
		.amdhsa_exception_fp_ieee_inexact 0
		.amdhsa_exception_int_div_zero 0
	.end_amdhsa_kernel
	.section	.text._ZL9mul_mat_fI15__hip_bfloat162Li32ELi4ELi2ELb1EEvPKT_PKfPKiPfiiiiiiiiiiiiiiii,"axG",@progbits,_ZL9mul_mat_fI15__hip_bfloat162Li32ELi4ELi2ELb1EEvPKT_PKfPKiPfiiiiiiiiiiiiiiii,comdat
.Lfunc_end55:
	.size	_ZL9mul_mat_fI15__hip_bfloat162Li32ELi4ELi2ELb1EEvPKT_PKfPKiPfiiiiiiiiiiiiiiii, .Lfunc_end55-_ZL9mul_mat_fI15__hip_bfloat162Li32ELi4ELi2ELb1EEvPKT_PKfPKiPfiiiiiiiiiiiiiiii
                                        ; -- End function
	.section	.AMDGPU.csdata,"",@progbits
; Kernel info:
; codeLenInByte = 88
; NumSgprs: 40
; NumVgprs: 41
; NumAgprs: 0
; TotalNumVgprs: 41
; ScratchSize: 16
; MemoryBound: 0
; FloatMode: 240
; IeeeMode: 1
; LDSByteSize: 0 bytes/workgroup (compile time only)
; SGPRBlocks: 4
; VGPRBlocks: 5
; NumSGPRsForWavesPerEU: 40
; NumVGPRsForWavesPerEU: 41
; AccumOffset: 44
; Occupancy: 8
; WaveLimiterHint : 1
; COMPUTE_PGM_RSRC2:SCRATCH_EN: 1
; COMPUTE_PGM_RSRC2:USER_SGPR: 8
; COMPUTE_PGM_RSRC2:TRAP_HANDLER: 0
; COMPUTE_PGM_RSRC2:TGID_X_EN: 1
; COMPUTE_PGM_RSRC2:TGID_Y_EN: 0
; COMPUTE_PGM_RSRC2:TGID_Z_EN: 0
; COMPUTE_PGM_RSRC2:TIDIG_COMP_CNT: 0
; COMPUTE_PGM_RSRC3_GFX90A:ACCUM_OFFSET: 10
; COMPUTE_PGM_RSRC3_GFX90A:TG_SPLIT: 0
	.section	.text._ZL9mul_mat_fI15__hip_bfloat162Li32ELi4ELi2ELb0EEvPKT_PKfPKiPfiiiiiiiiiiiiiiii,"axG",@progbits,_ZL9mul_mat_fI15__hip_bfloat162Li32ELi4ELi2ELb0EEvPKT_PKfPKiPfiiiiiiiiiiiiiiii,comdat
	.globl	_ZL9mul_mat_fI15__hip_bfloat162Li32ELi4ELi2ELb0EEvPKT_PKfPKiPfiiiiiiiiiiiiiiii ; -- Begin function _ZL9mul_mat_fI15__hip_bfloat162Li32ELi4ELi2ELb0EEvPKT_PKfPKiPfiiiiiiiiiiiiiiii
	.p2align	8
	.type	_ZL9mul_mat_fI15__hip_bfloat162Li32ELi4ELi2ELb0EEvPKT_PKfPKiPfiiiiiiiiiiiiiiii,@function
_ZL9mul_mat_fI15__hip_bfloat162Li32ELi4ELi2ELb0EEvPKT_PKfPKiPfiiiiiiiiiiiiiiii: ; @_ZL9mul_mat_fI15__hip_bfloat162Li32ELi4ELi2ELb0EEvPKT_PKfPKiPfiiiiiiiiiiiiiiii
; %bb.0:
	s_add_u32 flat_scratch_lo, s6, s9
	s_addc_u32 flat_scratch_hi, s7, 0
	s_add_u32 s0, s0, s9
	s_addc_u32 s1, s1, 0
	s_add_u32 s8, s4, 0x60
	s_addc_u32 s9, s5, 0
	s_getpc_b64 s[4:5]
	s_add_u32 s4, s4, __FUNCTION__._ZL9mul_mat_fIfLi32ELi4ELi1ELb1EEvPKT_PKfPKiPfiiiiiiiiiiiiiiii@rel32@lo+4
	s_addc_u32 s5, s5, __FUNCTION__._ZL9mul_mat_fIfLi32ELi4ELi1ELb1EEvPKT_PKfPKiPfiiiiiiiiiiiiiiii@rel32@hi+12
	v_mov_b32_e32 v0, 64
	v_mov_b32_e32 v1, s4
	;; [unrolled: 1-line block ×3, first 2 shown]
	s_mov_b32 s32, 0
	s_getpc_b64 s[6:7]
	s_add_u32 s6, s6, _ZL14no_device_codePKciS0_iS0_@rel32@lo+4
	s_addc_u32 s7, s7, _ZL14no_device_codePKciS0_iS0_@rel32@hi+12
	s_swappc_b64 s[30:31], s[6:7]
	.section	.rodata,"a",@progbits
	.p2align	6, 0x0
	.amdhsa_kernel _ZL9mul_mat_fI15__hip_bfloat162Li32ELi4ELi2ELb0EEvPKT_PKfPKiPfiiiiiiiiiiiiiiii
		.amdhsa_group_segment_fixed_size 0
		.amdhsa_private_segment_fixed_size 16
		.amdhsa_kernarg_size 352
		.amdhsa_user_sgpr_count 8
		.amdhsa_user_sgpr_private_segment_buffer 1
		.amdhsa_user_sgpr_dispatch_ptr 0
		.amdhsa_user_sgpr_queue_ptr 0
		.amdhsa_user_sgpr_kernarg_segment_ptr 1
		.amdhsa_user_sgpr_dispatch_id 0
		.amdhsa_user_sgpr_flat_scratch_init 1
		.amdhsa_user_sgpr_kernarg_preload_length 0
		.amdhsa_user_sgpr_kernarg_preload_offset 0
		.amdhsa_user_sgpr_private_segment_size 0
		.amdhsa_uses_dynamic_stack 0
		.amdhsa_system_sgpr_private_segment_wavefront_offset 1
		.amdhsa_system_sgpr_workgroup_id_x 1
		.amdhsa_system_sgpr_workgroup_id_y 0
		.amdhsa_system_sgpr_workgroup_id_z 0
		.amdhsa_system_sgpr_workgroup_info 0
		.amdhsa_system_vgpr_workitem_id 0
		.amdhsa_next_free_vgpr 41
		.amdhsa_next_free_sgpr 34
		.amdhsa_accum_offset 44
		.amdhsa_reserve_vcc 1
		.amdhsa_reserve_flat_scratch 1
		.amdhsa_float_round_mode_32 0
		.amdhsa_float_round_mode_16_64 0
		.amdhsa_float_denorm_mode_32 3
		.amdhsa_float_denorm_mode_16_64 3
		.amdhsa_dx10_clamp 1
		.amdhsa_ieee_mode 1
		.amdhsa_fp16_overflow 0
		.amdhsa_tg_split 0
		.amdhsa_exception_fp_ieee_invalid_op 0
		.amdhsa_exception_fp_denorm_src 0
		.amdhsa_exception_fp_ieee_div_zero 0
		.amdhsa_exception_fp_ieee_overflow 0
		.amdhsa_exception_fp_ieee_underflow 0
		.amdhsa_exception_fp_ieee_inexact 0
		.amdhsa_exception_int_div_zero 0
	.end_amdhsa_kernel
	.section	.text._ZL9mul_mat_fI15__hip_bfloat162Li32ELi4ELi2ELb0EEvPKT_PKfPKiPfiiiiiiiiiiiiiiii,"axG",@progbits,_ZL9mul_mat_fI15__hip_bfloat162Li32ELi4ELi2ELb0EEvPKT_PKfPKiPfiiiiiiiiiiiiiiii,comdat
.Lfunc_end56:
	.size	_ZL9mul_mat_fI15__hip_bfloat162Li32ELi4ELi2ELb0EEvPKT_PKfPKiPfiiiiiiiiiiiiiiii, .Lfunc_end56-_ZL9mul_mat_fI15__hip_bfloat162Li32ELi4ELi2ELb0EEvPKT_PKfPKiPfiiiiiiiiiiiiiiii
                                        ; -- End function
	.section	.AMDGPU.csdata,"",@progbits
; Kernel info:
; codeLenInByte = 88
; NumSgprs: 40
; NumVgprs: 41
; NumAgprs: 0
; TotalNumVgprs: 41
; ScratchSize: 16
; MemoryBound: 0
; FloatMode: 240
; IeeeMode: 1
; LDSByteSize: 0 bytes/workgroup (compile time only)
; SGPRBlocks: 4
; VGPRBlocks: 5
; NumSGPRsForWavesPerEU: 40
; NumVGPRsForWavesPerEU: 41
; AccumOffset: 44
; Occupancy: 8
; WaveLimiterHint : 1
; COMPUTE_PGM_RSRC2:SCRATCH_EN: 1
; COMPUTE_PGM_RSRC2:USER_SGPR: 8
; COMPUTE_PGM_RSRC2:TRAP_HANDLER: 0
; COMPUTE_PGM_RSRC2:TGID_X_EN: 1
; COMPUTE_PGM_RSRC2:TGID_Y_EN: 0
; COMPUTE_PGM_RSRC2:TGID_Z_EN: 0
; COMPUTE_PGM_RSRC2:TIDIG_COMP_CNT: 0
; COMPUTE_PGM_RSRC3_GFX90A:ACCUM_OFFSET: 10
; COMPUTE_PGM_RSRC3_GFX90A:TG_SPLIT: 0
	.section	.text._ZL13mul_mat_f_idsI15__hip_bfloat162Li32ELi4ELi3EEvPKT_PKfPKiS7_S7_Pfiiiiiiiiiiiiii15HIP_vector_typeIjLj3EESA_,"axG",@progbits,_ZL13mul_mat_f_idsI15__hip_bfloat162Li32ELi4ELi3EEvPKT_PKfPKiS7_S7_Pfiiiiiiiiiiiiii15HIP_vector_typeIjLj3EESA_,comdat
	.globl	_ZL13mul_mat_f_idsI15__hip_bfloat162Li32ELi4ELi3EEvPKT_PKfPKiS7_S7_Pfiiiiiiiiiiiiii15HIP_vector_typeIjLj3EESA_ ; -- Begin function _ZL13mul_mat_f_idsI15__hip_bfloat162Li32ELi4ELi3EEvPKT_PKfPKiS7_S7_Pfiiiiiiiiiiiiii15HIP_vector_typeIjLj3EESA_
	.p2align	8
	.type	_ZL13mul_mat_f_idsI15__hip_bfloat162Li32ELi4ELi3EEvPKT_PKfPKiS7_S7_Pfiiiiiiiiiiiiii15HIP_vector_typeIjLj3EESA_,@function
_ZL13mul_mat_f_idsI15__hip_bfloat162Li32ELi4ELi3EEvPKT_PKfPKiS7_S7_Pfiiiiiiiiiiiiii15HIP_vector_typeIjLj3EESA_: ; @_ZL13mul_mat_f_idsI15__hip_bfloat162Li32ELi4ELi3EEvPKT_PKfPKiS7_S7_Pfiiiiiiiiiiiiii15HIP_vector_typeIjLj3EESA_
; %bb.0:
	s_add_u32 flat_scratch_lo, s6, s9
	s_addc_u32 flat_scratch_hi, s7, 0
	s_add_u32 s0, s0, s9
	s_addc_u32 s1, s1, 0
	s_add_u32 s8, s4, 0x80
	s_addc_u32 s9, s5, 0
	s_getpc_b64 s[4:5]
	s_add_u32 s4, s4, __FUNCTION__._ZL13mul_mat_f_idsIfLi32ELi4ELi1EEvPKT_PKfPKiS6_S6_Pfiiiiiiiiiiiiii15HIP_vector_typeIjLj3EES9_@rel32@lo+4
	s_addc_u32 s5, s5, __FUNCTION__._ZL13mul_mat_f_idsIfLi32ELi4ELi1EEvPKT_PKfPKiS6_S6_Pfiiiiiiiiiiiiii15HIP_vector_typeIjLj3EES9_@rel32@hi+12
	v_mov_b32_e32 v0, 0x13b
	v_mov_b32_e32 v1, s4
	;; [unrolled: 1-line block ×3, first 2 shown]
	s_mov_b32 s32, 0
	s_getpc_b64 s[6:7]
	s_add_u32 s6, s6, _ZL14no_device_codePKciS0_iS0_@rel32@lo+4
	s_addc_u32 s7, s7, _ZL14no_device_codePKciS0_iS0_@rel32@hi+12
	s_swappc_b64 s[30:31], s[6:7]
	.section	.rodata,"a",@progbits
	.p2align	6, 0x0
	.amdhsa_kernel _ZL13mul_mat_f_idsI15__hip_bfloat162Li32ELi4ELi3EEvPKT_PKfPKiS7_S7_Pfiiiiiiiiiiiiii15HIP_vector_typeIjLj3EESA_
		.amdhsa_group_segment_fixed_size 0
		.amdhsa_private_segment_fixed_size 16
		.amdhsa_kernarg_size 384
		.amdhsa_user_sgpr_count 8
		.amdhsa_user_sgpr_private_segment_buffer 1
		.amdhsa_user_sgpr_dispatch_ptr 0
		.amdhsa_user_sgpr_queue_ptr 0
		.amdhsa_user_sgpr_kernarg_segment_ptr 1
		.amdhsa_user_sgpr_dispatch_id 0
		.amdhsa_user_sgpr_flat_scratch_init 1
		.amdhsa_user_sgpr_kernarg_preload_length 0
		.amdhsa_user_sgpr_kernarg_preload_offset 0
		.amdhsa_user_sgpr_private_segment_size 0
		.amdhsa_uses_dynamic_stack 0
		.amdhsa_system_sgpr_private_segment_wavefront_offset 1
		.amdhsa_system_sgpr_workgroup_id_x 1
		.amdhsa_system_sgpr_workgroup_id_y 0
		.amdhsa_system_sgpr_workgroup_id_z 0
		.amdhsa_system_sgpr_workgroup_info 0
		.amdhsa_system_vgpr_workitem_id 0
		.amdhsa_next_free_vgpr 41
		.amdhsa_next_free_sgpr 34
		.amdhsa_accum_offset 44
		.amdhsa_reserve_vcc 1
		.amdhsa_reserve_flat_scratch 1
		.amdhsa_float_round_mode_32 0
		.amdhsa_float_round_mode_16_64 0
		.amdhsa_float_denorm_mode_32 3
		.amdhsa_float_denorm_mode_16_64 3
		.amdhsa_dx10_clamp 1
		.amdhsa_ieee_mode 1
		.amdhsa_fp16_overflow 0
		.amdhsa_tg_split 0
		.amdhsa_exception_fp_ieee_invalid_op 0
		.amdhsa_exception_fp_denorm_src 0
		.amdhsa_exception_fp_ieee_div_zero 0
		.amdhsa_exception_fp_ieee_overflow 0
		.amdhsa_exception_fp_ieee_underflow 0
		.amdhsa_exception_fp_ieee_inexact 0
		.amdhsa_exception_int_div_zero 0
	.end_amdhsa_kernel
	.section	.text._ZL13mul_mat_f_idsI15__hip_bfloat162Li32ELi4ELi3EEvPKT_PKfPKiS7_S7_Pfiiiiiiiiiiiiii15HIP_vector_typeIjLj3EESA_,"axG",@progbits,_ZL13mul_mat_f_idsI15__hip_bfloat162Li32ELi4ELi3EEvPKT_PKfPKiS7_S7_Pfiiiiiiiiiiiiii15HIP_vector_typeIjLj3EESA_,comdat
.Lfunc_end57:
	.size	_ZL13mul_mat_f_idsI15__hip_bfloat162Li32ELi4ELi3EEvPKT_PKfPKiS7_S7_Pfiiiiiiiiiiiiii15HIP_vector_typeIjLj3EESA_, .Lfunc_end57-_ZL13mul_mat_f_idsI15__hip_bfloat162Li32ELi4ELi3EEvPKT_PKfPKiS7_S7_Pfiiiiiiiiiiiiii15HIP_vector_typeIjLj3EESA_
                                        ; -- End function
	.section	.AMDGPU.csdata,"",@progbits
; Kernel info:
; codeLenInByte = 92
; NumSgprs: 40
; NumVgprs: 41
; NumAgprs: 0
; TotalNumVgprs: 41
; ScratchSize: 16
; MemoryBound: 0
; FloatMode: 240
; IeeeMode: 1
; LDSByteSize: 0 bytes/workgroup (compile time only)
; SGPRBlocks: 4
; VGPRBlocks: 5
; NumSGPRsForWavesPerEU: 40
; NumVGPRsForWavesPerEU: 41
; AccumOffset: 44
; Occupancy: 8
; WaveLimiterHint : 1
; COMPUTE_PGM_RSRC2:SCRATCH_EN: 1
; COMPUTE_PGM_RSRC2:USER_SGPR: 8
; COMPUTE_PGM_RSRC2:TRAP_HANDLER: 0
; COMPUTE_PGM_RSRC2:TGID_X_EN: 1
; COMPUTE_PGM_RSRC2:TGID_Y_EN: 0
; COMPUTE_PGM_RSRC2:TGID_Z_EN: 0
; COMPUTE_PGM_RSRC2:TIDIG_COMP_CNT: 0
; COMPUTE_PGM_RSRC3_GFX90A:ACCUM_OFFSET: 10
; COMPUTE_PGM_RSRC3_GFX90A:TG_SPLIT: 0
	.section	.text._ZL9mul_mat_fI15__hip_bfloat162Li32ELi4ELi3ELb1EEvPKT_PKfPKiPfiiiiiiiiiiiiiiii,"axG",@progbits,_ZL9mul_mat_fI15__hip_bfloat162Li32ELi4ELi3ELb1EEvPKT_PKfPKiPfiiiiiiiiiiiiiiii,comdat
	.globl	_ZL9mul_mat_fI15__hip_bfloat162Li32ELi4ELi3ELb1EEvPKT_PKfPKiPfiiiiiiiiiiiiiiii ; -- Begin function _ZL9mul_mat_fI15__hip_bfloat162Li32ELi4ELi3ELb1EEvPKT_PKfPKiPfiiiiiiiiiiiiiiii
	.p2align	8
	.type	_ZL9mul_mat_fI15__hip_bfloat162Li32ELi4ELi3ELb1EEvPKT_PKfPKiPfiiiiiiiiiiiiiiii,@function
_ZL9mul_mat_fI15__hip_bfloat162Li32ELi4ELi3ELb1EEvPKT_PKfPKiPfiiiiiiiiiiiiiiii: ; @_ZL9mul_mat_fI15__hip_bfloat162Li32ELi4ELi3ELb1EEvPKT_PKfPKiPfiiiiiiiiiiiiiiii
; %bb.0:
	s_add_u32 flat_scratch_lo, s6, s9
	s_addc_u32 flat_scratch_hi, s7, 0
	s_add_u32 s0, s0, s9
	s_addc_u32 s1, s1, 0
	s_add_u32 s8, s4, 0x60
	s_addc_u32 s9, s5, 0
	s_getpc_b64 s[4:5]
	s_add_u32 s4, s4, __FUNCTION__._ZL9mul_mat_fIfLi32ELi4ELi1ELb1EEvPKT_PKfPKiPfiiiiiiiiiiiiiiii@rel32@lo+4
	s_addc_u32 s5, s5, __FUNCTION__._ZL9mul_mat_fIfLi32ELi4ELi1ELb1EEvPKT_PKfPKiPfiiiiiiiiiiiiiiii@rel32@hi+12
	v_mov_b32_e32 v0, 64
	v_mov_b32_e32 v1, s4
	;; [unrolled: 1-line block ×3, first 2 shown]
	s_mov_b32 s32, 0
	s_getpc_b64 s[6:7]
	s_add_u32 s6, s6, _ZL14no_device_codePKciS0_iS0_@rel32@lo+4
	s_addc_u32 s7, s7, _ZL14no_device_codePKciS0_iS0_@rel32@hi+12
	s_swappc_b64 s[30:31], s[6:7]
	.section	.rodata,"a",@progbits
	.p2align	6, 0x0
	.amdhsa_kernel _ZL9mul_mat_fI15__hip_bfloat162Li32ELi4ELi3ELb1EEvPKT_PKfPKiPfiiiiiiiiiiiiiiii
		.amdhsa_group_segment_fixed_size 0
		.amdhsa_private_segment_fixed_size 16
		.amdhsa_kernarg_size 352
		.amdhsa_user_sgpr_count 8
		.amdhsa_user_sgpr_private_segment_buffer 1
		.amdhsa_user_sgpr_dispatch_ptr 0
		.amdhsa_user_sgpr_queue_ptr 0
		.amdhsa_user_sgpr_kernarg_segment_ptr 1
		.amdhsa_user_sgpr_dispatch_id 0
		.amdhsa_user_sgpr_flat_scratch_init 1
		.amdhsa_user_sgpr_kernarg_preload_length 0
		.amdhsa_user_sgpr_kernarg_preload_offset 0
		.amdhsa_user_sgpr_private_segment_size 0
		.amdhsa_uses_dynamic_stack 0
		.amdhsa_system_sgpr_private_segment_wavefront_offset 1
		.amdhsa_system_sgpr_workgroup_id_x 1
		.amdhsa_system_sgpr_workgroup_id_y 0
		.amdhsa_system_sgpr_workgroup_id_z 0
		.amdhsa_system_sgpr_workgroup_info 0
		.amdhsa_system_vgpr_workitem_id 0
		.amdhsa_next_free_vgpr 41
		.amdhsa_next_free_sgpr 34
		.amdhsa_accum_offset 44
		.amdhsa_reserve_vcc 1
		.amdhsa_reserve_flat_scratch 1
		.amdhsa_float_round_mode_32 0
		.amdhsa_float_round_mode_16_64 0
		.amdhsa_float_denorm_mode_32 3
		.amdhsa_float_denorm_mode_16_64 3
		.amdhsa_dx10_clamp 1
		.amdhsa_ieee_mode 1
		.amdhsa_fp16_overflow 0
		.amdhsa_tg_split 0
		.amdhsa_exception_fp_ieee_invalid_op 0
		.amdhsa_exception_fp_denorm_src 0
		.amdhsa_exception_fp_ieee_div_zero 0
		.amdhsa_exception_fp_ieee_overflow 0
		.amdhsa_exception_fp_ieee_underflow 0
		.amdhsa_exception_fp_ieee_inexact 0
		.amdhsa_exception_int_div_zero 0
	.end_amdhsa_kernel
	.section	.text._ZL9mul_mat_fI15__hip_bfloat162Li32ELi4ELi3ELb1EEvPKT_PKfPKiPfiiiiiiiiiiiiiiii,"axG",@progbits,_ZL9mul_mat_fI15__hip_bfloat162Li32ELi4ELi3ELb1EEvPKT_PKfPKiPfiiiiiiiiiiiiiiii,comdat
.Lfunc_end58:
	.size	_ZL9mul_mat_fI15__hip_bfloat162Li32ELi4ELi3ELb1EEvPKT_PKfPKiPfiiiiiiiiiiiiiiii, .Lfunc_end58-_ZL9mul_mat_fI15__hip_bfloat162Li32ELi4ELi3ELb1EEvPKT_PKfPKiPfiiiiiiiiiiiiiiii
                                        ; -- End function
	.section	.AMDGPU.csdata,"",@progbits
; Kernel info:
; codeLenInByte = 88
; NumSgprs: 40
; NumVgprs: 41
; NumAgprs: 0
; TotalNumVgprs: 41
; ScratchSize: 16
; MemoryBound: 0
; FloatMode: 240
; IeeeMode: 1
; LDSByteSize: 0 bytes/workgroup (compile time only)
; SGPRBlocks: 4
; VGPRBlocks: 5
; NumSGPRsForWavesPerEU: 40
; NumVGPRsForWavesPerEU: 41
; AccumOffset: 44
; Occupancy: 8
; WaveLimiterHint : 1
; COMPUTE_PGM_RSRC2:SCRATCH_EN: 1
; COMPUTE_PGM_RSRC2:USER_SGPR: 8
; COMPUTE_PGM_RSRC2:TRAP_HANDLER: 0
; COMPUTE_PGM_RSRC2:TGID_X_EN: 1
; COMPUTE_PGM_RSRC2:TGID_Y_EN: 0
; COMPUTE_PGM_RSRC2:TGID_Z_EN: 0
; COMPUTE_PGM_RSRC2:TIDIG_COMP_CNT: 0
; COMPUTE_PGM_RSRC3_GFX90A:ACCUM_OFFSET: 10
; COMPUTE_PGM_RSRC3_GFX90A:TG_SPLIT: 0
	.section	.text._ZL9mul_mat_fI15__hip_bfloat162Li32ELi4ELi3ELb0EEvPKT_PKfPKiPfiiiiiiiiiiiiiiii,"axG",@progbits,_ZL9mul_mat_fI15__hip_bfloat162Li32ELi4ELi3ELb0EEvPKT_PKfPKiPfiiiiiiiiiiiiiiii,comdat
	.globl	_ZL9mul_mat_fI15__hip_bfloat162Li32ELi4ELi3ELb0EEvPKT_PKfPKiPfiiiiiiiiiiiiiiii ; -- Begin function _ZL9mul_mat_fI15__hip_bfloat162Li32ELi4ELi3ELb0EEvPKT_PKfPKiPfiiiiiiiiiiiiiiii
	.p2align	8
	.type	_ZL9mul_mat_fI15__hip_bfloat162Li32ELi4ELi3ELb0EEvPKT_PKfPKiPfiiiiiiiiiiiiiiii,@function
_ZL9mul_mat_fI15__hip_bfloat162Li32ELi4ELi3ELb0EEvPKT_PKfPKiPfiiiiiiiiiiiiiiii: ; @_ZL9mul_mat_fI15__hip_bfloat162Li32ELi4ELi3ELb0EEvPKT_PKfPKiPfiiiiiiiiiiiiiiii
; %bb.0:
	s_add_u32 flat_scratch_lo, s6, s9
	s_addc_u32 flat_scratch_hi, s7, 0
	s_add_u32 s0, s0, s9
	s_addc_u32 s1, s1, 0
	s_add_u32 s8, s4, 0x60
	s_addc_u32 s9, s5, 0
	s_getpc_b64 s[4:5]
	s_add_u32 s4, s4, __FUNCTION__._ZL9mul_mat_fIfLi32ELi4ELi1ELb1EEvPKT_PKfPKiPfiiiiiiiiiiiiiiii@rel32@lo+4
	s_addc_u32 s5, s5, __FUNCTION__._ZL9mul_mat_fIfLi32ELi4ELi1ELb1EEvPKT_PKfPKiPfiiiiiiiiiiiiiiii@rel32@hi+12
	v_mov_b32_e32 v0, 64
	v_mov_b32_e32 v1, s4
	;; [unrolled: 1-line block ×3, first 2 shown]
	s_mov_b32 s32, 0
	s_getpc_b64 s[6:7]
	s_add_u32 s6, s6, _ZL14no_device_codePKciS0_iS0_@rel32@lo+4
	s_addc_u32 s7, s7, _ZL14no_device_codePKciS0_iS0_@rel32@hi+12
	s_swappc_b64 s[30:31], s[6:7]
	.section	.rodata,"a",@progbits
	.p2align	6, 0x0
	.amdhsa_kernel _ZL9mul_mat_fI15__hip_bfloat162Li32ELi4ELi3ELb0EEvPKT_PKfPKiPfiiiiiiiiiiiiiiii
		.amdhsa_group_segment_fixed_size 0
		.amdhsa_private_segment_fixed_size 16
		.amdhsa_kernarg_size 352
		.amdhsa_user_sgpr_count 8
		.amdhsa_user_sgpr_private_segment_buffer 1
		.amdhsa_user_sgpr_dispatch_ptr 0
		.amdhsa_user_sgpr_queue_ptr 0
		.amdhsa_user_sgpr_kernarg_segment_ptr 1
		.amdhsa_user_sgpr_dispatch_id 0
		.amdhsa_user_sgpr_flat_scratch_init 1
		.amdhsa_user_sgpr_kernarg_preload_length 0
		.amdhsa_user_sgpr_kernarg_preload_offset 0
		.amdhsa_user_sgpr_private_segment_size 0
		.amdhsa_uses_dynamic_stack 0
		.amdhsa_system_sgpr_private_segment_wavefront_offset 1
		.amdhsa_system_sgpr_workgroup_id_x 1
		.amdhsa_system_sgpr_workgroup_id_y 0
		.amdhsa_system_sgpr_workgroup_id_z 0
		.amdhsa_system_sgpr_workgroup_info 0
		.amdhsa_system_vgpr_workitem_id 0
		.amdhsa_next_free_vgpr 41
		.amdhsa_next_free_sgpr 34
		.amdhsa_accum_offset 44
		.amdhsa_reserve_vcc 1
		.amdhsa_reserve_flat_scratch 1
		.amdhsa_float_round_mode_32 0
		.amdhsa_float_round_mode_16_64 0
		.amdhsa_float_denorm_mode_32 3
		.amdhsa_float_denorm_mode_16_64 3
		.amdhsa_dx10_clamp 1
		.amdhsa_ieee_mode 1
		.amdhsa_fp16_overflow 0
		.amdhsa_tg_split 0
		.amdhsa_exception_fp_ieee_invalid_op 0
		.amdhsa_exception_fp_denorm_src 0
		.amdhsa_exception_fp_ieee_div_zero 0
		.amdhsa_exception_fp_ieee_overflow 0
		.amdhsa_exception_fp_ieee_underflow 0
		.amdhsa_exception_fp_ieee_inexact 0
		.amdhsa_exception_int_div_zero 0
	.end_amdhsa_kernel
	.section	.text._ZL9mul_mat_fI15__hip_bfloat162Li32ELi4ELi3ELb0EEvPKT_PKfPKiPfiiiiiiiiiiiiiiii,"axG",@progbits,_ZL9mul_mat_fI15__hip_bfloat162Li32ELi4ELi3ELb0EEvPKT_PKfPKiPfiiiiiiiiiiiiiiii,comdat
.Lfunc_end59:
	.size	_ZL9mul_mat_fI15__hip_bfloat162Li32ELi4ELi3ELb0EEvPKT_PKfPKiPfiiiiiiiiiiiiiiii, .Lfunc_end59-_ZL9mul_mat_fI15__hip_bfloat162Li32ELi4ELi3ELb0EEvPKT_PKfPKiPfiiiiiiiiiiiiiiii
                                        ; -- End function
	.section	.AMDGPU.csdata,"",@progbits
; Kernel info:
; codeLenInByte = 88
; NumSgprs: 40
; NumVgprs: 41
; NumAgprs: 0
; TotalNumVgprs: 41
; ScratchSize: 16
; MemoryBound: 0
; FloatMode: 240
; IeeeMode: 1
; LDSByteSize: 0 bytes/workgroup (compile time only)
; SGPRBlocks: 4
; VGPRBlocks: 5
; NumSGPRsForWavesPerEU: 40
; NumVGPRsForWavesPerEU: 41
; AccumOffset: 44
; Occupancy: 8
; WaveLimiterHint : 1
; COMPUTE_PGM_RSRC2:SCRATCH_EN: 1
; COMPUTE_PGM_RSRC2:USER_SGPR: 8
; COMPUTE_PGM_RSRC2:TRAP_HANDLER: 0
; COMPUTE_PGM_RSRC2:TGID_X_EN: 1
; COMPUTE_PGM_RSRC2:TGID_Y_EN: 0
; COMPUTE_PGM_RSRC2:TGID_Z_EN: 0
; COMPUTE_PGM_RSRC2:TIDIG_COMP_CNT: 0
; COMPUTE_PGM_RSRC3_GFX90A:ACCUM_OFFSET: 10
; COMPUTE_PGM_RSRC3_GFX90A:TG_SPLIT: 0
	.section	.text._ZL13mul_mat_f_idsI15__hip_bfloat162Li32ELi4ELi4EEvPKT_PKfPKiS7_S7_Pfiiiiiiiiiiiiii15HIP_vector_typeIjLj3EESA_,"axG",@progbits,_ZL13mul_mat_f_idsI15__hip_bfloat162Li32ELi4ELi4EEvPKT_PKfPKiS7_S7_Pfiiiiiiiiiiiiii15HIP_vector_typeIjLj3EESA_,comdat
	.globl	_ZL13mul_mat_f_idsI15__hip_bfloat162Li32ELi4ELi4EEvPKT_PKfPKiS7_S7_Pfiiiiiiiiiiiiii15HIP_vector_typeIjLj3EESA_ ; -- Begin function _ZL13mul_mat_f_idsI15__hip_bfloat162Li32ELi4ELi4EEvPKT_PKfPKiS7_S7_Pfiiiiiiiiiiiiii15HIP_vector_typeIjLj3EESA_
	.p2align	8
	.type	_ZL13mul_mat_f_idsI15__hip_bfloat162Li32ELi4ELi4EEvPKT_PKfPKiS7_S7_Pfiiiiiiiiiiiiii15HIP_vector_typeIjLj3EESA_,@function
_ZL13mul_mat_f_idsI15__hip_bfloat162Li32ELi4ELi4EEvPKT_PKfPKiS7_S7_Pfiiiiiiiiiiiiii15HIP_vector_typeIjLj3EESA_: ; @_ZL13mul_mat_f_idsI15__hip_bfloat162Li32ELi4ELi4EEvPKT_PKfPKiS7_S7_Pfiiiiiiiiiiiiii15HIP_vector_typeIjLj3EESA_
; %bb.0:
	s_add_u32 flat_scratch_lo, s6, s9
	s_addc_u32 flat_scratch_hi, s7, 0
	s_add_u32 s0, s0, s9
	s_addc_u32 s1, s1, 0
	s_add_u32 s8, s4, 0x80
	s_addc_u32 s9, s5, 0
	s_getpc_b64 s[4:5]
	s_add_u32 s4, s4, __FUNCTION__._ZL13mul_mat_f_idsIfLi32ELi4ELi1EEvPKT_PKfPKiS6_S6_Pfiiiiiiiiiiiiii15HIP_vector_typeIjLj3EES9_@rel32@lo+4
	s_addc_u32 s5, s5, __FUNCTION__._ZL13mul_mat_f_idsIfLi32ELi4ELi1EEvPKT_PKfPKiS6_S6_Pfiiiiiiiiiiiiii15HIP_vector_typeIjLj3EES9_@rel32@hi+12
	v_mov_b32_e32 v0, 0x13b
	v_mov_b32_e32 v1, s4
	;; [unrolled: 1-line block ×3, first 2 shown]
	s_mov_b32 s32, 0
	s_getpc_b64 s[6:7]
	s_add_u32 s6, s6, _ZL14no_device_codePKciS0_iS0_@rel32@lo+4
	s_addc_u32 s7, s7, _ZL14no_device_codePKciS0_iS0_@rel32@hi+12
	s_swappc_b64 s[30:31], s[6:7]
	.section	.rodata,"a",@progbits
	.p2align	6, 0x0
	.amdhsa_kernel _ZL13mul_mat_f_idsI15__hip_bfloat162Li32ELi4ELi4EEvPKT_PKfPKiS7_S7_Pfiiiiiiiiiiiiii15HIP_vector_typeIjLj3EESA_
		.amdhsa_group_segment_fixed_size 0
		.amdhsa_private_segment_fixed_size 16
		.amdhsa_kernarg_size 384
		.amdhsa_user_sgpr_count 8
		.amdhsa_user_sgpr_private_segment_buffer 1
		.amdhsa_user_sgpr_dispatch_ptr 0
		.amdhsa_user_sgpr_queue_ptr 0
		.amdhsa_user_sgpr_kernarg_segment_ptr 1
		.amdhsa_user_sgpr_dispatch_id 0
		.amdhsa_user_sgpr_flat_scratch_init 1
		.amdhsa_user_sgpr_kernarg_preload_length 0
		.amdhsa_user_sgpr_kernarg_preload_offset 0
		.amdhsa_user_sgpr_private_segment_size 0
		.amdhsa_uses_dynamic_stack 0
		.amdhsa_system_sgpr_private_segment_wavefront_offset 1
		.amdhsa_system_sgpr_workgroup_id_x 1
		.amdhsa_system_sgpr_workgroup_id_y 0
		.amdhsa_system_sgpr_workgroup_id_z 0
		.amdhsa_system_sgpr_workgroup_info 0
		.amdhsa_system_vgpr_workitem_id 0
		.amdhsa_next_free_vgpr 41
		.amdhsa_next_free_sgpr 34
		.amdhsa_accum_offset 44
		.amdhsa_reserve_vcc 1
		.amdhsa_reserve_flat_scratch 1
		.amdhsa_float_round_mode_32 0
		.amdhsa_float_round_mode_16_64 0
		.amdhsa_float_denorm_mode_32 3
		.amdhsa_float_denorm_mode_16_64 3
		.amdhsa_dx10_clamp 1
		.amdhsa_ieee_mode 1
		.amdhsa_fp16_overflow 0
		.amdhsa_tg_split 0
		.amdhsa_exception_fp_ieee_invalid_op 0
		.amdhsa_exception_fp_denorm_src 0
		.amdhsa_exception_fp_ieee_div_zero 0
		.amdhsa_exception_fp_ieee_overflow 0
		.amdhsa_exception_fp_ieee_underflow 0
		.amdhsa_exception_fp_ieee_inexact 0
		.amdhsa_exception_int_div_zero 0
	.end_amdhsa_kernel
	.section	.text._ZL13mul_mat_f_idsI15__hip_bfloat162Li32ELi4ELi4EEvPKT_PKfPKiS7_S7_Pfiiiiiiiiiiiiii15HIP_vector_typeIjLj3EESA_,"axG",@progbits,_ZL13mul_mat_f_idsI15__hip_bfloat162Li32ELi4ELi4EEvPKT_PKfPKiS7_S7_Pfiiiiiiiiiiiiii15HIP_vector_typeIjLj3EESA_,comdat
.Lfunc_end60:
	.size	_ZL13mul_mat_f_idsI15__hip_bfloat162Li32ELi4ELi4EEvPKT_PKfPKiS7_S7_Pfiiiiiiiiiiiiii15HIP_vector_typeIjLj3EESA_, .Lfunc_end60-_ZL13mul_mat_f_idsI15__hip_bfloat162Li32ELi4ELi4EEvPKT_PKfPKiS7_S7_Pfiiiiiiiiiiiiii15HIP_vector_typeIjLj3EESA_
                                        ; -- End function
	.section	.AMDGPU.csdata,"",@progbits
; Kernel info:
; codeLenInByte = 92
; NumSgprs: 40
; NumVgprs: 41
; NumAgprs: 0
; TotalNumVgprs: 41
; ScratchSize: 16
; MemoryBound: 0
; FloatMode: 240
; IeeeMode: 1
; LDSByteSize: 0 bytes/workgroup (compile time only)
; SGPRBlocks: 4
; VGPRBlocks: 5
; NumSGPRsForWavesPerEU: 40
; NumVGPRsForWavesPerEU: 41
; AccumOffset: 44
; Occupancy: 8
; WaveLimiterHint : 1
; COMPUTE_PGM_RSRC2:SCRATCH_EN: 1
; COMPUTE_PGM_RSRC2:USER_SGPR: 8
; COMPUTE_PGM_RSRC2:TRAP_HANDLER: 0
; COMPUTE_PGM_RSRC2:TGID_X_EN: 1
; COMPUTE_PGM_RSRC2:TGID_Y_EN: 0
; COMPUTE_PGM_RSRC2:TGID_Z_EN: 0
; COMPUTE_PGM_RSRC2:TIDIG_COMP_CNT: 0
; COMPUTE_PGM_RSRC3_GFX90A:ACCUM_OFFSET: 10
; COMPUTE_PGM_RSRC3_GFX90A:TG_SPLIT: 0
	.section	.text._ZL9mul_mat_fI15__hip_bfloat162Li32ELi4ELi4ELb1EEvPKT_PKfPKiPfiiiiiiiiiiiiiiii,"axG",@progbits,_ZL9mul_mat_fI15__hip_bfloat162Li32ELi4ELi4ELb1EEvPKT_PKfPKiPfiiiiiiiiiiiiiiii,comdat
	.globl	_ZL9mul_mat_fI15__hip_bfloat162Li32ELi4ELi4ELb1EEvPKT_PKfPKiPfiiiiiiiiiiiiiiii ; -- Begin function _ZL9mul_mat_fI15__hip_bfloat162Li32ELi4ELi4ELb1EEvPKT_PKfPKiPfiiiiiiiiiiiiiiii
	.p2align	8
	.type	_ZL9mul_mat_fI15__hip_bfloat162Li32ELi4ELi4ELb1EEvPKT_PKfPKiPfiiiiiiiiiiiiiiii,@function
_ZL9mul_mat_fI15__hip_bfloat162Li32ELi4ELi4ELb1EEvPKT_PKfPKiPfiiiiiiiiiiiiiiii: ; @_ZL9mul_mat_fI15__hip_bfloat162Li32ELi4ELi4ELb1EEvPKT_PKfPKiPfiiiiiiiiiiiiiiii
; %bb.0:
	s_add_u32 flat_scratch_lo, s6, s9
	s_addc_u32 flat_scratch_hi, s7, 0
	s_add_u32 s0, s0, s9
	s_addc_u32 s1, s1, 0
	s_add_u32 s8, s4, 0x60
	s_addc_u32 s9, s5, 0
	s_getpc_b64 s[4:5]
	s_add_u32 s4, s4, __FUNCTION__._ZL9mul_mat_fIfLi32ELi4ELi1ELb1EEvPKT_PKfPKiPfiiiiiiiiiiiiiiii@rel32@lo+4
	s_addc_u32 s5, s5, __FUNCTION__._ZL9mul_mat_fIfLi32ELi4ELi1ELb1EEvPKT_PKfPKiPfiiiiiiiiiiiiiiii@rel32@hi+12
	v_mov_b32_e32 v0, 64
	v_mov_b32_e32 v1, s4
	;; [unrolled: 1-line block ×3, first 2 shown]
	s_mov_b32 s32, 0
	s_getpc_b64 s[6:7]
	s_add_u32 s6, s6, _ZL14no_device_codePKciS0_iS0_@rel32@lo+4
	s_addc_u32 s7, s7, _ZL14no_device_codePKciS0_iS0_@rel32@hi+12
	s_swappc_b64 s[30:31], s[6:7]
	.section	.rodata,"a",@progbits
	.p2align	6, 0x0
	.amdhsa_kernel _ZL9mul_mat_fI15__hip_bfloat162Li32ELi4ELi4ELb1EEvPKT_PKfPKiPfiiiiiiiiiiiiiiii
		.amdhsa_group_segment_fixed_size 0
		.amdhsa_private_segment_fixed_size 16
		.amdhsa_kernarg_size 352
		.amdhsa_user_sgpr_count 8
		.amdhsa_user_sgpr_private_segment_buffer 1
		.amdhsa_user_sgpr_dispatch_ptr 0
		.amdhsa_user_sgpr_queue_ptr 0
		.amdhsa_user_sgpr_kernarg_segment_ptr 1
		.amdhsa_user_sgpr_dispatch_id 0
		.amdhsa_user_sgpr_flat_scratch_init 1
		.amdhsa_user_sgpr_kernarg_preload_length 0
		.amdhsa_user_sgpr_kernarg_preload_offset 0
		.amdhsa_user_sgpr_private_segment_size 0
		.amdhsa_uses_dynamic_stack 0
		.amdhsa_system_sgpr_private_segment_wavefront_offset 1
		.amdhsa_system_sgpr_workgroup_id_x 1
		.amdhsa_system_sgpr_workgroup_id_y 0
		.amdhsa_system_sgpr_workgroup_id_z 0
		.amdhsa_system_sgpr_workgroup_info 0
		.amdhsa_system_vgpr_workitem_id 0
		.amdhsa_next_free_vgpr 41
		.amdhsa_next_free_sgpr 34
		.amdhsa_accum_offset 44
		.amdhsa_reserve_vcc 1
		.amdhsa_reserve_flat_scratch 1
		.amdhsa_float_round_mode_32 0
		.amdhsa_float_round_mode_16_64 0
		.amdhsa_float_denorm_mode_32 3
		.amdhsa_float_denorm_mode_16_64 3
		.amdhsa_dx10_clamp 1
		.amdhsa_ieee_mode 1
		.amdhsa_fp16_overflow 0
		.amdhsa_tg_split 0
		.amdhsa_exception_fp_ieee_invalid_op 0
		.amdhsa_exception_fp_denorm_src 0
		.amdhsa_exception_fp_ieee_div_zero 0
		.amdhsa_exception_fp_ieee_overflow 0
		.amdhsa_exception_fp_ieee_underflow 0
		.amdhsa_exception_fp_ieee_inexact 0
		.amdhsa_exception_int_div_zero 0
	.end_amdhsa_kernel
	.section	.text._ZL9mul_mat_fI15__hip_bfloat162Li32ELi4ELi4ELb1EEvPKT_PKfPKiPfiiiiiiiiiiiiiiii,"axG",@progbits,_ZL9mul_mat_fI15__hip_bfloat162Li32ELi4ELi4ELb1EEvPKT_PKfPKiPfiiiiiiiiiiiiiiii,comdat
.Lfunc_end61:
	.size	_ZL9mul_mat_fI15__hip_bfloat162Li32ELi4ELi4ELb1EEvPKT_PKfPKiPfiiiiiiiiiiiiiiii, .Lfunc_end61-_ZL9mul_mat_fI15__hip_bfloat162Li32ELi4ELi4ELb1EEvPKT_PKfPKiPfiiiiiiiiiiiiiiii
                                        ; -- End function
	.section	.AMDGPU.csdata,"",@progbits
; Kernel info:
; codeLenInByte = 88
; NumSgprs: 40
; NumVgprs: 41
; NumAgprs: 0
; TotalNumVgprs: 41
; ScratchSize: 16
; MemoryBound: 0
; FloatMode: 240
; IeeeMode: 1
; LDSByteSize: 0 bytes/workgroup (compile time only)
; SGPRBlocks: 4
; VGPRBlocks: 5
; NumSGPRsForWavesPerEU: 40
; NumVGPRsForWavesPerEU: 41
; AccumOffset: 44
; Occupancy: 8
; WaveLimiterHint : 1
; COMPUTE_PGM_RSRC2:SCRATCH_EN: 1
; COMPUTE_PGM_RSRC2:USER_SGPR: 8
; COMPUTE_PGM_RSRC2:TRAP_HANDLER: 0
; COMPUTE_PGM_RSRC2:TGID_X_EN: 1
; COMPUTE_PGM_RSRC2:TGID_Y_EN: 0
; COMPUTE_PGM_RSRC2:TGID_Z_EN: 0
; COMPUTE_PGM_RSRC2:TIDIG_COMP_CNT: 0
; COMPUTE_PGM_RSRC3_GFX90A:ACCUM_OFFSET: 10
; COMPUTE_PGM_RSRC3_GFX90A:TG_SPLIT: 0
	.section	.text._ZL9mul_mat_fI15__hip_bfloat162Li32ELi4ELi4ELb0EEvPKT_PKfPKiPfiiiiiiiiiiiiiiii,"axG",@progbits,_ZL9mul_mat_fI15__hip_bfloat162Li32ELi4ELi4ELb0EEvPKT_PKfPKiPfiiiiiiiiiiiiiiii,comdat
	.globl	_ZL9mul_mat_fI15__hip_bfloat162Li32ELi4ELi4ELb0EEvPKT_PKfPKiPfiiiiiiiiiiiiiiii ; -- Begin function _ZL9mul_mat_fI15__hip_bfloat162Li32ELi4ELi4ELb0EEvPKT_PKfPKiPfiiiiiiiiiiiiiiii
	.p2align	8
	.type	_ZL9mul_mat_fI15__hip_bfloat162Li32ELi4ELi4ELb0EEvPKT_PKfPKiPfiiiiiiiiiiiiiiii,@function
_ZL9mul_mat_fI15__hip_bfloat162Li32ELi4ELi4ELb0EEvPKT_PKfPKiPfiiiiiiiiiiiiiiii: ; @_ZL9mul_mat_fI15__hip_bfloat162Li32ELi4ELi4ELb0EEvPKT_PKfPKiPfiiiiiiiiiiiiiiii
; %bb.0:
	s_add_u32 flat_scratch_lo, s6, s9
	s_addc_u32 flat_scratch_hi, s7, 0
	s_add_u32 s0, s0, s9
	s_addc_u32 s1, s1, 0
	s_add_u32 s8, s4, 0x60
	s_addc_u32 s9, s5, 0
	s_getpc_b64 s[4:5]
	s_add_u32 s4, s4, __FUNCTION__._ZL9mul_mat_fIfLi32ELi4ELi1ELb1EEvPKT_PKfPKiPfiiiiiiiiiiiiiiii@rel32@lo+4
	s_addc_u32 s5, s5, __FUNCTION__._ZL9mul_mat_fIfLi32ELi4ELi1ELb1EEvPKT_PKfPKiPfiiiiiiiiiiiiiiii@rel32@hi+12
	v_mov_b32_e32 v0, 64
	v_mov_b32_e32 v1, s4
	;; [unrolled: 1-line block ×3, first 2 shown]
	s_mov_b32 s32, 0
	s_getpc_b64 s[6:7]
	s_add_u32 s6, s6, _ZL14no_device_codePKciS0_iS0_@rel32@lo+4
	s_addc_u32 s7, s7, _ZL14no_device_codePKciS0_iS0_@rel32@hi+12
	s_swappc_b64 s[30:31], s[6:7]
	.section	.rodata,"a",@progbits
	.p2align	6, 0x0
	.amdhsa_kernel _ZL9mul_mat_fI15__hip_bfloat162Li32ELi4ELi4ELb0EEvPKT_PKfPKiPfiiiiiiiiiiiiiiii
		.amdhsa_group_segment_fixed_size 0
		.amdhsa_private_segment_fixed_size 16
		.amdhsa_kernarg_size 352
		.amdhsa_user_sgpr_count 8
		.amdhsa_user_sgpr_private_segment_buffer 1
		.amdhsa_user_sgpr_dispatch_ptr 0
		.amdhsa_user_sgpr_queue_ptr 0
		.amdhsa_user_sgpr_kernarg_segment_ptr 1
		.amdhsa_user_sgpr_dispatch_id 0
		.amdhsa_user_sgpr_flat_scratch_init 1
		.amdhsa_user_sgpr_kernarg_preload_length 0
		.amdhsa_user_sgpr_kernarg_preload_offset 0
		.amdhsa_user_sgpr_private_segment_size 0
		.amdhsa_uses_dynamic_stack 0
		.amdhsa_system_sgpr_private_segment_wavefront_offset 1
		.amdhsa_system_sgpr_workgroup_id_x 1
		.amdhsa_system_sgpr_workgroup_id_y 0
		.amdhsa_system_sgpr_workgroup_id_z 0
		.amdhsa_system_sgpr_workgroup_info 0
		.amdhsa_system_vgpr_workitem_id 0
		.amdhsa_next_free_vgpr 41
		.amdhsa_next_free_sgpr 34
		.amdhsa_accum_offset 44
		.amdhsa_reserve_vcc 1
		.amdhsa_reserve_flat_scratch 1
		.amdhsa_float_round_mode_32 0
		.amdhsa_float_round_mode_16_64 0
		.amdhsa_float_denorm_mode_32 3
		.amdhsa_float_denorm_mode_16_64 3
		.amdhsa_dx10_clamp 1
		.amdhsa_ieee_mode 1
		.amdhsa_fp16_overflow 0
		.amdhsa_tg_split 0
		.amdhsa_exception_fp_ieee_invalid_op 0
		.amdhsa_exception_fp_denorm_src 0
		.amdhsa_exception_fp_ieee_div_zero 0
		.amdhsa_exception_fp_ieee_overflow 0
		.amdhsa_exception_fp_ieee_underflow 0
		.amdhsa_exception_fp_ieee_inexact 0
		.amdhsa_exception_int_div_zero 0
	.end_amdhsa_kernel
	.section	.text._ZL9mul_mat_fI15__hip_bfloat162Li32ELi4ELi4ELb0EEvPKT_PKfPKiPfiiiiiiiiiiiiiiii,"axG",@progbits,_ZL9mul_mat_fI15__hip_bfloat162Li32ELi4ELi4ELb0EEvPKT_PKfPKiPfiiiiiiiiiiiiiiii,comdat
.Lfunc_end62:
	.size	_ZL9mul_mat_fI15__hip_bfloat162Li32ELi4ELi4ELb0EEvPKT_PKfPKiPfiiiiiiiiiiiiiiii, .Lfunc_end62-_ZL9mul_mat_fI15__hip_bfloat162Li32ELi4ELi4ELb0EEvPKT_PKfPKiPfiiiiiiiiiiiiiiii
                                        ; -- End function
	.section	.AMDGPU.csdata,"",@progbits
; Kernel info:
; codeLenInByte = 88
; NumSgprs: 40
; NumVgprs: 41
; NumAgprs: 0
; TotalNumVgprs: 41
; ScratchSize: 16
; MemoryBound: 0
; FloatMode: 240
; IeeeMode: 1
; LDSByteSize: 0 bytes/workgroup (compile time only)
; SGPRBlocks: 4
; VGPRBlocks: 5
; NumSGPRsForWavesPerEU: 40
; NumVGPRsForWavesPerEU: 41
; AccumOffset: 44
; Occupancy: 8
; WaveLimiterHint : 1
; COMPUTE_PGM_RSRC2:SCRATCH_EN: 1
; COMPUTE_PGM_RSRC2:USER_SGPR: 8
; COMPUTE_PGM_RSRC2:TRAP_HANDLER: 0
; COMPUTE_PGM_RSRC2:TGID_X_EN: 1
; COMPUTE_PGM_RSRC2:TGID_Y_EN: 0
; COMPUTE_PGM_RSRC2:TGID_Z_EN: 0
; COMPUTE_PGM_RSRC2:TIDIG_COMP_CNT: 0
; COMPUTE_PGM_RSRC3_GFX90A:ACCUM_OFFSET: 10
; COMPUTE_PGM_RSRC3_GFX90A:TG_SPLIT: 0
	.section	.text._ZL13mul_mat_f_idsI15__hip_bfloat162Li32ELi4ELi5EEvPKT_PKfPKiS7_S7_Pfiiiiiiiiiiiiii15HIP_vector_typeIjLj3EESA_,"axG",@progbits,_ZL13mul_mat_f_idsI15__hip_bfloat162Li32ELi4ELi5EEvPKT_PKfPKiS7_S7_Pfiiiiiiiiiiiiii15HIP_vector_typeIjLj3EESA_,comdat
	.globl	_ZL13mul_mat_f_idsI15__hip_bfloat162Li32ELi4ELi5EEvPKT_PKfPKiS7_S7_Pfiiiiiiiiiiiiii15HIP_vector_typeIjLj3EESA_ ; -- Begin function _ZL13mul_mat_f_idsI15__hip_bfloat162Li32ELi4ELi5EEvPKT_PKfPKiS7_S7_Pfiiiiiiiiiiiiii15HIP_vector_typeIjLj3EESA_
	.p2align	8
	.type	_ZL13mul_mat_f_idsI15__hip_bfloat162Li32ELi4ELi5EEvPKT_PKfPKiS7_S7_Pfiiiiiiiiiiiiii15HIP_vector_typeIjLj3EESA_,@function
_ZL13mul_mat_f_idsI15__hip_bfloat162Li32ELi4ELi5EEvPKT_PKfPKiS7_S7_Pfiiiiiiiiiiiiii15HIP_vector_typeIjLj3EESA_: ; @_ZL13mul_mat_f_idsI15__hip_bfloat162Li32ELi4ELi5EEvPKT_PKfPKiS7_S7_Pfiiiiiiiiiiiiii15HIP_vector_typeIjLj3EESA_
; %bb.0:
	s_add_u32 flat_scratch_lo, s6, s9
	s_addc_u32 flat_scratch_hi, s7, 0
	s_add_u32 s0, s0, s9
	s_addc_u32 s1, s1, 0
	s_add_u32 s8, s4, 0x80
	s_addc_u32 s9, s5, 0
	s_getpc_b64 s[4:5]
	s_add_u32 s4, s4, __FUNCTION__._ZL13mul_mat_f_idsIfLi32ELi4ELi1EEvPKT_PKfPKiS6_S6_Pfiiiiiiiiiiiiii15HIP_vector_typeIjLj3EES9_@rel32@lo+4
	s_addc_u32 s5, s5, __FUNCTION__._ZL13mul_mat_f_idsIfLi32ELi4ELi1EEvPKT_PKfPKiS6_S6_Pfiiiiiiiiiiiiii15HIP_vector_typeIjLj3EES9_@rel32@hi+12
	v_mov_b32_e32 v0, 0x13b
	v_mov_b32_e32 v1, s4
	;; [unrolled: 1-line block ×3, first 2 shown]
	s_mov_b32 s32, 0
	s_getpc_b64 s[6:7]
	s_add_u32 s6, s6, _ZL14no_device_codePKciS0_iS0_@rel32@lo+4
	s_addc_u32 s7, s7, _ZL14no_device_codePKciS0_iS0_@rel32@hi+12
	s_swappc_b64 s[30:31], s[6:7]
	.section	.rodata,"a",@progbits
	.p2align	6, 0x0
	.amdhsa_kernel _ZL13mul_mat_f_idsI15__hip_bfloat162Li32ELi4ELi5EEvPKT_PKfPKiS7_S7_Pfiiiiiiiiiiiiii15HIP_vector_typeIjLj3EESA_
		.amdhsa_group_segment_fixed_size 0
		.amdhsa_private_segment_fixed_size 16
		.amdhsa_kernarg_size 384
		.amdhsa_user_sgpr_count 8
		.amdhsa_user_sgpr_private_segment_buffer 1
		.amdhsa_user_sgpr_dispatch_ptr 0
		.amdhsa_user_sgpr_queue_ptr 0
		.amdhsa_user_sgpr_kernarg_segment_ptr 1
		.amdhsa_user_sgpr_dispatch_id 0
		.amdhsa_user_sgpr_flat_scratch_init 1
		.amdhsa_user_sgpr_kernarg_preload_length 0
		.amdhsa_user_sgpr_kernarg_preload_offset 0
		.amdhsa_user_sgpr_private_segment_size 0
		.amdhsa_uses_dynamic_stack 0
		.amdhsa_system_sgpr_private_segment_wavefront_offset 1
		.amdhsa_system_sgpr_workgroup_id_x 1
		.amdhsa_system_sgpr_workgroup_id_y 0
		.amdhsa_system_sgpr_workgroup_id_z 0
		.amdhsa_system_sgpr_workgroup_info 0
		.amdhsa_system_vgpr_workitem_id 0
		.amdhsa_next_free_vgpr 41
		.amdhsa_next_free_sgpr 34
		.amdhsa_accum_offset 44
		.amdhsa_reserve_vcc 1
		.amdhsa_reserve_flat_scratch 1
		.amdhsa_float_round_mode_32 0
		.amdhsa_float_round_mode_16_64 0
		.amdhsa_float_denorm_mode_32 3
		.amdhsa_float_denorm_mode_16_64 3
		.amdhsa_dx10_clamp 1
		.amdhsa_ieee_mode 1
		.amdhsa_fp16_overflow 0
		.amdhsa_tg_split 0
		.amdhsa_exception_fp_ieee_invalid_op 0
		.amdhsa_exception_fp_denorm_src 0
		.amdhsa_exception_fp_ieee_div_zero 0
		.amdhsa_exception_fp_ieee_overflow 0
		.amdhsa_exception_fp_ieee_underflow 0
		.amdhsa_exception_fp_ieee_inexact 0
		.amdhsa_exception_int_div_zero 0
	.end_amdhsa_kernel
	.section	.text._ZL13mul_mat_f_idsI15__hip_bfloat162Li32ELi4ELi5EEvPKT_PKfPKiS7_S7_Pfiiiiiiiiiiiiii15HIP_vector_typeIjLj3EESA_,"axG",@progbits,_ZL13mul_mat_f_idsI15__hip_bfloat162Li32ELi4ELi5EEvPKT_PKfPKiS7_S7_Pfiiiiiiiiiiiiii15HIP_vector_typeIjLj3EESA_,comdat
.Lfunc_end63:
	.size	_ZL13mul_mat_f_idsI15__hip_bfloat162Li32ELi4ELi5EEvPKT_PKfPKiS7_S7_Pfiiiiiiiiiiiiii15HIP_vector_typeIjLj3EESA_, .Lfunc_end63-_ZL13mul_mat_f_idsI15__hip_bfloat162Li32ELi4ELi5EEvPKT_PKfPKiS7_S7_Pfiiiiiiiiiiiiii15HIP_vector_typeIjLj3EESA_
                                        ; -- End function
	.section	.AMDGPU.csdata,"",@progbits
; Kernel info:
; codeLenInByte = 92
; NumSgprs: 40
; NumVgprs: 41
; NumAgprs: 0
; TotalNumVgprs: 41
; ScratchSize: 16
; MemoryBound: 0
; FloatMode: 240
; IeeeMode: 1
; LDSByteSize: 0 bytes/workgroup (compile time only)
; SGPRBlocks: 4
; VGPRBlocks: 5
; NumSGPRsForWavesPerEU: 40
; NumVGPRsForWavesPerEU: 41
; AccumOffset: 44
; Occupancy: 8
; WaveLimiterHint : 1
; COMPUTE_PGM_RSRC2:SCRATCH_EN: 1
; COMPUTE_PGM_RSRC2:USER_SGPR: 8
; COMPUTE_PGM_RSRC2:TRAP_HANDLER: 0
; COMPUTE_PGM_RSRC2:TGID_X_EN: 1
; COMPUTE_PGM_RSRC2:TGID_Y_EN: 0
; COMPUTE_PGM_RSRC2:TGID_Z_EN: 0
; COMPUTE_PGM_RSRC2:TIDIG_COMP_CNT: 0
; COMPUTE_PGM_RSRC3_GFX90A:ACCUM_OFFSET: 10
; COMPUTE_PGM_RSRC3_GFX90A:TG_SPLIT: 0
	.section	.text._ZL9mul_mat_fI15__hip_bfloat162Li32ELi4ELi5ELb1EEvPKT_PKfPKiPfiiiiiiiiiiiiiiii,"axG",@progbits,_ZL9mul_mat_fI15__hip_bfloat162Li32ELi4ELi5ELb1EEvPKT_PKfPKiPfiiiiiiiiiiiiiiii,comdat
	.globl	_ZL9mul_mat_fI15__hip_bfloat162Li32ELi4ELi5ELb1EEvPKT_PKfPKiPfiiiiiiiiiiiiiiii ; -- Begin function _ZL9mul_mat_fI15__hip_bfloat162Li32ELi4ELi5ELb1EEvPKT_PKfPKiPfiiiiiiiiiiiiiiii
	.p2align	8
	.type	_ZL9mul_mat_fI15__hip_bfloat162Li32ELi4ELi5ELb1EEvPKT_PKfPKiPfiiiiiiiiiiiiiiii,@function
_ZL9mul_mat_fI15__hip_bfloat162Li32ELi4ELi5ELb1EEvPKT_PKfPKiPfiiiiiiiiiiiiiiii: ; @_ZL9mul_mat_fI15__hip_bfloat162Li32ELi4ELi5ELb1EEvPKT_PKfPKiPfiiiiiiiiiiiiiiii
; %bb.0:
	s_add_u32 flat_scratch_lo, s6, s9
	s_addc_u32 flat_scratch_hi, s7, 0
	s_add_u32 s0, s0, s9
	s_addc_u32 s1, s1, 0
	s_add_u32 s8, s4, 0x60
	s_addc_u32 s9, s5, 0
	s_getpc_b64 s[4:5]
	s_add_u32 s4, s4, __FUNCTION__._ZL9mul_mat_fIfLi32ELi4ELi1ELb1EEvPKT_PKfPKiPfiiiiiiiiiiiiiiii@rel32@lo+4
	s_addc_u32 s5, s5, __FUNCTION__._ZL9mul_mat_fIfLi32ELi4ELi1ELb1EEvPKT_PKfPKiPfiiiiiiiiiiiiiiii@rel32@hi+12
	v_mov_b32_e32 v0, 64
	v_mov_b32_e32 v1, s4
	;; [unrolled: 1-line block ×3, first 2 shown]
	s_mov_b32 s32, 0
	s_getpc_b64 s[6:7]
	s_add_u32 s6, s6, _ZL14no_device_codePKciS0_iS0_@rel32@lo+4
	s_addc_u32 s7, s7, _ZL14no_device_codePKciS0_iS0_@rel32@hi+12
	s_swappc_b64 s[30:31], s[6:7]
	.section	.rodata,"a",@progbits
	.p2align	6, 0x0
	.amdhsa_kernel _ZL9mul_mat_fI15__hip_bfloat162Li32ELi4ELi5ELb1EEvPKT_PKfPKiPfiiiiiiiiiiiiiiii
		.amdhsa_group_segment_fixed_size 0
		.amdhsa_private_segment_fixed_size 16
		.amdhsa_kernarg_size 352
		.amdhsa_user_sgpr_count 8
		.amdhsa_user_sgpr_private_segment_buffer 1
		.amdhsa_user_sgpr_dispatch_ptr 0
		.amdhsa_user_sgpr_queue_ptr 0
		.amdhsa_user_sgpr_kernarg_segment_ptr 1
		.amdhsa_user_sgpr_dispatch_id 0
		.amdhsa_user_sgpr_flat_scratch_init 1
		.amdhsa_user_sgpr_kernarg_preload_length 0
		.amdhsa_user_sgpr_kernarg_preload_offset 0
		.amdhsa_user_sgpr_private_segment_size 0
		.amdhsa_uses_dynamic_stack 0
		.amdhsa_system_sgpr_private_segment_wavefront_offset 1
		.amdhsa_system_sgpr_workgroup_id_x 1
		.amdhsa_system_sgpr_workgroup_id_y 0
		.amdhsa_system_sgpr_workgroup_id_z 0
		.amdhsa_system_sgpr_workgroup_info 0
		.amdhsa_system_vgpr_workitem_id 0
		.amdhsa_next_free_vgpr 41
		.amdhsa_next_free_sgpr 34
		.amdhsa_accum_offset 44
		.amdhsa_reserve_vcc 1
		.amdhsa_reserve_flat_scratch 1
		.amdhsa_float_round_mode_32 0
		.amdhsa_float_round_mode_16_64 0
		.amdhsa_float_denorm_mode_32 3
		.amdhsa_float_denorm_mode_16_64 3
		.amdhsa_dx10_clamp 1
		.amdhsa_ieee_mode 1
		.amdhsa_fp16_overflow 0
		.amdhsa_tg_split 0
		.amdhsa_exception_fp_ieee_invalid_op 0
		.amdhsa_exception_fp_denorm_src 0
		.amdhsa_exception_fp_ieee_div_zero 0
		.amdhsa_exception_fp_ieee_overflow 0
		.amdhsa_exception_fp_ieee_underflow 0
		.amdhsa_exception_fp_ieee_inexact 0
		.amdhsa_exception_int_div_zero 0
	.end_amdhsa_kernel
	.section	.text._ZL9mul_mat_fI15__hip_bfloat162Li32ELi4ELi5ELb1EEvPKT_PKfPKiPfiiiiiiiiiiiiiiii,"axG",@progbits,_ZL9mul_mat_fI15__hip_bfloat162Li32ELi4ELi5ELb1EEvPKT_PKfPKiPfiiiiiiiiiiiiiiii,comdat
.Lfunc_end64:
	.size	_ZL9mul_mat_fI15__hip_bfloat162Li32ELi4ELi5ELb1EEvPKT_PKfPKiPfiiiiiiiiiiiiiiii, .Lfunc_end64-_ZL9mul_mat_fI15__hip_bfloat162Li32ELi4ELi5ELb1EEvPKT_PKfPKiPfiiiiiiiiiiiiiiii
                                        ; -- End function
	.section	.AMDGPU.csdata,"",@progbits
; Kernel info:
; codeLenInByte = 88
; NumSgprs: 40
; NumVgprs: 41
; NumAgprs: 0
; TotalNumVgprs: 41
; ScratchSize: 16
; MemoryBound: 0
; FloatMode: 240
; IeeeMode: 1
; LDSByteSize: 0 bytes/workgroup (compile time only)
; SGPRBlocks: 4
; VGPRBlocks: 5
; NumSGPRsForWavesPerEU: 40
; NumVGPRsForWavesPerEU: 41
; AccumOffset: 44
; Occupancy: 8
; WaveLimiterHint : 1
; COMPUTE_PGM_RSRC2:SCRATCH_EN: 1
; COMPUTE_PGM_RSRC2:USER_SGPR: 8
; COMPUTE_PGM_RSRC2:TRAP_HANDLER: 0
; COMPUTE_PGM_RSRC2:TGID_X_EN: 1
; COMPUTE_PGM_RSRC2:TGID_Y_EN: 0
; COMPUTE_PGM_RSRC2:TGID_Z_EN: 0
; COMPUTE_PGM_RSRC2:TIDIG_COMP_CNT: 0
; COMPUTE_PGM_RSRC3_GFX90A:ACCUM_OFFSET: 10
; COMPUTE_PGM_RSRC3_GFX90A:TG_SPLIT: 0
	.section	.text._ZL9mul_mat_fI15__hip_bfloat162Li32ELi4ELi5ELb0EEvPKT_PKfPKiPfiiiiiiiiiiiiiiii,"axG",@progbits,_ZL9mul_mat_fI15__hip_bfloat162Li32ELi4ELi5ELb0EEvPKT_PKfPKiPfiiiiiiiiiiiiiiii,comdat
	.globl	_ZL9mul_mat_fI15__hip_bfloat162Li32ELi4ELi5ELb0EEvPKT_PKfPKiPfiiiiiiiiiiiiiiii ; -- Begin function _ZL9mul_mat_fI15__hip_bfloat162Li32ELi4ELi5ELb0EEvPKT_PKfPKiPfiiiiiiiiiiiiiiii
	.p2align	8
	.type	_ZL9mul_mat_fI15__hip_bfloat162Li32ELi4ELi5ELb0EEvPKT_PKfPKiPfiiiiiiiiiiiiiiii,@function
_ZL9mul_mat_fI15__hip_bfloat162Li32ELi4ELi5ELb0EEvPKT_PKfPKiPfiiiiiiiiiiiiiiii: ; @_ZL9mul_mat_fI15__hip_bfloat162Li32ELi4ELi5ELb0EEvPKT_PKfPKiPfiiiiiiiiiiiiiiii
; %bb.0:
	s_add_u32 flat_scratch_lo, s6, s9
	s_addc_u32 flat_scratch_hi, s7, 0
	s_add_u32 s0, s0, s9
	s_addc_u32 s1, s1, 0
	s_add_u32 s8, s4, 0x60
	s_addc_u32 s9, s5, 0
	s_getpc_b64 s[4:5]
	s_add_u32 s4, s4, __FUNCTION__._ZL9mul_mat_fIfLi32ELi4ELi1ELb1EEvPKT_PKfPKiPfiiiiiiiiiiiiiiii@rel32@lo+4
	s_addc_u32 s5, s5, __FUNCTION__._ZL9mul_mat_fIfLi32ELi4ELi1ELb1EEvPKT_PKfPKiPfiiiiiiiiiiiiiiii@rel32@hi+12
	v_mov_b32_e32 v0, 64
	v_mov_b32_e32 v1, s4
	;; [unrolled: 1-line block ×3, first 2 shown]
	s_mov_b32 s32, 0
	s_getpc_b64 s[6:7]
	s_add_u32 s6, s6, _ZL14no_device_codePKciS0_iS0_@rel32@lo+4
	s_addc_u32 s7, s7, _ZL14no_device_codePKciS0_iS0_@rel32@hi+12
	s_swappc_b64 s[30:31], s[6:7]
	.section	.rodata,"a",@progbits
	.p2align	6, 0x0
	.amdhsa_kernel _ZL9mul_mat_fI15__hip_bfloat162Li32ELi4ELi5ELb0EEvPKT_PKfPKiPfiiiiiiiiiiiiiiii
		.amdhsa_group_segment_fixed_size 0
		.amdhsa_private_segment_fixed_size 16
		.amdhsa_kernarg_size 352
		.amdhsa_user_sgpr_count 8
		.amdhsa_user_sgpr_private_segment_buffer 1
		.amdhsa_user_sgpr_dispatch_ptr 0
		.amdhsa_user_sgpr_queue_ptr 0
		.amdhsa_user_sgpr_kernarg_segment_ptr 1
		.amdhsa_user_sgpr_dispatch_id 0
		.amdhsa_user_sgpr_flat_scratch_init 1
		.amdhsa_user_sgpr_kernarg_preload_length 0
		.amdhsa_user_sgpr_kernarg_preload_offset 0
		.amdhsa_user_sgpr_private_segment_size 0
		.amdhsa_uses_dynamic_stack 0
		.amdhsa_system_sgpr_private_segment_wavefront_offset 1
		.amdhsa_system_sgpr_workgroup_id_x 1
		.amdhsa_system_sgpr_workgroup_id_y 0
		.amdhsa_system_sgpr_workgroup_id_z 0
		.amdhsa_system_sgpr_workgroup_info 0
		.amdhsa_system_vgpr_workitem_id 0
		.amdhsa_next_free_vgpr 41
		.amdhsa_next_free_sgpr 34
		.amdhsa_accum_offset 44
		.amdhsa_reserve_vcc 1
		.amdhsa_reserve_flat_scratch 1
		.amdhsa_float_round_mode_32 0
		.amdhsa_float_round_mode_16_64 0
		.amdhsa_float_denorm_mode_32 3
		.amdhsa_float_denorm_mode_16_64 3
		.amdhsa_dx10_clamp 1
		.amdhsa_ieee_mode 1
		.amdhsa_fp16_overflow 0
		.amdhsa_tg_split 0
		.amdhsa_exception_fp_ieee_invalid_op 0
		.amdhsa_exception_fp_denorm_src 0
		.amdhsa_exception_fp_ieee_div_zero 0
		.amdhsa_exception_fp_ieee_overflow 0
		.amdhsa_exception_fp_ieee_underflow 0
		.amdhsa_exception_fp_ieee_inexact 0
		.amdhsa_exception_int_div_zero 0
	.end_amdhsa_kernel
	.section	.text._ZL9mul_mat_fI15__hip_bfloat162Li32ELi4ELi5ELb0EEvPKT_PKfPKiPfiiiiiiiiiiiiiiii,"axG",@progbits,_ZL9mul_mat_fI15__hip_bfloat162Li32ELi4ELi5ELb0EEvPKT_PKfPKiPfiiiiiiiiiiiiiiii,comdat
.Lfunc_end65:
	.size	_ZL9mul_mat_fI15__hip_bfloat162Li32ELi4ELi5ELb0EEvPKT_PKfPKiPfiiiiiiiiiiiiiiii, .Lfunc_end65-_ZL9mul_mat_fI15__hip_bfloat162Li32ELi4ELi5ELb0EEvPKT_PKfPKiPfiiiiiiiiiiiiiiii
                                        ; -- End function
	.section	.AMDGPU.csdata,"",@progbits
; Kernel info:
; codeLenInByte = 88
; NumSgprs: 40
; NumVgprs: 41
; NumAgprs: 0
; TotalNumVgprs: 41
; ScratchSize: 16
; MemoryBound: 0
; FloatMode: 240
; IeeeMode: 1
; LDSByteSize: 0 bytes/workgroup (compile time only)
; SGPRBlocks: 4
; VGPRBlocks: 5
; NumSGPRsForWavesPerEU: 40
; NumVGPRsForWavesPerEU: 41
; AccumOffset: 44
; Occupancy: 8
; WaveLimiterHint : 1
; COMPUTE_PGM_RSRC2:SCRATCH_EN: 1
; COMPUTE_PGM_RSRC2:USER_SGPR: 8
; COMPUTE_PGM_RSRC2:TRAP_HANDLER: 0
; COMPUTE_PGM_RSRC2:TGID_X_EN: 1
; COMPUTE_PGM_RSRC2:TGID_Y_EN: 0
; COMPUTE_PGM_RSRC2:TGID_Z_EN: 0
; COMPUTE_PGM_RSRC2:TIDIG_COMP_CNT: 0
; COMPUTE_PGM_RSRC3_GFX90A:ACCUM_OFFSET: 10
; COMPUTE_PGM_RSRC3_GFX90A:TG_SPLIT: 0
	.section	.text._ZL13mul_mat_f_idsI15__hip_bfloat162Li32ELi4ELi6EEvPKT_PKfPKiS7_S7_Pfiiiiiiiiiiiiii15HIP_vector_typeIjLj3EESA_,"axG",@progbits,_ZL13mul_mat_f_idsI15__hip_bfloat162Li32ELi4ELi6EEvPKT_PKfPKiS7_S7_Pfiiiiiiiiiiiiii15HIP_vector_typeIjLj3EESA_,comdat
	.globl	_ZL13mul_mat_f_idsI15__hip_bfloat162Li32ELi4ELi6EEvPKT_PKfPKiS7_S7_Pfiiiiiiiiiiiiii15HIP_vector_typeIjLj3EESA_ ; -- Begin function _ZL13mul_mat_f_idsI15__hip_bfloat162Li32ELi4ELi6EEvPKT_PKfPKiS7_S7_Pfiiiiiiiiiiiiii15HIP_vector_typeIjLj3EESA_
	.p2align	8
	.type	_ZL13mul_mat_f_idsI15__hip_bfloat162Li32ELi4ELi6EEvPKT_PKfPKiS7_S7_Pfiiiiiiiiiiiiii15HIP_vector_typeIjLj3EESA_,@function
_ZL13mul_mat_f_idsI15__hip_bfloat162Li32ELi4ELi6EEvPKT_PKfPKiS7_S7_Pfiiiiiiiiiiiiii15HIP_vector_typeIjLj3EESA_: ; @_ZL13mul_mat_f_idsI15__hip_bfloat162Li32ELi4ELi6EEvPKT_PKfPKiS7_S7_Pfiiiiiiiiiiiiii15HIP_vector_typeIjLj3EESA_
; %bb.0:
	s_add_u32 flat_scratch_lo, s6, s9
	s_addc_u32 flat_scratch_hi, s7, 0
	s_add_u32 s0, s0, s9
	s_addc_u32 s1, s1, 0
	s_add_u32 s8, s4, 0x80
	s_addc_u32 s9, s5, 0
	s_getpc_b64 s[4:5]
	s_add_u32 s4, s4, __FUNCTION__._ZL13mul_mat_f_idsIfLi32ELi4ELi1EEvPKT_PKfPKiS6_S6_Pfiiiiiiiiiiiiii15HIP_vector_typeIjLj3EES9_@rel32@lo+4
	s_addc_u32 s5, s5, __FUNCTION__._ZL13mul_mat_f_idsIfLi32ELi4ELi1EEvPKT_PKfPKiS6_S6_Pfiiiiiiiiiiiiii15HIP_vector_typeIjLj3EES9_@rel32@hi+12
	v_mov_b32_e32 v0, 0x13b
	v_mov_b32_e32 v1, s4
	;; [unrolled: 1-line block ×3, first 2 shown]
	s_mov_b32 s32, 0
	s_getpc_b64 s[6:7]
	s_add_u32 s6, s6, _ZL14no_device_codePKciS0_iS0_@rel32@lo+4
	s_addc_u32 s7, s7, _ZL14no_device_codePKciS0_iS0_@rel32@hi+12
	s_swappc_b64 s[30:31], s[6:7]
	.section	.rodata,"a",@progbits
	.p2align	6, 0x0
	.amdhsa_kernel _ZL13mul_mat_f_idsI15__hip_bfloat162Li32ELi4ELi6EEvPKT_PKfPKiS7_S7_Pfiiiiiiiiiiiiii15HIP_vector_typeIjLj3EESA_
		.amdhsa_group_segment_fixed_size 0
		.amdhsa_private_segment_fixed_size 16
		.amdhsa_kernarg_size 384
		.amdhsa_user_sgpr_count 8
		.amdhsa_user_sgpr_private_segment_buffer 1
		.amdhsa_user_sgpr_dispatch_ptr 0
		.amdhsa_user_sgpr_queue_ptr 0
		.amdhsa_user_sgpr_kernarg_segment_ptr 1
		.amdhsa_user_sgpr_dispatch_id 0
		.amdhsa_user_sgpr_flat_scratch_init 1
		.amdhsa_user_sgpr_kernarg_preload_length 0
		.amdhsa_user_sgpr_kernarg_preload_offset 0
		.amdhsa_user_sgpr_private_segment_size 0
		.amdhsa_uses_dynamic_stack 0
		.amdhsa_system_sgpr_private_segment_wavefront_offset 1
		.amdhsa_system_sgpr_workgroup_id_x 1
		.amdhsa_system_sgpr_workgroup_id_y 0
		.amdhsa_system_sgpr_workgroup_id_z 0
		.amdhsa_system_sgpr_workgroup_info 0
		.amdhsa_system_vgpr_workitem_id 0
		.amdhsa_next_free_vgpr 41
		.amdhsa_next_free_sgpr 34
		.amdhsa_accum_offset 44
		.amdhsa_reserve_vcc 1
		.amdhsa_reserve_flat_scratch 1
		.amdhsa_float_round_mode_32 0
		.amdhsa_float_round_mode_16_64 0
		.amdhsa_float_denorm_mode_32 3
		.amdhsa_float_denorm_mode_16_64 3
		.amdhsa_dx10_clamp 1
		.amdhsa_ieee_mode 1
		.amdhsa_fp16_overflow 0
		.amdhsa_tg_split 0
		.amdhsa_exception_fp_ieee_invalid_op 0
		.amdhsa_exception_fp_denorm_src 0
		.amdhsa_exception_fp_ieee_div_zero 0
		.amdhsa_exception_fp_ieee_overflow 0
		.amdhsa_exception_fp_ieee_underflow 0
		.amdhsa_exception_fp_ieee_inexact 0
		.amdhsa_exception_int_div_zero 0
	.end_amdhsa_kernel
	.section	.text._ZL13mul_mat_f_idsI15__hip_bfloat162Li32ELi4ELi6EEvPKT_PKfPKiS7_S7_Pfiiiiiiiiiiiiii15HIP_vector_typeIjLj3EESA_,"axG",@progbits,_ZL13mul_mat_f_idsI15__hip_bfloat162Li32ELi4ELi6EEvPKT_PKfPKiS7_S7_Pfiiiiiiiiiiiiii15HIP_vector_typeIjLj3EESA_,comdat
.Lfunc_end66:
	.size	_ZL13mul_mat_f_idsI15__hip_bfloat162Li32ELi4ELi6EEvPKT_PKfPKiS7_S7_Pfiiiiiiiiiiiiii15HIP_vector_typeIjLj3EESA_, .Lfunc_end66-_ZL13mul_mat_f_idsI15__hip_bfloat162Li32ELi4ELi6EEvPKT_PKfPKiS7_S7_Pfiiiiiiiiiiiiii15HIP_vector_typeIjLj3EESA_
                                        ; -- End function
	.section	.AMDGPU.csdata,"",@progbits
; Kernel info:
; codeLenInByte = 92
; NumSgprs: 40
; NumVgprs: 41
; NumAgprs: 0
; TotalNumVgprs: 41
; ScratchSize: 16
; MemoryBound: 0
; FloatMode: 240
; IeeeMode: 1
; LDSByteSize: 0 bytes/workgroup (compile time only)
; SGPRBlocks: 4
; VGPRBlocks: 5
; NumSGPRsForWavesPerEU: 40
; NumVGPRsForWavesPerEU: 41
; AccumOffset: 44
; Occupancy: 8
; WaveLimiterHint : 1
; COMPUTE_PGM_RSRC2:SCRATCH_EN: 1
; COMPUTE_PGM_RSRC2:USER_SGPR: 8
; COMPUTE_PGM_RSRC2:TRAP_HANDLER: 0
; COMPUTE_PGM_RSRC2:TGID_X_EN: 1
; COMPUTE_PGM_RSRC2:TGID_Y_EN: 0
; COMPUTE_PGM_RSRC2:TGID_Z_EN: 0
; COMPUTE_PGM_RSRC2:TIDIG_COMP_CNT: 0
; COMPUTE_PGM_RSRC3_GFX90A:ACCUM_OFFSET: 10
; COMPUTE_PGM_RSRC3_GFX90A:TG_SPLIT: 0
	.section	.text._ZL9mul_mat_fI15__hip_bfloat162Li32ELi4ELi6ELb1EEvPKT_PKfPKiPfiiiiiiiiiiiiiiii,"axG",@progbits,_ZL9mul_mat_fI15__hip_bfloat162Li32ELi4ELi6ELb1EEvPKT_PKfPKiPfiiiiiiiiiiiiiiii,comdat
	.globl	_ZL9mul_mat_fI15__hip_bfloat162Li32ELi4ELi6ELb1EEvPKT_PKfPKiPfiiiiiiiiiiiiiiii ; -- Begin function _ZL9mul_mat_fI15__hip_bfloat162Li32ELi4ELi6ELb1EEvPKT_PKfPKiPfiiiiiiiiiiiiiiii
	.p2align	8
	.type	_ZL9mul_mat_fI15__hip_bfloat162Li32ELi4ELi6ELb1EEvPKT_PKfPKiPfiiiiiiiiiiiiiiii,@function
_ZL9mul_mat_fI15__hip_bfloat162Li32ELi4ELi6ELb1EEvPKT_PKfPKiPfiiiiiiiiiiiiiiii: ; @_ZL9mul_mat_fI15__hip_bfloat162Li32ELi4ELi6ELb1EEvPKT_PKfPKiPfiiiiiiiiiiiiiiii
; %bb.0:
	s_add_u32 flat_scratch_lo, s6, s9
	s_addc_u32 flat_scratch_hi, s7, 0
	s_add_u32 s0, s0, s9
	s_addc_u32 s1, s1, 0
	s_add_u32 s8, s4, 0x60
	s_addc_u32 s9, s5, 0
	s_getpc_b64 s[4:5]
	s_add_u32 s4, s4, __FUNCTION__._ZL9mul_mat_fIfLi32ELi4ELi1ELb1EEvPKT_PKfPKiPfiiiiiiiiiiiiiiii@rel32@lo+4
	s_addc_u32 s5, s5, __FUNCTION__._ZL9mul_mat_fIfLi32ELi4ELi1ELb1EEvPKT_PKfPKiPfiiiiiiiiiiiiiiii@rel32@hi+12
	v_mov_b32_e32 v0, 64
	v_mov_b32_e32 v1, s4
	;; [unrolled: 1-line block ×3, first 2 shown]
	s_mov_b32 s32, 0
	s_getpc_b64 s[6:7]
	s_add_u32 s6, s6, _ZL14no_device_codePKciS0_iS0_@rel32@lo+4
	s_addc_u32 s7, s7, _ZL14no_device_codePKciS0_iS0_@rel32@hi+12
	s_swappc_b64 s[30:31], s[6:7]
	.section	.rodata,"a",@progbits
	.p2align	6, 0x0
	.amdhsa_kernel _ZL9mul_mat_fI15__hip_bfloat162Li32ELi4ELi6ELb1EEvPKT_PKfPKiPfiiiiiiiiiiiiiiii
		.amdhsa_group_segment_fixed_size 0
		.amdhsa_private_segment_fixed_size 16
		.amdhsa_kernarg_size 352
		.amdhsa_user_sgpr_count 8
		.amdhsa_user_sgpr_private_segment_buffer 1
		.amdhsa_user_sgpr_dispatch_ptr 0
		.amdhsa_user_sgpr_queue_ptr 0
		.amdhsa_user_sgpr_kernarg_segment_ptr 1
		.amdhsa_user_sgpr_dispatch_id 0
		.amdhsa_user_sgpr_flat_scratch_init 1
		.amdhsa_user_sgpr_kernarg_preload_length 0
		.amdhsa_user_sgpr_kernarg_preload_offset 0
		.amdhsa_user_sgpr_private_segment_size 0
		.amdhsa_uses_dynamic_stack 0
		.amdhsa_system_sgpr_private_segment_wavefront_offset 1
		.amdhsa_system_sgpr_workgroup_id_x 1
		.amdhsa_system_sgpr_workgroup_id_y 0
		.amdhsa_system_sgpr_workgroup_id_z 0
		.amdhsa_system_sgpr_workgroup_info 0
		.amdhsa_system_vgpr_workitem_id 0
		.amdhsa_next_free_vgpr 41
		.amdhsa_next_free_sgpr 34
		.amdhsa_accum_offset 44
		.amdhsa_reserve_vcc 1
		.amdhsa_reserve_flat_scratch 1
		.amdhsa_float_round_mode_32 0
		.amdhsa_float_round_mode_16_64 0
		.amdhsa_float_denorm_mode_32 3
		.amdhsa_float_denorm_mode_16_64 3
		.amdhsa_dx10_clamp 1
		.amdhsa_ieee_mode 1
		.amdhsa_fp16_overflow 0
		.amdhsa_tg_split 0
		.amdhsa_exception_fp_ieee_invalid_op 0
		.amdhsa_exception_fp_denorm_src 0
		.amdhsa_exception_fp_ieee_div_zero 0
		.amdhsa_exception_fp_ieee_overflow 0
		.amdhsa_exception_fp_ieee_underflow 0
		.amdhsa_exception_fp_ieee_inexact 0
		.amdhsa_exception_int_div_zero 0
	.end_amdhsa_kernel
	.section	.text._ZL9mul_mat_fI15__hip_bfloat162Li32ELi4ELi6ELb1EEvPKT_PKfPKiPfiiiiiiiiiiiiiiii,"axG",@progbits,_ZL9mul_mat_fI15__hip_bfloat162Li32ELi4ELi6ELb1EEvPKT_PKfPKiPfiiiiiiiiiiiiiiii,comdat
.Lfunc_end67:
	.size	_ZL9mul_mat_fI15__hip_bfloat162Li32ELi4ELi6ELb1EEvPKT_PKfPKiPfiiiiiiiiiiiiiiii, .Lfunc_end67-_ZL9mul_mat_fI15__hip_bfloat162Li32ELi4ELi6ELb1EEvPKT_PKfPKiPfiiiiiiiiiiiiiiii
                                        ; -- End function
	.section	.AMDGPU.csdata,"",@progbits
; Kernel info:
; codeLenInByte = 88
; NumSgprs: 40
; NumVgprs: 41
; NumAgprs: 0
; TotalNumVgprs: 41
; ScratchSize: 16
; MemoryBound: 0
; FloatMode: 240
; IeeeMode: 1
; LDSByteSize: 0 bytes/workgroup (compile time only)
; SGPRBlocks: 4
; VGPRBlocks: 5
; NumSGPRsForWavesPerEU: 40
; NumVGPRsForWavesPerEU: 41
; AccumOffset: 44
; Occupancy: 8
; WaveLimiterHint : 1
; COMPUTE_PGM_RSRC2:SCRATCH_EN: 1
; COMPUTE_PGM_RSRC2:USER_SGPR: 8
; COMPUTE_PGM_RSRC2:TRAP_HANDLER: 0
; COMPUTE_PGM_RSRC2:TGID_X_EN: 1
; COMPUTE_PGM_RSRC2:TGID_Y_EN: 0
; COMPUTE_PGM_RSRC2:TGID_Z_EN: 0
; COMPUTE_PGM_RSRC2:TIDIG_COMP_CNT: 0
; COMPUTE_PGM_RSRC3_GFX90A:ACCUM_OFFSET: 10
; COMPUTE_PGM_RSRC3_GFX90A:TG_SPLIT: 0
	.section	.text._ZL9mul_mat_fI15__hip_bfloat162Li32ELi4ELi6ELb0EEvPKT_PKfPKiPfiiiiiiiiiiiiiiii,"axG",@progbits,_ZL9mul_mat_fI15__hip_bfloat162Li32ELi4ELi6ELb0EEvPKT_PKfPKiPfiiiiiiiiiiiiiiii,comdat
	.globl	_ZL9mul_mat_fI15__hip_bfloat162Li32ELi4ELi6ELb0EEvPKT_PKfPKiPfiiiiiiiiiiiiiiii ; -- Begin function _ZL9mul_mat_fI15__hip_bfloat162Li32ELi4ELi6ELb0EEvPKT_PKfPKiPfiiiiiiiiiiiiiiii
	.p2align	8
	.type	_ZL9mul_mat_fI15__hip_bfloat162Li32ELi4ELi6ELb0EEvPKT_PKfPKiPfiiiiiiiiiiiiiiii,@function
_ZL9mul_mat_fI15__hip_bfloat162Li32ELi4ELi6ELb0EEvPKT_PKfPKiPfiiiiiiiiiiiiiiii: ; @_ZL9mul_mat_fI15__hip_bfloat162Li32ELi4ELi6ELb0EEvPKT_PKfPKiPfiiiiiiiiiiiiiiii
; %bb.0:
	s_add_u32 flat_scratch_lo, s6, s9
	s_addc_u32 flat_scratch_hi, s7, 0
	s_add_u32 s0, s0, s9
	s_addc_u32 s1, s1, 0
	s_add_u32 s8, s4, 0x60
	s_addc_u32 s9, s5, 0
	s_getpc_b64 s[4:5]
	s_add_u32 s4, s4, __FUNCTION__._ZL9mul_mat_fIfLi32ELi4ELi1ELb1EEvPKT_PKfPKiPfiiiiiiiiiiiiiiii@rel32@lo+4
	s_addc_u32 s5, s5, __FUNCTION__._ZL9mul_mat_fIfLi32ELi4ELi1ELb1EEvPKT_PKfPKiPfiiiiiiiiiiiiiiii@rel32@hi+12
	v_mov_b32_e32 v0, 64
	v_mov_b32_e32 v1, s4
	;; [unrolled: 1-line block ×3, first 2 shown]
	s_mov_b32 s32, 0
	s_getpc_b64 s[6:7]
	s_add_u32 s6, s6, _ZL14no_device_codePKciS0_iS0_@rel32@lo+4
	s_addc_u32 s7, s7, _ZL14no_device_codePKciS0_iS0_@rel32@hi+12
	s_swappc_b64 s[30:31], s[6:7]
	.section	.rodata,"a",@progbits
	.p2align	6, 0x0
	.amdhsa_kernel _ZL9mul_mat_fI15__hip_bfloat162Li32ELi4ELi6ELb0EEvPKT_PKfPKiPfiiiiiiiiiiiiiiii
		.amdhsa_group_segment_fixed_size 0
		.amdhsa_private_segment_fixed_size 16
		.amdhsa_kernarg_size 352
		.amdhsa_user_sgpr_count 8
		.amdhsa_user_sgpr_private_segment_buffer 1
		.amdhsa_user_sgpr_dispatch_ptr 0
		.amdhsa_user_sgpr_queue_ptr 0
		.amdhsa_user_sgpr_kernarg_segment_ptr 1
		.amdhsa_user_sgpr_dispatch_id 0
		.amdhsa_user_sgpr_flat_scratch_init 1
		.amdhsa_user_sgpr_kernarg_preload_length 0
		.amdhsa_user_sgpr_kernarg_preload_offset 0
		.amdhsa_user_sgpr_private_segment_size 0
		.amdhsa_uses_dynamic_stack 0
		.amdhsa_system_sgpr_private_segment_wavefront_offset 1
		.amdhsa_system_sgpr_workgroup_id_x 1
		.amdhsa_system_sgpr_workgroup_id_y 0
		.amdhsa_system_sgpr_workgroup_id_z 0
		.amdhsa_system_sgpr_workgroup_info 0
		.amdhsa_system_vgpr_workitem_id 0
		.amdhsa_next_free_vgpr 41
		.amdhsa_next_free_sgpr 34
		.amdhsa_accum_offset 44
		.amdhsa_reserve_vcc 1
		.amdhsa_reserve_flat_scratch 1
		.amdhsa_float_round_mode_32 0
		.amdhsa_float_round_mode_16_64 0
		.amdhsa_float_denorm_mode_32 3
		.amdhsa_float_denorm_mode_16_64 3
		.amdhsa_dx10_clamp 1
		.amdhsa_ieee_mode 1
		.amdhsa_fp16_overflow 0
		.amdhsa_tg_split 0
		.amdhsa_exception_fp_ieee_invalid_op 0
		.amdhsa_exception_fp_denorm_src 0
		.amdhsa_exception_fp_ieee_div_zero 0
		.amdhsa_exception_fp_ieee_overflow 0
		.amdhsa_exception_fp_ieee_underflow 0
		.amdhsa_exception_fp_ieee_inexact 0
		.amdhsa_exception_int_div_zero 0
	.end_amdhsa_kernel
	.section	.text._ZL9mul_mat_fI15__hip_bfloat162Li32ELi4ELi6ELb0EEvPKT_PKfPKiPfiiiiiiiiiiiiiiii,"axG",@progbits,_ZL9mul_mat_fI15__hip_bfloat162Li32ELi4ELi6ELb0EEvPKT_PKfPKiPfiiiiiiiiiiiiiiii,comdat
.Lfunc_end68:
	.size	_ZL9mul_mat_fI15__hip_bfloat162Li32ELi4ELi6ELb0EEvPKT_PKfPKiPfiiiiiiiiiiiiiiii, .Lfunc_end68-_ZL9mul_mat_fI15__hip_bfloat162Li32ELi4ELi6ELb0EEvPKT_PKfPKiPfiiiiiiiiiiiiiiii
                                        ; -- End function
	.section	.AMDGPU.csdata,"",@progbits
; Kernel info:
; codeLenInByte = 88
; NumSgprs: 40
; NumVgprs: 41
; NumAgprs: 0
; TotalNumVgprs: 41
; ScratchSize: 16
; MemoryBound: 0
; FloatMode: 240
; IeeeMode: 1
; LDSByteSize: 0 bytes/workgroup (compile time only)
; SGPRBlocks: 4
; VGPRBlocks: 5
; NumSGPRsForWavesPerEU: 40
; NumVGPRsForWavesPerEU: 41
; AccumOffset: 44
; Occupancy: 8
; WaveLimiterHint : 1
; COMPUTE_PGM_RSRC2:SCRATCH_EN: 1
; COMPUTE_PGM_RSRC2:USER_SGPR: 8
; COMPUTE_PGM_RSRC2:TRAP_HANDLER: 0
; COMPUTE_PGM_RSRC2:TGID_X_EN: 1
; COMPUTE_PGM_RSRC2:TGID_Y_EN: 0
; COMPUTE_PGM_RSRC2:TGID_Z_EN: 0
; COMPUTE_PGM_RSRC2:TIDIG_COMP_CNT: 0
; COMPUTE_PGM_RSRC3_GFX90A:ACCUM_OFFSET: 10
; COMPUTE_PGM_RSRC3_GFX90A:TG_SPLIT: 0
	.section	.text._ZL13mul_mat_f_idsI15__hip_bfloat162Li32ELi4ELi7EEvPKT_PKfPKiS7_S7_Pfiiiiiiiiiiiiii15HIP_vector_typeIjLj3EESA_,"axG",@progbits,_ZL13mul_mat_f_idsI15__hip_bfloat162Li32ELi4ELi7EEvPKT_PKfPKiS7_S7_Pfiiiiiiiiiiiiii15HIP_vector_typeIjLj3EESA_,comdat
	.globl	_ZL13mul_mat_f_idsI15__hip_bfloat162Li32ELi4ELi7EEvPKT_PKfPKiS7_S7_Pfiiiiiiiiiiiiii15HIP_vector_typeIjLj3EESA_ ; -- Begin function _ZL13mul_mat_f_idsI15__hip_bfloat162Li32ELi4ELi7EEvPKT_PKfPKiS7_S7_Pfiiiiiiiiiiiiii15HIP_vector_typeIjLj3EESA_
	.p2align	8
	.type	_ZL13mul_mat_f_idsI15__hip_bfloat162Li32ELi4ELi7EEvPKT_PKfPKiS7_S7_Pfiiiiiiiiiiiiii15HIP_vector_typeIjLj3EESA_,@function
_ZL13mul_mat_f_idsI15__hip_bfloat162Li32ELi4ELi7EEvPKT_PKfPKiS7_S7_Pfiiiiiiiiiiiiii15HIP_vector_typeIjLj3EESA_: ; @_ZL13mul_mat_f_idsI15__hip_bfloat162Li32ELi4ELi7EEvPKT_PKfPKiS7_S7_Pfiiiiiiiiiiiiii15HIP_vector_typeIjLj3EESA_
; %bb.0:
	s_add_u32 flat_scratch_lo, s6, s9
	s_addc_u32 flat_scratch_hi, s7, 0
	s_add_u32 s0, s0, s9
	s_addc_u32 s1, s1, 0
	s_add_u32 s8, s4, 0x80
	s_addc_u32 s9, s5, 0
	s_getpc_b64 s[4:5]
	s_add_u32 s4, s4, __FUNCTION__._ZL13mul_mat_f_idsIfLi32ELi4ELi1EEvPKT_PKfPKiS6_S6_Pfiiiiiiiiiiiiii15HIP_vector_typeIjLj3EES9_@rel32@lo+4
	s_addc_u32 s5, s5, __FUNCTION__._ZL13mul_mat_f_idsIfLi32ELi4ELi1EEvPKT_PKfPKiS6_S6_Pfiiiiiiiiiiiiii15HIP_vector_typeIjLj3EES9_@rel32@hi+12
	v_mov_b32_e32 v0, 0x13b
	v_mov_b32_e32 v1, s4
	;; [unrolled: 1-line block ×3, first 2 shown]
	s_mov_b32 s32, 0
	s_getpc_b64 s[6:7]
	s_add_u32 s6, s6, _ZL14no_device_codePKciS0_iS0_@rel32@lo+4
	s_addc_u32 s7, s7, _ZL14no_device_codePKciS0_iS0_@rel32@hi+12
	s_swappc_b64 s[30:31], s[6:7]
	.section	.rodata,"a",@progbits
	.p2align	6, 0x0
	.amdhsa_kernel _ZL13mul_mat_f_idsI15__hip_bfloat162Li32ELi4ELi7EEvPKT_PKfPKiS7_S7_Pfiiiiiiiiiiiiii15HIP_vector_typeIjLj3EESA_
		.amdhsa_group_segment_fixed_size 0
		.amdhsa_private_segment_fixed_size 16
		.amdhsa_kernarg_size 384
		.amdhsa_user_sgpr_count 8
		.amdhsa_user_sgpr_private_segment_buffer 1
		.amdhsa_user_sgpr_dispatch_ptr 0
		.amdhsa_user_sgpr_queue_ptr 0
		.amdhsa_user_sgpr_kernarg_segment_ptr 1
		.amdhsa_user_sgpr_dispatch_id 0
		.amdhsa_user_sgpr_flat_scratch_init 1
		.amdhsa_user_sgpr_kernarg_preload_length 0
		.amdhsa_user_sgpr_kernarg_preload_offset 0
		.amdhsa_user_sgpr_private_segment_size 0
		.amdhsa_uses_dynamic_stack 0
		.amdhsa_system_sgpr_private_segment_wavefront_offset 1
		.amdhsa_system_sgpr_workgroup_id_x 1
		.amdhsa_system_sgpr_workgroup_id_y 0
		.amdhsa_system_sgpr_workgroup_id_z 0
		.amdhsa_system_sgpr_workgroup_info 0
		.amdhsa_system_vgpr_workitem_id 0
		.amdhsa_next_free_vgpr 41
		.amdhsa_next_free_sgpr 34
		.amdhsa_accum_offset 44
		.amdhsa_reserve_vcc 1
		.amdhsa_reserve_flat_scratch 1
		.amdhsa_float_round_mode_32 0
		.amdhsa_float_round_mode_16_64 0
		.amdhsa_float_denorm_mode_32 3
		.amdhsa_float_denorm_mode_16_64 3
		.amdhsa_dx10_clamp 1
		.amdhsa_ieee_mode 1
		.amdhsa_fp16_overflow 0
		.amdhsa_tg_split 0
		.amdhsa_exception_fp_ieee_invalid_op 0
		.amdhsa_exception_fp_denorm_src 0
		.amdhsa_exception_fp_ieee_div_zero 0
		.amdhsa_exception_fp_ieee_overflow 0
		.amdhsa_exception_fp_ieee_underflow 0
		.amdhsa_exception_fp_ieee_inexact 0
		.amdhsa_exception_int_div_zero 0
	.end_amdhsa_kernel
	.section	.text._ZL13mul_mat_f_idsI15__hip_bfloat162Li32ELi4ELi7EEvPKT_PKfPKiS7_S7_Pfiiiiiiiiiiiiii15HIP_vector_typeIjLj3EESA_,"axG",@progbits,_ZL13mul_mat_f_idsI15__hip_bfloat162Li32ELi4ELi7EEvPKT_PKfPKiS7_S7_Pfiiiiiiiiiiiiii15HIP_vector_typeIjLj3EESA_,comdat
.Lfunc_end69:
	.size	_ZL13mul_mat_f_idsI15__hip_bfloat162Li32ELi4ELi7EEvPKT_PKfPKiS7_S7_Pfiiiiiiiiiiiiii15HIP_vector_typeIjLj3EESA_, .Lfunc_end69-_ZL13mul_mat_f_idsI15__hip_bfloat162Li32ELi4ELi7EEvPKT_PKfPKiS7_S7_Pfiiiiiiiiiiiiii15HIP_vector_typeIjLj3EESA_
                                        ; -- End function
	.section	.AMDGPU.csdata,"",@progbits
; Kernel info:
; codeLenInByte = 92
; NumSgprs: 40
; NumVgprs: 41
; NumAgprs: 0
; TotalNumVgprs: 41
; ScratchSize: 16
; MemoryBound: 0
; FloatMode: 240
; IeeeMode: 1
; LDSByteSize: 0 bytes/workgroup (compile time only)
; SGPRBlocks: 4
; VGPRBlocks: 5
; NumSGPRsForWavesPerEU: 40
; NumVGPRsForWavesPerEU: 41
; AccumOffset: 44
; Occupancy: 7
; WaveLimiterHint : 1
; COMPUTE_PGM_RSRC2:SCRATCH_EN: 1
; COMPUTE_PGM_RSRC2:USER_SGPR: 8
; COMPUTE_PGM_RSRC2:TRAP_HANDLER: 0
; COMPUTE_PGM_RSRC2:TGID_X_EN: 1
; COMPUTE_PGM_RSRC2:TGID_Y_EN: 0
; COMPUTE_PGM_RSRC2:TGID_Z_EN: 0
; COMPUTE_PGM_RSRC2:TIDIG_COMP_CNT: 0
; COMPUTE_PGM_RSRC3_GFX90A:ACCUM_OFFSET: 10
; COMPUTE_PGM_RSRC3_GFX90A:TG_SPLIT: 0
	.section	.text._ZL9mul_mat_fI15__hip_bfloat162Li32ELi4ELi7ELb1EEvPKT_PKfPKiPfiiiiiiiiiiiiiiii,"axG",@progbits,_ZL9mul_mat_fI15__hip_bfloat162Li32ELi4ELi7ELb1EEvPKT_PKfPKiPfiiiiiiiiiiiiiiii,comdat
	.globl	_ZL9mul_mat_fI15__hip_bfloat162Li32ELi4ELi7ELb1EEvPKT_PKfPKiPfiiiiiiiiiiiiiiii ; -- Begin function _ZL9mul_mat_fI15__hip_bfloat162Li32ELi4ELi7ELb1EEvPKT_PKfPKiPfiiiiiiiiiiiiiiii
	.p2align	8
	.type	_ZL9mul_mat_fI15__hip_bfloat162Li32ELi4ELi7ELb1EEvPKT_PKfPKiPfiiiiiiiiiiiiiiii,@function
_ZL9mul_mat_fI15__hip_bfloat162Li32ELi4ELi7ELb1EEvPKT_PKfPKiPfiiiiiiiiiiiiiiii: ; @_ZL9mul_mat_fI15__hip_bfloat162Li32ELi4ELi7ELb1EEvPKT_PKfPKiPfiiiiiiiiiiiiiiii
; %bb.0:
	s_add_u32 flat_scratch_lo, s6, s9
	s_addc_u32 flat_scratch_hi, s7, 0
	s_add_u32 s0, s0, s9
	s_addc_u32 s1, s1, 0
	s_add_u32 s8, s4, 0x60
	s_addc_u32 s9, s5, 0
	s_getpc_b64 s[4:5]
	s_add_u32 s4, s4, __FUNCTION__._ZL9mul_mat_fIfLi32ELi4ELi1ELb1EEvPKT_PKfPKiPfiiiiiiiiiiiiiiii@rel32@lo+4
	s_addc_u32 s5, s5, __FUNCTION__._ZL9mul_mat_fIfLi32ELi4ELi1ELb1EEvPKT_PKfPKiPfiiiiiiiiiiiiiiii@rel32@hi+12
	v_mov_b32_e32 v0, 64
	v_mov_b32_e32 v1, s4
	;; [unrolled: 1-line block ×3, first 2 shown]
	s_mov_b32 s32, 0
	s_getpc_b64 s[6:7]
	s_add_u32 s6, s6, _ZL14no_device_codePKciS0_iS0_@rel32@lo+4
	s_addc_u32 s7, s7, _ZL14no_device_codePKciS0_iS0_@rel32@hi+12
	s_swappc_b64 s[30:31], s[6:7]
	.section	.rodata,"a",@progbits
	.p2align	6, 0x0
	.amdhsa_kernel _ZL9mul_mat_fI15__hip_bfloat162Li32ELi4ELi7ELb1EEvPKT_PKfPKiPfiiiiiiiiiiiiiiii
		.amdhsa_group_segment_fixed_size 0
		.amdhsa_private_segment_fixed_size 16
		.amdhsa_kernarg_size 352
		.amdhsa_user_sgpr_count 8
		.amdhsa_user_sgpr_private_segment_buffer 1
		.amdhsa_user_sgpr_dispatch_ptr 0
		.amdhsa_user_sgpr_queue_ptr 0
		.amdhsa_user_sgpr_kernarg_segment_ptr 1
		.amdhsa_user_sgpr_dispatch_id 0
		.amdhsa_user_sgpr_flat_scratch_init 1
		.amdhsa_user_sgpr_kernarg_preload_length 0
		.amdhsa_user_sgpr_kernarg_preload_offset 0
		.amdhsa_user_sgpr_private_segment_size 0
		.amdhsa_uses_dynamic_stack 0
		.amdhsa_system_sgpr_private_segment_wavefront_offset 1
		.amdhsa_system_sgpr_workgroup_id_x 1
		.amdhsa_system_sgpr_workgroup_id_y 0
		.amdhsa_system_sgpr_workgroup_id_z 0
		.amdhsa_system_sgpr_workgroup_info 0
		.amdhsa_system_vgpr_workitem_id 0
		.amdhsa_next_free_vgpr 41
		.amdhsa_next_free_sgpr 34
		.amdhsa_accum_offset 44
		.amdhsa_reserve_vcc 1
		.amdhsa_reserve_flat_scratch 1
		.amdhsa_float_round_mode_32 0
		.amdhsa_float_round_mode_16_64 0
		.amdhsa_float_denorm_mode_32 3
		.amdhsa_float_denorm_mode_16_64 3
		.amdhsa_dx10_clamp 1
		.amdhsa_ieee_mode 1
		.amdhsa_fp16_overflow 0
		.amdhsa_tg_split 0
		.amdhsa_exception_fp_ieee_invalid_op 0
		.amdhsa_exception_fp_denorm_src 0
		.amdhsa_exception_fp_ieee_div_zero 0
		.amdhsa_exception_fp_ieee_overflow 0
		.amdhsa_exception_fp_ieee_underflow 0
		.amdhsa_exception_fp_ieee_inexact 0
		.amdhsa_exception_int_div_zero 0
	.end_amdhsa_kernel
	.section	.text._ZL9mul_mat_fI15__hip_bfloat162Li32ELi4ELi7ELb1EEvPKT_PKfPKiPfiiiiiiiiiiiiiiii,"axG",@progbits,_ZL9mul_mat_fI15__hip_bfloat162Li32ELi4ELi7ELb1EEvPKT_PKfPKiPfiiiiiiiiiiiiiiii,comdat
.Lfunc_end70:
	.size	_ZL9mul_mat_fI15__hip_bfloat162Li32ELi4ELi7ELb1EEvPKT_PKfPKiPfiiiiiiiiiiiiiiii, .Lfunc_end70-_ZL9mul_mat_fI15__hip_bfloat162Li32ELi4ELi7ELb1EEvPKT_PKfPKiPfiiiiiiiiiiiiiiii
                                        ; -- End function
	.section	.AMDGPU.csdata,"",@progbits
; Kernel info:
; codeLenInByte = 88
; NumSgprs: 40
; NumVgprs: 41
; NumAgprs: 0
; TotalNumVgprs: 41
; ScratchSize: 16
; MemoryBound: 0
; FloatMode: 240
; IeeeMode: 1
; LDSByteSize: 0 bytes/workgroup (compile time only)
; SGPRBlocks: 4
; VGPRBlocks: 5
; NumSGPRsForWavesPerEU: 40
; NumVGPRsForWavesPerEU: 41
; AccumOffset: 44
; Occupancy: 7
; WaveLimiterHint : 1
; COMPUTE_PGM_RSRC2:SCRATCH_EN: 1
; COMPUTE_PGM_RSRC2:USER_SGPR: 8
; COMPUTE_PGM_RSRC2:TRAP_HANDLER: 0
; COMPUTE_PGM_RSRC2:TGID_X_EN: 1
; COMPUTE_PGM_RSRC2:TGID_Y_EN: 0
; COMPUTE_PGM_RSRC2:TGID_Z_EN: 0
; COMPUTE_PGM_RSRC2:TIDIG_COMP_CNT: 0
; COMPUTE_PGM_RSRC3_GFX90A:ACCUM_OFFSET: 10
; COMPUTE_PGM_RSRC3_GFX90A:TG_SPLIT: 0
	.section	.text._ZL9mul_mat_fI15__hip_bfloat162Li32ELi4ELi7ELb0EEvPKT_PKfPKiPfiiiiiiiiiiiiiiii,"axG",@progbits,_ZL9mul_mat_fI15__hip_bfloat162Li32ELi4ELi7ELb0EEvPKT_PKfPKiPfiiiiiiiiiiiiiiii,comdat
	.globl	_ZL9mul_mat_fI15__hip_bfloat162Li32ELi4ELi7ELb0EEvPKT_PKfPKiPfiiiiiiiiiiiiiiii ; -- Begin function _ZL9mul_mat_fI15__hip_bfloat162Li32ELi4ELi7ELb0EEvPKT_PKfPKiPfiiiiiiiiiiiiiiii
	.p2align	8
	.type	_ZL9mul_mat_fI15__hip_bfloat162Li32ELi4ELi7ELb0EEvPKT_PKfPKiPfiiiiiiiiiiiiiiii,@function
_ZL9mul_mat_fI15__hip_bfloat162Li32ELi4ELi7ELb0EEvPKT_PKfPKiPfiiiiiiiiiiiiiiii: ; @_ZL9mul_mat_fI15__hip_bfloat162Li32ELi4ELi7ELb0EEvPKT_PKfPKiPfiiiiiiiiiiiiiiii
; %bb.0:
	s_add_u32 flat_scratch_lo, s6, s9
	s_addc_u32 flat_scratch_hi, s7, 0
	s_add_u32 s0, s0, s9
	s_addc_u32 s1, s1, 0
	s_add_u32 s8, s4, 0x60
	s_addc_u32 s9, s5, 0
	s_getpc_b64 s[4:5]
	s_add_u32 s4, s4, __FUNCTION__._ZL9mul_mat_fIfLi32ELi4ELi1ELb1EEvPKT_PKfPKiPfiiiiiiiiiiiiiiii@rel32@lo+4
	s_addc_u32 s5, s5, __FUNCTION__._ZL9mul_mat_fIfLi32ELi4ELi1ELb1EEvPKT_PKfPKiPfiiiiiiiiiiiiiiii@rel32@hi+12
	v_mov_b32_e32 v0, 64
	v_mov_b32_e32 v1, s4
	;; [unrolled: 1-line block ×3, first 2 shown]
	s_mov_b32 s32, 0
	s_getpc_b64 s[6:7]
	s_add_u32 s6, s6, _ZL14no_device_codePKciS0_iS0_@rel32@lo+4
	s_addc_u32 s7, s7, _ZL14no_device_codePKciS0_iS0_@rel32@hi+12
	s_swappc_b64 s[30:31], s[6:7]
	.section	.rodata,"a",@progbits
	.p2align	6, 0x0
	.amdhsa_kernel _ZL9mul_mat_fI15__hip_bfloat162Li32ELi4ELi7ELb0EEvPKT_PKfPKiPfiiiiiiiiiiiiiiii
		.amdhsa_group_segment_fixed_size 0
		.amdhsa_private_segment_fixed_size 16
		.amdhsa_kernarg_size 352
		.amdhsa_user_sgpr_count 8
		.amdhsa_user_sgpr_private_segment_buffer 1
		.amdhsa_user_sgpr_dispatch_ptr 0
		.amdhsa_user_sgpr_queue_ptr 0
		.amdhsa_user_sgpr_kernarg_segment_ptr 1
		.amdhsa_user_sgpr_dispatch_id 0
		.amdhsa_user_sgpr_flat_scratch_init 1
		.amdhsa_user_sgpr_kernarg_preload_length 0
		.amdhsa_user_sgpr_kernarg_preload_offset 0
		.amdhsa_user_sgpr_private_segment_size 0
		.amdhsa_uses_dynamic_stack 0
		.amdhsa_system_sgpr_private_segment_wavefront_offset 1
		.amdhsa_system_sgpr_workgroup_id_x 1
		.amdhsa_system_sgpr_workgroup_id_y 0
		.amdhsa_system_sgpr_workgroup_id_z 0
		.amdhsa_system_sgpr_workgroup_info 0
		.amdhsa_system_vgpr_workitem_id 0
		.amdhsa_next_free_vgpr 41
		.amdhsa_next_free_sgpr 34
		.amdhsa_accum_offset 44
		.amdhsa_reserve_vcc 1
		.amdhsa_reserve_flat_scratch 1
		.amdhsa_float_round_mode_32 0
		.amdhsa_float_round_mode_16_64 0
		.amdhsa_float_denorm_mode_32 3
		.amdhsa_float_denorm_mode_16_64 3
		.amdhsa_dx10_clamp 1
		.amdhsa_ieee_mode 1
		.amdhsa_fp16_overflow 0
		.amdhsa_tg_split 0
		.amdhsa_exception_fp_ieee_invalid_op 0
		.amdhsa_exception_fp_denorm_src 0
		.amdhsa_exception_fp_ieee_div_zero 0
		.amdhsa_exception_fp_ieee_overflow 0
		.amdhsa_exception_fp_ieee_underflow 0
		.amdhsa_exception_fp_ieee_inexact 0
		.amdhsa_exception_int_div_zero 0
	.end_amdhsa_kernel
	.section	.text._ZL9mul_mat_fI15__hip_bfloat162Li32ELi4ELi7ELb0EEvPKT_PKfPKiPfiiiiiiiiiiiiiiii,"axG",@progbits,_ZL9mul_mat_fI15__hip_bfloat162Li32ELi4ELi7ELb0EEvPKT_PKfPKiPfiiiiiiiiiiiiiiii,comdat
.Lfunc_end71:
	.size	_ZL9mul_mat_fI15__hip_bfloat162Li32ELi4ELi7ELb0EEvPKT_PKfPKiPfiiiiiiiiiiiiiiii, .Lfunc_end71-_ZL9mul_mat_fI15__hip_bfloat162Li32ELi4ELi7ELb0EEvPKT_PKfPKiPfiiiiiiiiiiiiiiii
                                        ; -- End function
	.section	.AMDGPU.csdata,"",@progbits
; Kernel info:
; codeLenInByte = 88
; NumSgprs: 40
; NumVgprs: 41
; NumAgprs: 0
; TotalNumVgprs: 41
; ScratchSize: 16
; MemoryBound: 0
; FloatMode: 240
; IeeeMode: 1
; LDSByteSize: 0 bytes/workgroup (compile time only)
; SGPRBlocks: 4
; VGPRBlocks: 5
; NumSGPRsForWavesPerEU: 40
; NumVGPRsForWavesPerEU: 41
; AccumOffset: 44
; Occupancy: 7
; WaveLimiterHint : 1
; COMPUTE_PGM_RSRC2:SCRATCH_EN: 1
; COMPUTE_PGM_RSRC2:USER_SGPR: 8
; COMPUTE_PGM_RSRC2:TRAP_HANDLER: 0
; COMPUTE_PGM_RSRC2:TGID_X_EN: 1
; COMPUTE_PGM_RSRC2:TGID_Y_EN: 0
; COMPUTE_PGM_RSRC2:TGID_Z_EN: 0
; COMPUTE_PGM_RSRC2:TIDIG_COMP_CNT: 0
; COMPUTE_PGM_RSRC3_GFX90A:ACCUM_OFFSET: 10
; COMPUTE_PGM_RSRC3_GFX90A:TG_SPLIT: 0
	.section	.text._ZL13mul_mat_f_idsI15__hip_bfloat162Li32ELi4ELi8EEvPKT_PKfPKiS7_S7_Pfiiiiiiiiiiiiii15HIP_vector_typeIjLj3EESA_,"axG",@progbits,_ZL13mul_mat_f_idsI15__hip_bfloat162Li32ELi4ELi8EEvPKT_PKfPKiS7_S7_Pfiiiiiiiiiiiiii15HIP_vector_typeIjLj3EESA_,comdat
	.globl	_ZL13mul_mat_f_idsI15__hip_bfloat162Li32ELi4ELi8EEvPKT_PKfPKiS7_S7_Pfiiiiiiiiiiiiii15HIP_vector_typeIjLj3EESA_ ; -- Begin function _ZL13mul_mat_f_idsI15__hip_bfloat162Li32ELi4ELi8EEvPKT_PKfPKiS7_S7_Pfiiiiiiiiiiiiii15HIP_vector_typeIjLj3EESA_
	.p2align	8
	.type	_ZL13mul_mat_f_idsI15__hip_bfloat162Li32ELi4ELi8EEvPKT_PKfPKiS7_S7_Pfiiiiiiiiiiiiii15HIP_vector_typeIjLj3EESA_,@function
_ZL13mul_mat_f_idsI15__hip_bfloat162Li32ELi4ELi8EEvPKT_PKfPKiS7_S7_Pfiiiiiiiiiiiiii15HIP_vector_typeIjLj3EESA_: ; @_ZL13mul_mat_f_idsI15__hip_bfloat162Li32ELi4ELi8EEvPKT_PKfPKiS7_S7_Pfiiiiiiiiiiiiii15HIP_vector_typeIjLj3EESA_
; %bb.0:
	s_add_u32 flat_scratch_lo, s6, s9
	s_addc_u32 flat_scratch_hi, s7, 0
	s_add_u32 s0, s0, s9
	s_addc_u32 s1, s1, 0
	s_add_u32 s8, s4, 0x80
	s_addc_u32 s9, s5, 0
	s_getpc_b64 s[4:5]
	s_add_u32 s4, s4, __FUNCTION__._ZL13mul_mat_f_idsIfLi32ELi4ELi1EEvPKT_PKfPKiS6_S6_Pfiiiiiiiiiiiiii15HIP_vector_typeIjLj3EES9_@rel32@lo+4
	s_addc_u32 s5, s5, __FUNCTION__._ZL13mul_mat_f_idsIfLi32ELi4ELi1EEvPKT_PKfPKiS6_S6_Pfiiiiiiiiiiiiii15HIP_vector_typeIjLj3EES9_@rel32@hi+12
	v_mov_b32_e32 v0, 0x13b
	v_mov_b32_e32 v1, s4
	v_mov_b32_e32 v2, s5
	s_mov_b32 s32, 0
	s_getpc_b64 s[6:7]
	s_add_u32 s6, s6, _ZL14no_device_codePKciS0_iS0_@rel32@lo+4
	s_addc_u32 s7, s7, _ZL14no_device_codePKciS0_iS0_@rel32@hi+12
	s_swappc_b64 s[30:31], s[6:7]
	.section	.rodata,"a",@progbits
	.p2align	6, 0x0
	.amdhsa_kernel _ZL13mul_mat_f_idsI15__hip_bfloat162Li32ELi4ELi8EEvPKT_PKfPKiS7_S7_Pfiiiiiiiiiiiiii15HIP_vector_typeIjLj3EESA_
		.amdhsa_group_segment_fixed_size 0
		.amdhsa_private_segment_fixed_size 16
		.amdhsa_kernarg_size 384
		.amdhsa_user_sgpr_count 8
		.amdhsa_user_sgpr_private_segment_buffer 1
		.amdhsa_user_sgpr_dispatch_ptr 0
		.amdhsa_user_sgpr_queue_ptr 0
		.amdhsa_user_sgpr_kernarg_segment_ptr 1
		.amdhsa_user_sgpr_dispatch_id 0
		.amdhsa_user_sgpr_flat_scratch_init 1
		.amdhsa_user_sgpr_kernarg_preload_length 0
		.amdhsa_user_sgpr_kernarg_preload_offset 0
		.amdhsa_user_sgpr_private_segment_size 0
		.amdhsa_uses_dynamic_stack 0
		.amdhsa_system_sgpr_private_segment_wavefront_offset 1
		.amdhsa_system_sgpr_workgroup_id_x 1
		.amdhsa_system_sgpr_workgroup_id_y 0
		.amdhsa_system_sgpr_workgroup_id_z 0
		.amdhsa_system_sgpr_workgroup_info 0
		.amdhsa_system_vgpr_workitem_id 0
		.amdhsa_next_free_vgpr 41
		.amdhsa_next_free_sgpr 34
		.amdhsa_accum_offset 44
		.amdhsa_reserve_vcc 1
		.amdhsa_reserve_flat_scratch 1
		.amdhsa_float_round_mode_32 0
		.amdhsa_float_round_mode_16_64 0
		.amdhsa_float_denorm_mode_32 3
		.amdhsa_float_denorm_mode_16_64 3
		.amdhsa_dx10_clamp 1
		.amdhsa_ieee_mode 1
		.amdhsa_fp16_overflow 0
		.amdhsa_tg_split 0
		.amdhsa_exception_fp_ieee_invalid_op 0
		.amdhsa_exception_fp_denorm_src 0
		.amdhsa_exception_fp_ieee_div_zero 0
		.amdhsa_exception_fp_ieee_overflow 0
		.amdhsa_exception_fp_ieee_underflow 0
		.amdhsa_exception_fp_ieee_inexact 0
		.amdhsa_exception_int_div_zero 0
	.end_amdhsa_kernel
	.section	.text._ZL13mul_mat_f_idsI15__hip_bfloat162Li32ELi4ELi8EEvPKT_PKfPKiS7_S7_Pfiiiiiiiiiiiiii15HIP_vector_typeIjLj3EESA_,"axG",@progbits,_ZL13mul_mat_f_idsI15__hip_bfloat162Li32ELi4ELi8EEvPKT_PKfPKiS7_S7_Pfiiiiiiiiiiiiii15HIP_vector_typeIjLj3EESA_,comdat
.Lfunc_end72:
	.size	_ZL13mul_mat_f_idsI15__hip_bfloat162Li32ELi4ELi8EEvPKT_PKfPKiS7_S7_Pfiiiiiiiiiiiiii15HIP_vector_typeIjLj3EESA_, .Lfunc_end72-_ZL13mul_mat_f_idsI15__hip_bfloat162Li32ELi4ELi8EEvPKT_PKfPKiS7_S7_Pfiiiiiiiiiiiiii15HIP_vector_typeIjLj3EESA_
                                        ; -- End function
	.section	.AMDGPU.csdata,"",@progbits
; Kernel info:
; codeLenInByte = 92
; NumSgprs: 40
; NumVgprs: 41
; NumAgprs: 0
; TotalNumVgprs: 41
; ScratchSize: 16
; MemoryBound: 0
; FloatMode: 240
; IeeeMode: 1
; LDSByteSize: 0 bytes/workgroup (compile time only)
; SGPRBlocks: 4
; VGPRBlocks: 5
; NumSGPRsForWavesPerEU: 40
; NumVGPRsForWavesPerEU: 41
; AccumOffset: 44
; Occupancy: 8
; WaveLimiterHint : 1
; COMPUTE_PGM_RSRC2:SCRATCH_EN: 1
; COMPUTE_PGM_RSRC2:USER_SGPR: 8
; COMPUTE_PGM_RSRC2:TRAP_HANDLER: 0
; COMPUTE_PGM_RSRC2:TGID_X_EN: 1
; COMPUTE_PGM_RSRC2:TGID_Y_EN: 0
; COMPUTE_PGM_RSRC2:TGID_Z_EN: 0
; COMPUTE_PGM_RSRC2:TIDIG_COMP_CNT: 0
; COMPUTE_PGM_RSRC3_GFX90A:ACCUM_OFFSET: 10
; COMPUTE_PGM_RSRC3_GFX90A:TG_SPLIT: 0
	.section	.text._ZL9mul_mat_fI15__hip_bfloat162Li32ELi4ELi8ELb1EEvPKT_PKfPKiPfiiiiiiiiiiiiiiii,"axG",@progbits,_ZL9mul_mat_fI15__hip_bfloat162Li32ELi4ELi8ELb1EEvPKT_PKfPKiPfiiiiiiiiiiiiiiii,comdat
	.globl	_ZL9mul_mat_fI15__hip_bfloat162Li32ELi4ELi8ELb1EEvPKT_PKfPKiPfiiiiiiiiiiiiiiii ; -- Begin function _ZL9mul_mat_fI15__hip_bfloat162Li32ELi4ELi8ELb1EEvPKT_PKfPKiPfiiiiiiiiiiiiiiii
	.p2align	8
	.type	_ZL9mul_mat_fI15__hip_bfloat162Li32ELi4ELi8ELb1EEvPKT_PKfPKiPfiiiiiiiiiiiiiiii,@function
_ZL9mul_mat_fI15__hip_bfloat162Li32ELi4ELi8ELb1EEvPKT_PKfPKiPfiiiiiiiiiiiiiiii: ; @_ZL9mul_mat_fI15__hip_bfloat162Li32ELi4ELi8ELb1EEvPKT_PKfPKiPfiiiiiiiiiiiiiiii
; %bb.0:
	s_add_u32 flat_scratch_lo, s6, s9
	s_addc_u32 flat_scratch_hi, s7, 0
	s_add_u32 s0, s0, s9
	s_addc_u32 s1, s1, 0
	s_add_u32 s8, s4, 0x60
	s_addc_u32 s9, s5, 0
	s_getpc_b64 s[4:5]
	s_add_u32 s4, s4, __FUNCTION__._ZL9mul_mat_fIfLi32ELi4ELi1ELb1EEvPKT_PKfPKiPfiiiiiiiiiiiiiiii@rel32@lo+4
	s_addc_u32 s5, s5, __FUNCTION__._ZL9mul_mat_fIfLi32ELi4ELi1ELb1EEvPKT_PKfPKiPfiiiiiiiiiiiiiiii@rel32@hi+12
	v_mov_b32_e32 v0, 64
	v_mov_b32_e32 v1, s4
	;; [unrolled: 1-line block ×3, first 2 shown]
	s_mov_b32 s32, 0
	s_getpc_b64 s[6:7]
	s_add_u32 s6, s6, _ZL14no_device_codePKciS0_iS0_@rel32@lo+4
	s_addc_u32 s7, s7, _ZL14no_device_codePKciS0_iS0_@rel32@hi+12
	s_swappc_b64 s[30:31], s[6:7]
	.section	.rodata,"a",@progbits
	.p2align	6, 0x0
	.amdhsa_kernel _ZL9mul_mat_fI15__hip_bfloat162Li32ELi4ELi8ELb1EEvPKT_PKfPKiPfiiiiiiiiiiiiiiii
		.amdhsa_group_segment_fixed_size 0
		.amdhsa_private_segment_fixed_size 16
		.amdhsa_kernarg_size 352
		.amdhsa_user_sgpr_count 8
		.amdhsa_user_sgpr_private_segment_buffer 1
		.amdhsa_user_sgpr_dispatch_ptr 0
		.amdhsa_user_sgpr_queue_ptr 0
		.amdhsa_user_sgpr_kernarg_segment_ptr 1
		.amdhsa_user_sgpr_dispatch_id 0
		.amdhsa_user_sgpr_flat_scratch_init 1
		.amdhsa_user_sgpr_kernarg_preload_length 0
		.amdhsa_user_sgpr_kernarg_preload_offset 0
		.amdhsa_user_sgpr_private_segment_size 0
		.amdhsa_uses_dynamic_stack 0
		.amdhsa_system_sgpr_private_segment_wavefront_offset 1
		.amdhsa_system_sgpr_workgroup_id_x 1
		.amdhsa_system_sgpr_workgroup_id_y 0
		.amdhsa_system_sgpr_workgroup_id_z 0
		.amdhsa_system_sgpr_workgroup_info 0
		.amdhsa_system_vgpr_workitem_id 0
		.amdhsa_next_free_vgpr 41
		.amdhsa_next_free_sgpr 34
		.amdhsa_accum_offset 44
		.amdhsa_reserve_vcc 1
		.amdhsa_reserve_flat_scratch 1
		.amdhsa_float_round_mode_32 0
		.amdhsa_float_round_mode_16_64 0
		.amdhsa_float_denorm_mode_32 3
		.amdhsa_float_denorm_mode_16_64 3
		.amdhsa_dx10_clamp 1
		.amdhsa_ieee_mode 1
		.amdhsa_fp16_overflow 0
		.amdhsa_tg_split 0
		.amdhsa_exception_fp_ieee_invalid_op 0
		.amdhsa_exception_fp_denorm_src 0
		.amdhsa_exception_fp_ieee_div_zero 0
		.amdhsa_exception_fp_ieee_overflow 0
		.amdhsa_exception_fp_ieee_underflow 0
		.amdhsa_exception_fp_ieee_inexact 0
		.amdhsa_exception_int_div_zero 0
	.end_amdhsa_kernel
	.section	.text._ZL9mul_mat_fI15__hip_bfloat162Li32ELi4ELi8ELb1EEvPKT_PKfPKiPfiiiiiiiiiiiiiiii,"axG",@progbits,_ZL9mul_mat_fI15__hip_bfloat162Li32ELi4ELi8ELb1EEvPKT_PKfPKiPfiiiiiiiiiiiiiiii,comdat
.Lfunc_end73:
	.size	_ZL9mul_mat_fI15__hip_bfloat162Li32ELi4ELi8ELb1EEvPKT_PKfPKiPfiiiiiiiiiiiiiiii, .Lfunc_end73-_ZL9mul_mat_fI15__hip_bfloat162Li32ELi4ELi8ELb1EEvPKT_PKfPKiPfiiiiiiiiiiiiiiii
                                        ; -- End function
	.section	.AMDGPU.csdata,"",@progbits
; Kernel info:
; codeLenInByte = 88
; NumSgprs: 40
; NumVgprs: 41
; NumAgprs: 0
; TotalNumVgprs: 41
; ScratchSize: 16
; MemoryBound: 0
; FloatMode: 240
; IeeeMode: 1
; LDSByteSize: 0 bytes/workgroup (compile time only)
; SGPRBlocks: 4
; VGPRBlocks: 5
; NumSGPRsForWavesPerEU: 40
; NumVGPRsForWavesPerEU: 41
; AccumOffset: 44
; Occupancy: 8
; WaveLimiterHint : 1
; COMPUTE_PGM_RSRC2:SCRATCH_EN: 1
; COMPUTE_PGM_RSRC2:USER_SGPR: 8
; COMPUTE_PGM_RSRC2:TRAP_HANDLER: 0
; COMPUTE_PGM_RSRC2:TGID_X_EN: 1
; COMPUTE_PGM_RSRC2:TGID_Y_EN: 0
; COMPUTE_PGM_RSRC2:TGID_Z_EN: 0
; COMPUTE_PGM_RSRC2:TIDIG_COMP_CNT: 0
; COMPUTE_PGM_RSRC3_GFX90A:ACCUM_OFFSET: 10
; COMPUTE_PGM_RSRC3_GFX90A:TG_SPLIT: 0
	.section	.text._ZL9mul_mat_fI15__hip_bfloat162Li32ELi4ELi8ELb0EEvPKT_PKfPKiPfiiiiiiiiiiiiiiii,"axG",@progbits,_ZL9mul_mat_fI15__hip_bfloat162Li32ELi4ELi8ELb0EEvPKT_PKfPKiPfiiiiiiiiiiiiiiii,comdat
	.globl	_ZL9mul_mat_fI15__hip_bfloat162Li32ELi4ELi8ELb0EEvPKT_PKfPKiPfiiiiiiiiiiiiiiii ; -- Begin function _ZL9mul_mat_fI15__hip_bfloat162Li32ELi4ELi8ELb0EEvPKT_PKfPKiPfiiiiiiiiiiiiiiii
	.p2align	8
	.type	_ZL9mul_mat_fI15__hip_bfloat162Li32ELi4ELi8ELb0EEvPKT_PKfPKiPfiiiiiiiiiiiiiiii,@function
_ZL9mul_mat_fI15__hip_bfloat162Li32ELi4ELi8ELb0EEvPKT_PKfPKiPfiiiiiiiiiiiiiiii: ; @_ZL9mul_mat_fI15__hip_bfloat162Li32ELi4ELi8ELb0EEvPKT_PKfPKiPfiiiiiiiiiiiiiiii
; %bb.0:
	s_add_u32 flat_scratch_lo, s6, s9
	s_addc_u32 flat_scratch_hi, s7, 0
	s_add_u32 s0, s0, s9
	s_addc_u32 s1, s1, 0
	s_add_u32 s8, s4, 0x60
	s_addc_u32 s9, s5, 0
	s_getpc_b64 s[4:5]
	s_add_u32 s4, s4, __FUNCTION__._ZL9mul_mat_fIfLi32ELi4ELi1ELb1EEvPKT_PKfPKiPfiiiiiiiiiiiiiiii@rel32@lo+4
	s_addc_u32 s5, s5, __FUNCTION__._ZL9mul_mat_fIfLi32ELi4ELi1ELb1EEvPKT_PKfPKiPfiiiiiiiiiiiiiiii@rel32@hi+12
	v_mov_b32_e32 v0, 64
	v_mov_b32_e32 v1, s4
	;; [unrolled: 1-line block ×3, first 2 shown]
	s_mov_b32 s32, 0
	s_getpc_b64 s[6:7]
	s_add_u32 s6, s6, _ZL14no_device_codePKciS0_iS0_@rel32@lo+4
	s_addc_u32 s7, s7, _ZL14no_device_codePKciS0_iS0_@rel32@hi+12
	s_swappc_b64 s[30:31], s[6:7]
	.section	.rodata,"a",@progbits
	.p2align	6, 0x0
	.amdhsa_kernel _ZL9mul_mat_fI15__hip_bfloat162Li32ELi4ELi8ELb0EEvPKT_PKfPKiPfiiiiiiiiiiiiiiii
		.amdhsa_group_segment_fixed_size 0
		.amdhsa_private_segment_fixed_size 16
		.amdhsa_kernarg_size 352
		.amdhsa_user_sgpr_count 8
		.amdhsa_user_sgpr_private_segment_buffer 1
		.amdhsa_user_sgpr_dispatch_ptr 0
		.amdhsa_user_sgpr_queue_ptr 0
		.amdhsa_user_sgpr_kernarg_segment_ptr 1
		.amdhsa_user_sgpr_dispatch_id 0
		.amdhsa_user_sgpr_flat_scratch_init 1
		.amdhsa_user_sgpr_kernarg_preload_length 0
		.amdhsa_user_sgpr_kernarg_preload_offset 0
		.amdhsa_user_sgpr_private_segment_size 0
		.amdhsa_uses_dynamic_stack 0
		.amdhsa_system_sgpr_private_segment_wavefront_offset 1
		.amdhsa_system_sgpr_workgroup_id_x 1
		.amdhsa_system_sgpr_workgroup_id_y 0
		.amdhsa_system_sgpr_workgroup_id_z 0
		.amdhsa_system_sgpr_workgroup_info 0
		.amdhsa_system_vgpr_workitem_id 0
		.amdhsa_next_free_vgpr 41
		.amdhsa_next_free_sgpr 34
		.amdhsa_accum_offset 44
		.amdhsa_reserve_vcc 1
		.amdhsa_reserve_flat_scratch 1
		.amdhsa_float_round_mode_32 0
		.amdhsa_float_round_mode_16_64 0
		.amdhsa_float_denorm_mode_32 3
		.amdhsa_float_denorm_mode_16_64 3
		.amdhsa_dx10_clamp 1
		.amdhsa_ieee_mode 1
		.amdhsa_fp16_overflow 0
		.amdhsa_tg_split 0
		.amdhsa_exception_fp_ieee_invalid_op 0
		.amdhsa_exception_fp_denorm_src 0
		.amdhsa_exception_fp_ieee_div_zero 0
		.amdhsa_exception_fp_ieee_overflow 0
		.amdhsa_exception_fp_ieee_underflow 0
		.amdhsa_exception_fp_ieee_inexact 0
		.amdhsa_exception_int_div_zero 0
	.end_amdhsa_kernel
	.section	.text._ZL9mul_mat_fI15__hip_bfloat162Li32ELi4ELi8ELb0EEvPKT_PKfPKiPfiiiiiiiiiiiiiiii,"axG",@progbits,_ZL9mul_mat_fI15__hip_bfloat162Li32ELi4ELi8ELb0EEvPKT_PKfPKiPfiiiiiiiiiiiiiiii,comdat
.Lfunc_end74:
	.size	_ZL9mul_mat_fI15__hip_bfloat162Li32ELi4ELi8ELb0EEvPKT_PKfPKiPfiiiiiiiiiiiiiiii, .Lfunc_end74-_ZL9mul_mat_fI15__hip_bfloat162Li32ELi4ELi8ELb0EEvPKT_PKfPKiPfiiiiiiiiiiiiiiii
                                        ; -- End function
	.section	.AMDGPU.csdata,"",@progbits
; Kernel info:
; codeLenInByte = 88
; NumSgprs: 40
; NumVgprs: 41
; NumAgprs: 0
; TotalNumVgprs: 41
; ScratchSize: 16
; MemoryBound: 0
; FloatMode: 240
; IeeeMode: 1
; LDSByteSize: 0 bytes/workgroup (compile time only)
; SGPRBlocks: 4
; VGPRBlocks: 5
; NumSGPRsForWavesPerEU: 40
; NumVGPRsForWavesPerEU: 41
; AccumOffset: 44
; Occupancy: 8
; WaveLimiterHint : 1
; COMPUTE_PGM_RSRC2:SCRATCH_EN: 1
; COMPUTE_PGM_RSRC2:USER_SGPR: 8
; COMPUTE_PGM_RSRC2:TRAP_HANDLER: 0
; COMPUTE_PGM_RSRC2:TGID_X_EN: 1
; COMPUTE_PGM_RSRC2:TGID_Y_EN: 0
; COMPUTE_PGM_RSRC2:TGID_Z_EN: 0
; COMPUTE_PGM_RSRC2:TIDIG_COMP_CNT: 0
; COMPUTE_PGM_RSRC3_GFX90A:ACCUM_OFFSET: 10
; COMPUTE_PGM_RSRC3_GFX90A:TG_SPLIT: 0
	.section	.text._ZL13mul_mat_f_idsIfLi64ELi4ELi1EEvPKT_PKfPKiS6_S6_Pfiiiiiiiiiiiiii15HIP_vector_typeIjLj3EES9_,"axG",@progbits,_ZL13mul_mat_f_idsIfLi64ELi4ELi1EEvPKT_PKfPKiS6_S6_Pfiiiiiiiiiiiiii15HIP_vector_typeIjLj3EES9_,comdat
	.globl	_ZL13mul_mat_f_idsIfLi64ELi4ELi1EEvPKT_PKfPKiS6_S6_Pfiiiiiiiiiiiiii15HIP_vector_typeIjLj3EES9_ ; -- Begin function _ZL13mul_mat_f_idsIfLi64ELi4ELi1EEvPKT_PKfPKiS6_S6_Pfiiiiiiiiiiiiii15HIP_vector_typeIjLj3EES9_
	.p2align	8
	.type	_ZL13mul_mat_f_idsIfLi64ELi4ELi1EEvPKT_PKfPKiS6_S6_Pfiiiiiiiiiiiiii15HIP_vector_typeIjLj3EES9_,@function
_ZL13mul_mat_f_idsIfLi64ELi4ELi1EEvPKT_PKfPKiS6_S6_Pfiiiiiiiiiiiiii15HIP_vector_typeIjLj3EES9_: ; @_ZL13mul_mat_f_idsIfLi64ELi4ELi1EEvPKT_PKfPKiS6_S6_Pfiiiiiiiiiiiiii15HIP_vector_typeIjLj3EES9_
; %bb.0:
	s_load_dwordx2 s[0:1], s[4:5], 0x20
	s_mov_b32 s34, s7
	s_ashr_i32 s35, s7, 31
	s_lshl_b64 s[2:3], s[34:35], 2
	s_waitcnt lgkmcnt(0)
	s_add_u32 s0, s0, s2
	s_addc_u32 s1, s1, s3
	s_load_dwordx2 s[26:27], s[0:1], 0x0
	s_waitcnt lgkmcnt(0)
	s_sub_i32 s33, s27, s26
	s_add_i32 s0, s33, 3
	s_ashr_i32 s1, s0, 31
	s_lshr_b32 s1, s1, 30
	s_add_i32 s0, s0, s1
	s_ashr_i32 s0, s0, 2
	s_cmp_ge_i32 s8, s0
	s_cbranch_scc1 .LBB75_31
; %bb.1:
	v_bfe_u32 v78, v0, 10, 10
	v_lshlrev_b32_e32 v80, 6, v78
	v_and_b32_e32 v79, 0x3ff, v0
	s_load_dwordx4 s[12:15], s[4:5], 0x30
	s_load_dwordx2 s[20:21], s[4:5], 0x40
	s_load_dwordx4 s[0:3], s[4:5], 0x4c
	s_load_dwordx4 s[16:19], s[4:5], 0x68
	s_load_dwordx2 s[24:25], s[4:5], 0x78
	v_or_b32_e32 v82, v80, v79
	s_ashr_i32 s27, s26, 31
	s_waitcnt lgkmcnt(0)
	v_cmp_le_i32_e32 vcc, s12, v82
	v_and_b32_e32 v0, 15, v79
                                        ; implicit-def: $sgpr3
                                        ; implicit-def: $vgpr81
	s_and_saveexec_b64 s[10:11], vcc
	s_xor_b64 s[10:11], exec, s[10:11]
; %bb.2:
	v_mul_u32_u24_e32 v81, 0x108, v0
	s_mov_b32 s3, 0
                                        ; implicit-def: $vgpr82
                                        ; implicit-def: $vgpr0
; %bb.3:
	s_or_saveexec_b64 s[22:23], s[10:11]
	s_load_dwordx2 s[10:11], s[4:5], 0x18
                                        ; implicit-def: $vgpr96 : SGPR spill to VGPR lane
	s_lshl_b32 s7, s6, 6
	s_lshl_b32 s6, s8, 2
	v_accvgpr_write_b32 a0, s3
	v_accvgpr_write_b32 a1, s3
	s_waitcnt lgkmcnt(0)
	v_writelane_b32 v96, s10, 0
	v_writelane_b32 v96, s11, 1
	s_load_dwordx2 s[10:11], s[4:5], 0x28
	v_accvgpr_write_b32 a2, s3
	v_accvgpr_write_b32 a3, s3
	;; [unrolled: 1-line block ×4, first 2 shown]
	s_waitcnt lgkmcnt(0)
	v_writelane_b32 v96, s10, 2
	v_writelane_b32 v96, s11, 3
	v_accvgpr_write_b32 a6, s3
	v_accvgpr_write_b32 a7, s3
	;; [unrolled: 1-line block ×10, first 2 shown]
	v_writelane_b32 v96, s22, 4
	v_writelane_b32 v96, s23, 5
	s_xor_b64 exec, exec, s[22:23]
	s_cbranch_execz .LBB75_19
; %bb.4:
	v_writelane_b32 v96, s24, 6
	v_writelane_b32 v96, s25, 7
	s_load_dwordx4 s[8:11], s[4:5], 0x0
	s_load_dwordx2 s[22:23], s[4:5], 0x10
	s_mul_i32 s4, s34, s0
	s_mul_i32 s24, s7, s15
	s_ashr_i32 s5, s4, 31
	s_ashr_i32 s25, s24, 31
	s_lshl_b64 s[24:25], s[24:25], 2
	s_lshl_b64 s[4:5], s[4:5], 2
	s_add_u32 s3, s4, s24
	s_addc_u32 s24, s5, s25
	s_waitcnt lgkmcnt(0)
	s_add_u32 s0, s3, s8
	s_addc_u32 s25, s24, s9
	s_lshl_b64 s[4:5], s[26:27], 2
	s_add_u32 s28, s22, s4
	s_addc_u32 s29, s23, s5
	s_movk_i32 s4, 0x1080
	s_cmp_lt_i32 s6, s33
	v_writelane_b32 v96, s7, 8
	v_mad_u32_u24 v1, v78, s4, 0
	s_cselect_b64 s[4:5], -1, 0
	s_ashr_i32 s7, s6, 31
	s_lshl_b64 s[22:23], s[6:7], 2
	s_add_u32 s34, s28, s22
	v_mul_u32_u24_e32 v81, 0x108, v0
	v_lshrrev_b32_e32 v0, 1, v79
	s_addc_u32 s35, s29, s23
	s_or_b32 s7, s6, 1
	v_and_b32_e32 v0, 0x1f8, v0
	s_cmp_lt_i32 s7, s33
	v_lshlrev_b32_e32 v2, 2, v79
	v_add3_u32 v84, v1, v81, v0
	s_cselect_b64 s[36:37], -1, 0
	s_or_b32 s7, s6, 2
	v_lshlrev_b32_e32 v0, 8, v78
	v_add_u32_e32 v83, v1, v2
	s_cmp_lt_i32 s7, s33
	v_mov_b32_e32 v1, s24
	v_add_co_u32_e32 v0, vcc, s3, v0
	s_cselect_b64 s[38:39], -1, 0
	s_or_b32 s7, s6, 3
	v_addc_co_u32_e32 v1, vcc, 0, v1, vcc
	s_cmp_lt_i32 s7, s33
	v_add_co_u32_e32 v0, vcc, v0, v2
	s_cselect_b64 s[40:41], -1, 0
	s_ashr_i32 s23, s15, 31
	s_mov_b32 s22, s15
	v_addc_co_u32_e32 v1, vcc, 0, v1, vcc
	s_lshl_b64 s[42:43], s[22:23], 2
	v_mov_b32_e32 v2, s9
	v_add_co_u32_e32 v12, vcc, s8, v0
	v_addc_co_u32_e32 v13, vcc, v2, v1, vcc
	s_lshl_b32 s7, s15, 1
	s_mul_i32 s44, s15, 3
	s_lshl_b32 s45, s15, 2
	s_mul_i32 s46, s15, 5
	s_mul_i32 s47, s15, 6
	;; [unrolled: 1-line block ×3, first 2 shown]
	s_lshl_b32 s49, s15, 3
	s_mul_i32 s50, s15, 9
	s_mul_i32 s51, s15, 10
	;; [unrolled: 1-line block ×7, first 2 shown]
	s_lshl_b32 s57, s15, 4
	s_mul_i32 s58, s15, 17
	s_mul_i32 s59, s15, 18
	;; [unrolled: 1-line block ×15, first 2 shown]
	s_lshl_b32 s73, s15, 5
	s_mul_i32 s74, s15, 33
	s_mul_i32 s75, s15, 34
	;; [unrolled: 1-line block ×15, first 2 shown]
	v_mov_b32_e32 v85, s25
	s_mul_i32 s89, s15, 48
	v_mov_b32_e32 v86, 0
	v_accvgpr_write_b32 a15, 0
	v_accvgpr_write_b32 a14, 0
	;; [unrolled: 1-line block ×16, first 2 shown]
	v_mov_b32_e32 v87, s43
	s_mul_i32 s43, s15, 49
	s_mul_i32 s90, s15, 50
	;; [unrolled: 1-line block ×15, first 2 shown]
	s_mov_b64 s[8:9], 0
	s_branch .LBB75_6
.LBB75_5:                               ;   in Loop: Header=BB75_6 Depth=1
	s_waitcnt vmcnt(0)
	ds_write2_b32 v83, v88, v90 offset1:66
	ds_write2_b32 v83, v89, v91 offset0:132 offset1:198
	v_add_u32_e32 v88, 0x400, v83
	ds_write2_b32 v88, v86, v86 offset0:8 offset1:74
	ds_write2_b32 v88, v86, v86 offset0:140 offset1:206
	v_add_u32_e32 v88, 0x800, v83
	ds_write2_b32 v88, v86, v86 offset0:16 offset1:82
	;; [unrolled: 3-line block ×3, first 2 shown]
	ds_write2_b32 v88, v86, v86 offset0:156 offset1:222
	ds_read2_b64 v[88:91], v84 offset1:4
	v_accvgpr_write_b32 a4, v8
	v_accvgpr_write_b32 a11, v7
	;; [unrolled: 1-line block ×12, first 2 shown]
	s_waitcnt lgkmcnt(0)
	v_mfma_f32_16x16x4f32 a[0:3], v42, v88, a[0:3]
	ds_read2_b64 v[0:3], v84 offset0:8 offset1:12
	v_add_co_u32_e32 v12, vcc, 0x100, v12
	v_add_u32_e32 v82, 64, v82
	v_addc_co_u32_e32 v13, vcc, 0, v13, vcc
	v_cmp_le_i32_e32 vcc, s12, v82
	v_mfma_f32_16x16x4f32 a[4:7], v54, v88, a[4:7]
	s_or_b64 s[8:9], vcc, s[8:9]
	v_mfma_f32_16x16x4f32 a[8:11], v60, v88, a[8:11]
	v_mfma_f32_16x16x4f32 a[12:15], v76, v88, a[12:15]
	v_mfma_f32_16x16x4f32 a[0:3], v43, v89, a[0:3]
	v_mfma_f32_16x16x4f32 a[4:7], v55, v89, a[4:7]
	v_mfma_f32_16x16x4f32 a[8:11], v61, v89, a[8:11]
	v_mfma_f32_16x16x4f32 a[12:15], v77, v89, a[12:15]
	v_mfma_f32_16x16x4f32 a[0:3], v36, v90, a[0:3]
	v_mfma_f32_16x16x4f32 a[4:7], v50, v90, a[4:7]
	v_mfma_f32_16x16x4f32 a[8:11], v58, v90, a[8:11]
	v_mfma_f32_16x16x4f32 a[12:15], v74, v90, a[12:15]
	v_mfma_f32_16x16x4f32 a[0:3], v37, v91, a[0:3]
	v_mfma_f32_16x16x4f32 a[4:7], v51, v91, a[4:7]
	v_mfma_f32_16x16x4f32 a[8:11], v59, v91, a[8:11]
	v_mfma_f32_16x16x4f32 a[12:15], v75, v91, a[12:15]
	s_waitcnt lgkmcnt(0)
	v_mfma_f32_16x16x4f32 a[0:3], v30, v0, a[0:3]
	v_mfma_f32_16x16x4f32 a[4:7], v46, v0, a[4:7]
	;; [unrolled: 1-line block ×16, first 2 shown]
	ds_read2_b64 v[0:3], v84 offset0:16 offset1:20
	s_waitcnt lgkmcnt(0)
	v_mfma_f32_16x16x4f32 a[0:3], v22, v0, a[0:3]
	v_mfma_f32_16x16x4f32 a[4:7], v34, v0, a[4:7]
	;; [unrolled: 1-line block ×16, first 2 shown]
	ds_read2_b64 v[0:3], v84 offset0:24 offset1:28
	s_waitcnt lgkmcnt(0)
	v_mfma_f32_16x16x4f32 a[0:3], v16, v0, a[0:3]
	v_mfma_f32_16x16x4f32 a[4:7], v24, v0, a[4:7]
	;; [unrolled: 1-line block ×16, first 2 shown]
	s_andn2_b64 exec, exec, s[8:9]
	s_cbranch_execz .LBB75_18
.LBB75_6:                               ; =>This Inner Loop Header: Depth=1
	v_add_co_u32_e32 v0, vcc, s42, v12
	v_addc_co_u32_e32 v1, vcc, v13, v87, vcc
	global_load_dword v18, v[12:13], off
	global_load_dword v19, v[0:1], off
	v_add_u32_e32 v0, s7, v82
	v_ashrrev_i32_e32 v1, 31, v0
	v_lshlrev_b64 v[0:1], 2, v[0:1]
	v_add_u32_e32 v2, s44, v82
	v_add_co_u32_e32 v0, vcc, s0, v0
	v_ashrrev_i32_e32 v3, 31, v2
	v_addc_co_u32_e32 v1, vcc, v85, v1, vcc
	v_lshlrev_b64 v[2:3], 2, v[2:3]
	v_add_u32_e32 v4, s45, v82
	v_add_co_u32_e32 v2, vcc, s0, v2
	v_ashrrev_i32_e32 v5, 31, v4
	v_addc_co_u32_e32 v3, vcc, v85, v3, vcc
	;; [unrolled: 5-line block ×5, first 2 shown]
	v_lshlrev_b64 v[10:11], 2, v[10:11]
	v_add_co_u32_e32 v10, vcc, s0, v10
	v_addc_co_u32_e32 v11, vcc, v85, v11, vcc
	global_load_dword v20, v[0:1], off
	global_load_dword v21, v[2:3], off
	;; [unrolled: 1-line block ×6, first 2 shown]
	v_add_u32_e32 v14, s49, v82
	v_ashrrev_i32_e32 v15, 31, v14
	v_add_u32_e32 v16, s50, v82
	v_lshlrev_b64 v[14:15], 2, v[14:15]
	v_ashrrev_i32_e32 v17, 31, v16
	v_add_co_u32_e32 v14, vcc, s0, v14
	v_lshlrev_b64 v[16:17], 2, v[16:17]
	v_addc_co_u32_e32 v15, vcc, v85, v15, vcc
	v_add_co_u32_e32 v16, vcc, s0, v16
	v_addc_co_u32_e32 v17, vcc, v85, v17, vcc
	v_add_u32_e32 v26, s56, v82
	v_ashrrev_i32_e32 v27, 31, v26
	v_lshlrev_b64 v[26:27], 2, v[26:27]
	v_add_u32_e32 v28, s57, v82
	v_ashrrev_i32_e32 v29, 31, v28
	v_lshlrev_b64 v[28:29], 2, v[28:29]
	;; [unrolled: 3-line block ×6, first 2 shown]
	s_waitcnt vmcnt(7)
	ds_write_b32 v83, v18
	s_waitcnt vmcnt(6)
	ds_write_b32 v83, v19 offset:264
	global_load_dword v14, v[14:15], off
	s_nop 0
	global_load_dword v15, v[16:17], off
	v_add_u32_e32 v16, s51, v82
	v_ashrrev_i32_e32 v17, 31, v16
	v_lshlrev_b64 v[16:17], 2, v[16:17]
	v_add_u32_e32 v18, s52, v82
	v_add_co_u32_e32 v16, vcc, s0, v16
	v_ashrrev_i32_e32 v19, 31, v18
	v_addc_co_u32_e32 v17, vcc, v85, v17, vcc
	v_lshlrev_b64 v[18:19], 2, v[18:19]
	s_waitcnt vmcnt(7)
	ds_write_b32 v83, v20 offset:528
	s_waitcnt vmcnt(6)
	ds_write_b32 v83, v21 offset:792
	;; [unrolled: 2-line block ×6, first 2 shown]
	v_add_u32_e32 v20, s53, v82
	v_add_co_u32_e32 v18, vcc, s0, v18
	v_ashrrev_i32_e32 v21, 31, v20
	v_addc_co_u32_e32 v19, vcc, v85, v19, vcc
	v_lshlrev_b64 v[20:21], 2, v[20:21]
	v_add_u32_e32 v22, s54, v82
	v_add_co_u32_e32 v20, vcc, s0, v20
	v_ashrrev_i32_e32 v23, 31, v22
	v_addc_co_u32_e32 v21, vcc, v85, v21, vcc
	v_lshlrev_b64 v[22:23], 2, v[22:23]
	;; [unrolled: 5-line block ×3, first 2 shown]
	v_add_co_u32_e32 v24, vcc, s0, v24
	v_addc_co_u32_e32 v25, vcc, v85, v25, vcc
	v_add_co_u32_e32 v26, vcc, s0, v26
	v_addc_co_u32_e32 v27, vcc, v85, v27, vcc
	v_add_co_u32_e32 v28, vcc, s0, v28
	v_addc_co_u32_e32 v29, vcc, v85, v29, vcc
	v_add_co_u32_e32 v30, vcc, s0, v30
	v_addc_co_u32_e32 v31, vcc, v85, v31, vcc
	global_load_dword v16, v[16:17], off
	s_nop 0
	global_load_dword v17, v[18:19], off
	s_nop 0
	global_load_dword v18, v[20:21], off
	global_load_dword v19, v[22:23], off
	s_nop 0
	global_load_dword v22, v[24:25], off
	global_load_dword v23, v[26:27], off
	;; [unrolled: 1-line block ×4, first 2 shown]
	v_add_u32_e32 v24, s59, v82
	v_ashrrev_i32_e32 v25, 31, v24
	v_lshlrev_b64 v[24:25], 2, v[24:25]
	v_add_u32_e32 v26, s60, v82
	v_add_co_u32_e32 v24, vcc, s0, v24
	v_ashrrev_i32_e32 v27, 31, v26
	v_addc_co_u32_e32 v25, vcc, v85, v25, vcc
	v_lshlrev_b64 v[26:27], 2, v[26:27]
	v_add_u32_e32 v28, s61, v82
	v_add_co_u32_e32 v26, vcc, s0, v26
	v_ashrrev_i32_e32 v29, 31, v28
	v_addc_co_u32_e32 v27, vcc, v85, v27, vcc
	;; [unrolled: 5-line block ×3, first 2 shown]
	v_lshlrev_b64 v[30:31], 2, v[30:31]
	v_add_co_u32_e32 v30, vcc, s0, v30
	v_addc_co_u32_e32 v31, vcc, v85, v31, vcc
	v_add_co_u32_e32 v32, vcc, s0, v32
	v_addc_co_u32_e32 v33, vcc, v85, v33, vcc
	;; [unrolled: 2-line block ×3, first 2 shown]
	v_add_u32_e32 v38, s66, v82
	v_add_co_u32_e32 v36, vcc, s0, v36
	v_ashrrev_i32_e32 v39, 31, v38
	v_addc_co_u32_e32 v37, vcc, v85, v37, vcc
	v_lshlrev_b64 v[38:39], 2, v[38:39]
	v_add_co_u32_e32 v38, vcc, s0, v38
	v_addc_co_u32_e32 v39, vcc, v85, v39, vcc
	global_load_dword v24, v[24:25], off
	s_nop 0
	global_load_dword v25, v[26:27], off
	s_nop 0
	;; [unrolled: 2-line block ×6, first 2 shown]
	global_load_dword v34, v[36:37], off
	global_load_dword v35, v[38:39], off
	v_add_u32_e32 v26, s67, v82
	v_ashrrev_i32_e32 v27, 31, v26
	v_lshlrev_b64 v[26:27], 2, v[26:27]
	v_add_u32_e32 v30, s68, v82
	v_add_co_u32_e32 v26, vcc, s0, v26
	v_ashrrev_i32_e32 v31, 31, v30
	v_addc_co_u32_e32 v27, vcc, v85, v27, vcc
	v_lshlrev_b64 v[30:31], 2, v[30:31]
	v_add_u32_e32 v36, s69, v82
	v_add_co_u32_e32 v30, vcc, s0, v30
	v_ashrrev_i32_e32 v37, 31, v36
	v_addc_co_u32_e32 v31, vcc, v85, v31, vcc
	;; [unrolled: 5-line block ×4, first 2 shown]
	v_lshlrev_b64 v[40:41], 2, v[40:41]
	v_add_co_u32_e32 v42, vcc, s0, v40
	v_add_u32_e32 v40, s72, v82
	v_addc_co_u32_e32 v43, vcc, v85, v41, vcc
	v_ashrrev_i32_e32 v41, 31, v40
	v_lshlrev_b64 v[40:41], 2, v[40:41]
	v_add_co_u32_e32 v48, vcc, s0, v40
	v_add_u32_e32 v40, s73, v82
	v_addc_co_u32_e32 v49, vcc, v85, v41, vcc
	v_ashrrev_i32_e32 v41, 31, v40
	;; [unrolled: 5-line block ×3, first 2 shown]
	v_lshlrev_b64 v[40:41], 2, v[40:41]
	v_add_co_u32_e32 v52, vcc, s0, v40
	v_addc_co_u32_e32 v53, vcc, v85, v41, vcc
	global_load_dword v40, v[26:27], off
	global_load_dword v41, v[30:31], off
	;; [unrolled: 1-line block ×6, first 2 shown]
	s_nop 0
	global_load_dword v38, v[50:51], off
	global_load_dword v39, v[52:53], off
	v_add_u32_e32 v26, s75, v82
	v_ashrrev_i32_e32 v27, 31, v26
	v_lshlrev_b64 v[26:27], 2, v[26:27]
	v_add_u32_e32 v30, s76, v82
	v_add_co_u32_e32 v26, vcc, s0, v26
	v_ashrrev_i32_e32 v31, 31, v30
	v_addc_co_u32_e32 v27, vcc, v85, v27, vcc
	v_lshlrev_b64 v[30:31], 2, v[30:31]
	v_add_u32_e32 v36, s77, v82
	v_add_co_u32_e32 v30, vcc, s0, v30
	v_ashrrev_i32_e32 v37, 31, v36
	v_addc_co_u32_e32 v31, vcc, v85, v31, vcc
	v_lshlrev_b64 v[36:37], 2, v[36:37]
	v_add_u32_e32 v42, s78, v82
	v_add_co_u32_e32 v36, vcc, s0, v36
	v_ashrrev_i32_e32 v43, 31, v42
	v_addc_co_u32_e32 v37, vcc, v85, v37, vcc
	v_lshlrev_b64 v[42:43], 2, v[42:43]
	v_add_u32_e32 v48, s79, v82
	v_add_co_u32_e32 v42, vcc, s0, v42
	v_ashrrev_i32_e32 v49, 31, v48
	v_addc_co_u32_e32 v43, vcc, v85, v43, vcc
	v_lshlrev_b64 v[48:49], 2, v[48:49]
	v_add_u32_e32 v50, s80, v82
	v_add_co_u32_e32 v48, vcc, s0, v48
	v_ashrrev_i32_e32 v51, 31, v50
	v_addc_co_u32_e32 v49, vcc, v85, v49, vcc
	v_lshlrev_b64 v[50:51], 2, v[50:51]
	v_add_u32_e32 v52, s81, v82
	v_add_co_u32_e32 v50, vcc, s0, v50
	v_ashrrev_i32_e32 v53, 31, v52
	v_addc_co_u32_e32 v51, vcc, v85, v51, vcc
	v_lshlrev_b64 v[52:53], 2, v[52:53]
	v_add_u32_e32 v54, s82, v82
	v_add_co_u32_e32 v52, vcc, s0, v52
	v_ashrrev_i32_e32 v55, 31, v54
	v_addc_co_u32_e32 v53, vcc, v85, v53, vcc
	v_lshlrev_b64 v[54:55], 2, v[54:55]
	v_add_co_u32_e32 v54, vcc, s0, v54
	v_addc_co_u32_e32 v55, vcc, v85, v55, vcc
	global_load_dword v56, v[26:27], off
	global_load_dword v57, v[30:31], off
	global_load_dword v58, v[36:37], off
	global_load_dword v59, v[42:43], off
	global_load_dword v60, v[48:49], off
	global_load_dword v61, v[50:51], off
	global_load_dword v62, v[52:53], off
	global_load_dword v63, v[54:55], off
	v_add_u32_e32 v26, s83, v82
	v_ashrrev_i32_e32 v27, 31, v26
	v_lshlrev_b64 v[26:27], 2, v[26:27]
	v_add_u32_e32 v30, s84, v82
	v_add_co_u32_e32 v26, vcc, s0, v26
	v_ashrrev_i32_e32 v31, 31, v30
	v_addc_co_u32_e32 v27, vcc, v85, v27, vcc
	v_lshlrev_b64 v[30:31], 2, v[30:31]
	v_add_u32_e32 v36, s85, v82
	v_add_co_u32_e32 v30, vcc, s0, v30
	v_ashrrev_i32_e32 v37, 31, v36
	v_addc_co_u32_e32 v31, vcc, v85, v31, vcc
	v_lshlrev_b64 v[36:37], 2, v[36:37]
	v_add_u32_e32 v42, s86, v82
	v_add_co_u32_e32 v36, vcc, s0, v36
	v_ashrrev_i32_e32 v43, 31, v42
	v_addc_co_u32_e32 v37, vcc, v85, v37, vcc
	v_lshlrev_b64 v[42:43], 2, v[42:43]
	v_add_u32_e32 v48, s87, v82
	v_add_co_u32_e32 v42, vcc, s0, v42
	v_ashrrev_i32_e32 v49, 31, v48
	v_addc_co_u32_e32 v43, vcc, v85, v43, vcc
	v_lshlrev_b64 v[48:49], 2, v[48:49]
	v_add_u32_e32 v50, s88, v82
	v_add_co_u32_e32 v48, vcc, s0, v48
	v_ashrrev_i32_e32 v51, 31, v50
	v_addc_co_u32_e32 v49, vcc, v85, v49, vcc
	v_lshlrev_b64 v[50:51], 2, v[50:51]
	v_add_u32_e32 v52, s89, v82
	v_add_co_u32_e32 v50, vcc, s0, v50
	v_ashrrev_i32_e32 v53, 31, v52
	v_addc_co_u32_e32 v51, vcc, v85, v51, vcc
	v_lshlrev_b64 v[52:53], 2, v[52:53]
	v_add_u32_e32 v54, s43, v82
	v_add_co_u32_e32 v52, vcc, s0, v52
	v_ashrrev_i32_e32 v55, 31, v54
	v_addc_co_u32_e32 v53, vcc, v85, v53, vcc
	v_lshlrev_b64 v[54:55], 2, v[54:55]
	v_add_co_u32_e32 v54, vcc, s0, v54
	v_addc_co_u32_e32 v55, vcc, v85, v55, vcc
	global_load_dword v64, v[26:27], off
	global_load_dword v65, v[30:31], off
	global_load_dword v66, v[36:37], off
	global_load_dword v67, v[42:43], off
	global_load_dword v68, v[48:49], off
	global_load_dword v69, v[50:51], off
	;; [unrolled: 48-line block ×3, first 2 shown]
	global_load_dword v88, v[52:53], off
	global_load_dword v89, v[54:55], off
	v_add_u32_e32 v26, s28, v82
	v_ashrrev_i32_e32 v27, 31, v26
	v_lshlrev_b64 v[26:27], 2, v[26:27]
	v_add_u32_e32 v30, s29, v82
	v_add_co_u32_e32 v26, vcc, s0, v26
	v_ashrrev_i32_e32 v31, 31, v30
	v_addc_co_u32_e32 v27, vcc, v85, v27, vcc
	v_lshlrev_b64 v[30:31], 2, v[30:31]
	v_add_u32_e32 v36, s22, v82
	v_add_co_u32_e32 v30, vcc, s0, v30
	v_ashrrev_i32_e32 v37, 31, v36
	v_addc_co_u32_e32 v31, vcc, v85, v31, vcc
	;; [unrolled: 5-line block ×5, first 2 shown]
	v_lshlrev_b64 v[50:51], 2, v[50:51]
	v_add_co_u32_e32 v50, vcc, s0, v50
	v_addc_co_u32_e32 v51, vcc, v85, v51, vcc
	global_load_dword v90, v[26:27], off
	global_load_dword v91, v[30:31], off
	;; [unrolled: 1-line block ×6, first 2 shown]
	s_waitcnt vmcnt(55)
	ds_write_b32 v83, v14 offset:2112
	s_waitcnt vmcnt(54)
	ds_write_b32 v83, v15 offset:2376
	s_waitcnt vmcnt(53)
	ds_write_b32 v83, v16 offset:2640
	s_waitcnt vmcnt(52)
	ds_write_b32 v83, v17 offset:2904
	s_waitcnt vmcnt(51)
	ds_write_b32 v83, v18 offset:3168
	s_waitcnt vmcnt(50)
	ds_write_b32 v83, v19 offset:3432
	s_waitcnt vmcnt(49)
	ds_write_b32 v83, v22 offset:3696
	s_waitcnt vmcnt(48)
	ds_write_b32 v83, v23 offset:3960
	ds_read_b64 v[42:43], v84
	ds_read_b64 v[36:37], v84 offset:32
	ds_read_b64 v[30:31], v84 offset:64
	ds_read_b64 v[26:27], v84 offset:96
	ds_read_b64 v[22:23], v84 offset:128
	ds_read_b64 v[18:19], v84 offset:160
	ds_read_b64 v[16:17], v84 offset:192
	ds_read_b64 v[14:15], v84 offset:224
	s_waitcnt vmcnt(47)
	ds_write_b32 v83, v20
	s_waitcnt vmcnt(46)
	ds_write_b32 v83, v21 offset:264
	s_waitcnt vmcnt(45)
	ds_write_b32 v83, v24 offset:528
	s_waitcnt vmcnt(44)
	ds_write_b32 v83, v25 offset:792
	s_waitcnt vmcnt(43)
	ds_write_b32 v83, v28 offset:1056
	s_waitcnt vmcnt(42)
	ds_write_b32 v83, v29 offset:1320
	s_waitcnt vmcnt(41)
	ds_write_b32 v83, v32 offset:1584
	s_waitcnt vmcnt(40)
	ds_write_b32 v83, v33 offset:1848
	s_waitcnt vmcnt(39)
	ds_write_b32 v83, v34 offset:2112
	s_waitcnt vmcnt(38)
	ds_write_b32 v83, v35 offset:2376
	s_waitcnt vmcnt(37)
	ds_write_b32 v83, v40 offset:2640
	s_waitcnt vmcnt(36)
	ds_write_b32 v83, v41 offset:2904
	s_waitcnt vmcnt(35)
	ds_write_b32 v83, v44 offset:3168
	s_waitcnt vmcnt(34)
	ds_write_b32 v83, v45 offset:3432
	s_waitcnt vmcnt(33)
	ds_write_b32 v83, v46 offset:3696
	s_waitcnt vmcnt(32)
	ds_write_b32 v83, v47 offset:3960
	ds_read_b64 v[54:55], v84
	ds_read_b64 v[50:51], v84 offset:32
	ds_read_b64 v[46:47], v84 offset:64
	ds_read_b64 v[40:41], v84 offset:96
	ds_read_b64 v[34:35], v84 offset:128
	ds_read_b64 v[28:29], v84 offset:160
	ds_read_b64 v[24:25], v84 offset:192
	ds_read_b64 v[20:21], v84 offset:224
	s_waitcnt vmcnt(31)
	ds_write_b32 v83, v38
	s_waitcnt vmcnt(30)
	ds_write_b32 v83, v39 offset:264
	s_waitcnt vmcnt(29)
	ds_write_b32 v83, v56 offset:528
	s_waitcnt vmcnt(28)
	ds_write_b32 v83, v57 offset:792
	s_waitcnt vmcnt(27)
	ds_write_b32 v83, v58 offset:1056
	s_waitcnt vmcnt(26)
	ds_write_b32 v83, v59 offset:1320
	s_waitcnt vmcnt(25)
	ds_write_b32 v83, v60 offset:1584
	s_waitcnt vmcnt(24)
	ds_write_b32 v83, v61 offset:1848
	;; [unrolled: 40-line block ×3, first 2 shown]
	s_waitcnt vmcnt(7)
	ds_write_b32 v83, v88 offset:2112
	s_waitcnt vmcnt(6)
	ds_write_b32 v83, v89 offset:2376
	;; [unrolled: 2-line block ×8, first 2 shown]
	ds_read_b64 v[76:77], v84
	ds_read_b64 v[74:75], v84 offset:32
	ds_read_b64 v[72:73], v84 offset:64
	;; [unrolled: 1-line block ×7, first 2 shown]
	v_accvgpr_read_b32 v3, a15
	v_accvgpr_read_b32 v2, a14
	;; [unrolled: 1-line block ×12, first 2 shown]
	s_andn2_b64 vcc, exec, s[4:5]
	v_mov_b32_e32 v88, 0
	s_cbranch_vccnz .LBB75_9
; %bb.7:                                ;   in Loop: Header=BB75_6 Depth=1
	s_load_dword vcc_lo, s[34:35], 0x0
	v_mov_b32_e32 v88, 0
	s_waitcnt lgkmcnt(0)
	s_mul_hi_u32 vcc_hi, vcc_lo, s16
	s_add_i32 vcc_hi, vcc_lo, vcc_hi
	s_lshr_b32 s30, vcc_hi, s17
	s_cmp_ge_i32 s30, s13
	s_cbranch_scc1 .LBB75_9
; %bb.8:                                ;   in Loop: Header=BB75_6 Depth=1
	s_mul_i32 vcc_hi, s30, s18
	s_sub_i32 s31, vcc_lo, vcc_hi
	s_mul_i32 s31, s31, s1
	s_mul_i32 s30, s30, s20
	s_add_i32 s30, s30, s31
	v_add_u32_e32 v88, s30, v82
	v_ashrrev_i32_e32 v89, 31, v88
	v_lshlrev_b64 v[88:89], 2, v[88:89]
	v_mov_b32_e32 v90, s11
	v_add_co_u32_e32 v88, vcc, s10, v88
	v_addc_co_u32_e32 v89, vcc, v90, v89, vcc
	global_load_dword v88, v[88:89], off
.LBB75_9:                               ;   in Loop: Header=BB75_6 Depth=1
	s_andn2_b64 vcc, exec, s[36:37]
	v_mov_b32_e32 v89, 0
	v_mov_b32_e32 v90, 0
	s_cbranch_vccnz .LBB75_12
; %bb.10:                               ;   in Loop: Header=BB75_6 Depth=1
	s_load_dword vcc_lo, s[34:35], 0x4
	v_mov_b32_e32 v90, 0
	s_waitcnt lgkmcnt(0)
	s_mul_hi_u32 s30, vcc_lo, s16
	s_add_i32 s30, vcc_lo, s30
	s_lshr_b32 vcc_hi, s30, s17
	s_cmp_ge_i32 vcc_hi, s13
	s_cbranch_scc1 .LBB75_12
; %bb.11:                               ;   in Loop: Header=BB75_6 Depth=1
	s_mul_i32 s30, vcc_hi, s18
	s_sub_i32 s30, vcc_lo, s30
	s_mul_i32 s30, s30, s1
	s_mul_i32 s31, vcc_hi, s20
	s_add_i32 s31, s31, s30
	v_add_u32_e32 v90, s31, v82
	v_ashrrev_i32_e32 v91, 31, v90
	v_lshlrev_b64 v[90:91], 2, v[90:91]
	v_mov_b32_e32 v92, s11
	v_add_co_u32_e32 v90, vcc, s10, v90
	v_addc_co_u32_e32 v91, vcc, v92, v91, vcc
	global_load_dword v90, v[90:91], off
.LBB75_12:                              ;   in Loop: Header=BB75_6 Depth=1
	s_andn2_b64 vcc, exec, s[38:39]
	s_cbranch_vccnz .LBB75_15
; %bb.13:                               ;   in Loop: Header=BB75_6 Depth=1
	s_load_dword vcc_lo, s[34:35], 0x8
	v_mov_b32_e32 v89, 0
	s_waitcnt lgkmcnt(0)
	s_mul_hi_u32 s30, vcc_lo, s16
	s_add_i32 s30, vcc_lo, s30
	s_lshr_b32 vcc_hi, s30, s17
	s_cmp_ge_i32 vcc_hi, s13
	s_cbranch_scc1 .LBB75_15
; %bb.14:                               ;   in Loop: Header=BB75_6 Depth=1
	s_mul_i32 s30, vcc_hi, s18
	s_sub_i32 s30, vcc_lo, s30
	s_mul_i32 s30, s30, s1
	s_mul_i32 s31, vcc_hi, s20
	s_add_i32 s31, s31, s30
	v_add_u32_e32 v92, s31, v82
	v_ashrrev_i32_e32 v93, 31, v92
	v_lshlrev_b64 v[92:93], 2, v[92:93]
	v_mov_b32_e32 v89, s11
	v_add_co_u32_e32 v92, vcc, s10, v92
	v_addc_co_u32_e32 v93, vcc, v89, v93, vcc
	global_load_dword v89, v[92:93], off
.LBB75_15:                              ;   in Loop: Header=BB75_6 Depth=1
	s_andn2_b64 vcc, exec, s[40:41]
	v_mov_b32_e32 v91, 0
	s_cbranch_vccnz .LBB75_5
; %bb.16:                               ;   in Loop: Header=BB75_6 Depth=1
	s_load_dword vcc_lo, s[34:35], 0xc
	v_mov_b32_e32 v91, 0
	s_waitcnt lgkmcnt(0)
	s_mul_hi_u32 s30, vcc_lo, s16
	s_add_i32 s30, vcc_lo, s30
	s_lshr_b32 vcc_hi, s30, s17
	s_cmp_ge_i32 vcc_hi, s13
	s_cbranch_scc1 .LBB75_5
; %bb.17:                               ;   in Loop: Header=BB75_6 Depth=1
	s_mul_i32 s30, vcc_hi, s18
	s_sub_i32 s30, vcc_lo, s30
	s_mul_i32 s30, s30, s1
	s_mul_i32 s31, vcc_hi, s20
	s_add_i32 s31, s31, s30
	v_add_u32_e32 v92, s31, v82
	v_ashrrev_i32_e32 v93, 31, v92
	v_lshlrev_b64 v[92:93], 2, v[92:93]
	v_mov_b32_e32 v91, s11
	v_add_co_u32_e32 v92, vcc, s10, v92
	v_addc_co_u32_e32 v93, vcc, v91, v93, vcc
	global_load_dword v91, v[92:93], off
	s_branch .LBB75_5
.LBB75_18:
	s_or_b64 exec, exec, s[8:9]
	v_readlane_b32 s24, v96, 6
	v_readlane_b32 s25, v96, 7
	;; [unrolled: 1-line block ×3, first 2 shown]
.LBB75_19:
	v_readlane_b32 s0, v96, 4
	v_readlane_b32 s1, v96, 5
	s_or_b64 exec, exec, s[0:1]
	s_lshl_b64 s[0:1], s[26:27], 2
	v_readlane_b32 s4, v96, 0
	v_lshlrev_b32_e32 v0, 2, v80
	v_or_b32_e32 v2, 12, v79
	v_readlane_b32 s5, v96, 1
	s_add_u32 s3, s4, s0
	v_add3_u32 v0, 0, v81, v0
	v_and_b32_e32 v1, 0x3f0, v79
	v_and_b32_e32 v2, 0x3fc, v2
	s_addc_u32 s8, s5, s1
	v_add_u32_e32 v1, v0, v1
	v_add_u32_e32 v0, v0, v2
	ds_write2_b32 v1, a0, a1 offset1:1
	ds_write_b32 v1, a2 offset:8
	ds_write_b32 v0, a3
	ds_write2_b32 v1, a4, a5 offset0:16 offset1:17
	ds_write_b32 v1, a6 offset:72
	ds_write_b32 v0, a7 offset:64
	ds_write2_b32 v1, a8, a9 offset0:32 offset1:33
	ds_write_b32 v1, a10 offset:136
	ds_write_b32 v0, a11 offset:128
	;; [unrolled: 3-line block ×3, first 2 shown]
	s_cmp_gt_i32 s14, 0
	v_add_u32_e32 v0, s6, v78
	s_cselect_b64 s[4:5], -1, 0
	v_cmp_gt_i32_e64 s[0:1], s33, v0
	v_cmp_gt_u32_e32 vcc, 4, v78
	s_and_b64 s[0:1], s[4:5], s[0:1]
	v_lshl_add_u32 v5, v79, 2, 0
	v_add_u32_e32 v4, s7, v79
	v_mul_u32_u24_e32 v6, 0x108, v78
	s_and_b64 s[10:11], vcc, s[0:1]
	s_and_saveexec_b64 s[0:1], s[10:11]
	s_cbranch_execz .LBB75_22
; %bb.20:
	v_ashrrev_i32_e32 v1, 31, v0
	v_lshlrev_b64 v[2:3], 2, v[0:1]
	v_mov_b32_e32 v1, s8
	v_add_co_u32_e32 v2, vcc, s3, v2
	v_addc_co_u32_e32 v3, vcc, v1, v3, vcc
	global_load_dword v1, v[2:3], off
	s_waitcnt vmcnt(0)
	v_mul_hi_u32 v2, v1, s19
	v_add_u32_e32 v2, v1, v2
	v_lshrrev_b32_e32 v2, s24, v2
	v_cmp_gt_i32_e32 vcc, s13, v2
	s_and_b64 exec, exec, vcc
	s_cbranch_execz .LBB75_22
; %bb.21:
	v_add_u32_e32 v3, v5, v6
	ds_read_b32 v3, v3
	v_mul_lo_u32 v7, v2, s25
	v_sub_u32_e32 v1, v1, v7
	v_mul_lo_u32 v2, v2, s21
	v_mul_lo_u32 v1, v1, s2
	s_waitcnt lgkmcnt(0)
	v_add_f32_e32 v7, 0, v3
	v_add3_u32 v2, v4, v2, v1
	v_mov_b32_e32 v3, 0
	v_readlane_b32 s10, v96, 2
	v_lshlrev_b64 v[2:3], 2, v[2:3]
	v_readlane_b32 s11, v96, 3
	v_mov_b32_e32 v1, s11
	v_add_co_u32_e32 v2, vcc, s10, v2
	v_addc_co_u32_e32 v3, vcc, v1, v3, vcc
	global_store_dword v[2:3], v7, off
.LBB75_22:
	s_or_b64 exec, exec, s[0:1]
	v_add_u32_e32 v1, 1, v0
	v_cmp_gt_i32_e64 s[0:1], s33, v1
	v_cmp_gt_u32_e32 vcc, 3, v78
	s_and_b64 s[0:1], s[4:5], s[0:1]
	s_and_b64 s[10:11], vcc, s[0:1]
	s_and_saveexec_b64 s[0:1], s[10:11]
	s_cbranch_execz .LBB75_25
; %bb.23:
	s_ashr_i32 s7, s6, 31
	v_mov_b32_e32 v1, s7
	v_add_co_u32_e32 v2, vcc, s6, v78
	v_addc_co_u32_e32 v3, vcc, 0, v1, vcc
	v_lshlrev_b64 v[2:3], 2, v[2:3]
	v_mov_b32_e32 v1, s8
	v_add_co_u32_e32 v2, vcc, s3, v2
	v_addc_co_u32_e32 v3, vcc, v1, v3, vcc
	global_load_dword v1, v[2:3], off offset:4
	v_mov_b32_e32 v3, 0
	s_waitcnt vmcnt(0)
	v_mul_hi_u32 v2, v1, s19
	v_add_u32_e32 v2, v1, v2
	v_lshrrev_b32_e32 v2, s24, v2
	v_cmp_gt_i32_e32 vcc, s13, v2
	s_and_b64 exec, exec, vcc
	s_cbranch_execz .LBB75_25
; %bb.24:
	v_add_u32_e32 v7, v6, v5
	v_mul_lo_u32 v8, v2, s25
	ds_read_b32 v7, v7 offset:264
	v_sub_u32_e32 v1, v1, v8
	v_mul_lo_u32 v2, v2, s21
	v_mul_lo_u32 v1, v1, s2
	v_add3_u32 v2, v4, v2, v1
	v_readlane_b32 s10, v96, 2
	v_lshlrev_b64 v[2:3], 2, v[2:3]
	v_readlane_b32 s11, v96, 3
	v_mov_b32_e32 v1, s11
	v_add_co_u32_e32 v2, vcc, s10, v2
	s_waitcnt lgkmcnt(0)
	v_add_f32_e32 v7, 0, v7
	v_addc_co_u32_e32 v3, vcc, v1, v3, vcc
	global_store_dword v[2:3], v7, off
.LBB75_25:
	s_or_b64 exec, exec, s[0:1]
	v_add_u32_e32 v1, 2, v0
	v_cmp_gt_i32_e64 s[0:1], s33, v1
	v_cmp_gt_u32_e32 vcc, 2, v78
	s_and_b64 s[0:1], s[4:5], s[0:1]
	s_and_b64 s[10:11], vcc, s[0:1]
	s_and_saveexec_b64 s[0:1], s[10:11]
	s_cbranch_execz .LBB75_28
; %bb.26:
	s_ashr_i32 s7, s6, 31
	v_mov_b32_e32 v1, s7
	v_add_co_u32_e32 v2, vcc, s6, v78
	v_addc_co_u32_e32 v3, vcc, 0, v1, vcc
	v_lshlrev_b64 v[2:3], 2, v[2:3]
	v_mov_b32_e32 v1, s8
	v_add_co_u32_e32 v2, vcc, s3, v2
	v_addc_co_u32_e32 v3, vcc, v1, v3, vcc
	global_load_dword v1, v[2:3], off offset:8
	v_mov_b32_e32 v3, 0
	s_waitcnt vmcnt(0)
	v_mul_hi_u32 v2, v1, s19
	v_add_u32_e32 v2, v1, v2
	v_lshrrev_b32_e32 v2, s24, v2
	v_cmp_gt_i32_e32 vcc, s13, v2
	s_and_b64 exec, exec, vcc
	s_cbranch_execz .LBB75_28
; %bb.27:
	v_add_u32_e32 v7, v5, v6
	v_mul_lo_u32 v8, v2, s25
	ds_read_b32 v7, v7 offset:528
	v_sub_u32_e32 v1, v1, v8
	v_mul_lo_u32 v2, v2, s21
	v_mul_lo_u32 v1, v1, s2
	v_add3_u32 v2, v4, v2, v1
	v_readlane_b32 s10, v96, 2
	v_lshlrev_b64 v[2:3], 2, v[2:3]
	v_readlane_b32 s11, v96, 3
	v_mov_b32_e32 v1, s11
	v_add_co_u32_e32 v2, vcc, s10, v2
	s_waitcnt lgkmcnt(0)
	v_add_f32_e32 v7, 0, v7
	v_addc_co_u32_e32 v3, vcc, v1, v3, vcc
	global_store_dword v[2:3], v7, off
.LBB75_28:
	s_or_b64 exec, exec, s[0:1]
	v_add_u32_e32 v0, 3, v0
	v_cmp_gt_i32_e64 s[0:1], s33, v0
	v_cmp_eq_u32_e32 vcc, 0, v78
	s_and_b64 s[0:1], s[4:5], s[0:1]
	s_and_b64 s[0:1], vcc, s[0:1]
	s_and_saveexec_b64 s[4:5], s[0:1]
	s_cbranch_execz .LBB75_31
; %bb.29:
	s_ashr_i32 s7, s6, 31
	s_lshl_b64 s[0:1], s[6:7], 2
	s_add_u32 s0, s3, s0
	s_addc_u32 s1, s8, s1
	s_load_dword s0, s[0:1], 0xc
	s_waitcnt lgkmcnt(0)
	s_mul_hi_u32 s1, s0, s19
	s_add_i32 s1, s0, s1
	s_lshr_b32 s1, s1, s24
	s_cmp_ge_i32 s1, s13
	s_cbranch_scc1 .LBB75_31
; %bb.30:
	v_add_u32_e32 v0, v5, v6
	ds_read_b32 v0, v0 offset:792
	s_mul_i32 s3, s1, s25
	s_sub_i32 s0, s0, s3
	s_mul_i32 s1, s1, s21
	s_mul_i32 s0, s0, s2
	s_add_i32 s0, s0, s1
	s_waitcnt lgkmcnt(0)
	v_add_f32_e32 v2, 0, v0
	v_add_u32_e32 v0, s0, v4
	v_mov_b32_e32 v1, 0
	v_readlane_b32 s0, v96, 2
	v_lshlrev_b64 v[0:1], 2, v[0:1]
	v_readlane_b32 s1, v96, 3
	v_mov_b32_e32 v3, s1
	v_add_co_u32_e32 v0, vcc, s0, v0
	v_addc_co_u32_e32 v1, vcc, v3, v1, vcc
	global_store_dword v[0:1], v2, off
.LBB75_31:
	s_endpgm
	.section	.rodata,"a",@progbits
	.p2align	6, 0x0
	.amdhsa_kernel _ZL13mul_mat_f_idsIfLi64ELi4ELi1EEvPKT_PKfPKiS6_S6_Pfiiiiiiiiiiiiii15HIP_vector_typeIjLj3EES9_
		.amdhsa_group_segment_fixed_size 0
		.amdhsa_private_segment_fixed_size 0
		.amdhsa_kernarg_size 128
		.amdhsa_user_sgpr_count 6
		.amdhsa_user_sgpr_private_segment_buffer 1
		.amdhsa_user_sgpr_dispatch_ptr 0
		.amdhsa_user_sgpr_queue_ptr 0
		.amdhsa_user_sgpr_kernarg_segment_ptr 1
		.amdhsa_user_sgpr_dispatch_id 0
		.amdhsa_user_sgpr_flat_scratch_init 0
		.amdhsa_user_sgpr_kernarg_preload_length 0
		.amdhsa_user_sgpr_kernarg_preload_offset 0
		.amdhsa_user_sgpr_private_segment_size 0
		.amdhsa_uses_dynamic_stack 0
		.amdhsa_system_sgpr_private_segment_wavefront_offset 0
		.amdhsa_system_sgpr_workgroup_id_x 1
		.amdhsa_system_sgpr_workgroup_id_y 1
		.amdhsa_system_sgpr_workgroup_id_z 1
		.amdhsa_system_sgpr_workgroup_info 0
		.amdhsa_system_vgpr_workitem_id 1
		.amdhsa_next_free_vgpr 116
		.amdhsa_next_free_sgpr 96
		.amdhsa_accum_offset 100
		.amdhsa_reserve_vcc 1
		.amdhsa_reserve_flat_scratch 0
		.amdhsa_float_round_mode_32 0
		.amdhsa_float_round_mode_16_64 0
		.amdhsa_float_denorm_mode_32 3
		.amdhsa_float_denorm_mode_16_64 3
		.amdhsa_dx10_clamp 1
		.amdhsa_ieee_mode 1
		.amdhsa_fp16_overflow 0
		.amdhsa_tg_split 0
		.amdhsa_exception_fp_ieee_invalid_op 0
		.amdhsa_exception_fp_denorm_src 0
		.amdhsa_exception_fp_ieee_div_zero 0
		.amdhsa_exception_fp_ieee_overflow 0
		.amdhsa_exception_fp_ieee_underflow 0
		.amdhsa_exception_fp_ieee_inexact 0
		.amdhsa_exception_int_div_zero 0
	.end_amdhsa_kernel
	.section	.text._ZL13mul_mat_f_idsIfLi64ELi4ELi1EEvPKT_PKfPKiS6_S6_Pfiiiiiiiiiiiiii15HIP_vector_typeIjLj3EES9_,"axG",@progbits,_ZL13mul_mat_f_idsIfLi64ELi4ELi1EEvPKT_PKfPKiS6_S6_Pfiiiiiiiiiiiiii15HIP_vector_typeIjLj3EES9_,comdat
.Lfunc_end75:
	.size	_ZL13mul_mat_f_idsIfLi64ELi4ELi1EEvPKT_PKfPKiS6_S6_Pfiiiiiiiiiiiiii15HIP_vector_typeIjLj3EES9_, .Lfunc_end75-_ZL13mul_mat_f_idsIfLi64ELi4ELi1EEvPKT_PKfPKiS6_S6_Pfiiiiiiiiiiiiii15HIP_vector_typeIjLj3EES9_
                                        ; -- End function
	.section	.AMDGPU.csdata,"",@progbits
; Kernel info:
; codeLenInByte = 6468
; NumSgprs: 100
; NumVgprs: 97
; NumAgprs: 16
; TotalNumVgprs: 116
; ScratchSize: 0
; MemoryBound: 0
; FloatMode: 240
; IeeeMode: 1
; LDSByteSize: 0 bytes/workgroup (compile time only)
; SGPRBlocks: 12
; VGPRBlocks: 14
; NumSGPRsForWavesPerEU: 100
; NumVGPRsForWavesPerEU: 116
; AccumOffset: 100
; Occupancy: 4
; WaveLimiterHint : 1
; COMPUTE_PGM_RSRC2:SCRATCH_EN: 0
; COMPUTE_PGM_RSRC2:USER_SGPR: 6
; COMPUTE_PGM_RSRC2:TRAP_HANDLER: 0
; COMPUTE_PGM_RSRC2:TGID_X_EN: 1
; COMPUTE_PGM_RSRC2:TGID_Y_EN: 1
; COMPUTE_PGM_RSRC2:TGID_Z_EN: 1
; COMPUTE_PGM_RSRC2:TIDIG_COMP_CNT: 1
; COMPUTE_PGM_RSRC3_GFX90A:ACCUM_OFFSET: 24
; COMPUTE_PGM_RSRC3_GFX90A:TG_SPLIT: 0
	.section	.text._ZL9mul_mat_fIfLi64ELi4ELi1ELb1EEvPKT_PKfPKiPfiiiiiiiiiiiiiiii,"axG",@progbits,_ZL9mul_mat_fIfLi64ELi4ELi1ELb1EEvPKT_PKfPKiPfiiiiiiiiiiiiiiii,comdat
	.globl	_ZL9mul_mat_fIfLi64ELi4ELi1ELb1EEvPKT_PKfPKiPfiiiiiiiiiiiiiiii ; -- Begin function _ZL9mul_mat_fIfLi64ELi4ELi1ELb1EEvPKT_PKfPKiPfiiiiiiiiiiiiiiii
	.p2align	8
	.type	_ZL9mul_mat_fIfLi64ELi4ELi1ELb1EEvPKT_PKfPKiPfiiiiiiiiiiiiiiii,@function
_ZL9mul_mat_fIfLi64ELi4ELi1ELb1EEvPKT_PKfPKiPfiiiiiiiiiiiiiiii: ; @_ZL9mul_mat_fIfLi64ELi4ELi1ELb1EEvPKT_PKfPKiPfiiiiiiiiiiiiiiii
; %bb.0:
	s_load_dwordx8 s[20:27], s[4:5], 0x20
	v_and_b32_e32 v12, 0x3ff, v0
	v_bfe_u32 v13, v0, 10, 10
	v_cmp_eq_u32_e32 vcc, 0, v12
	s_waitcnt lgkmcnt(0)
	s_add_i32 s0, s21, 3
	s_ashr_i32 s1, s0, 31
	s_lshr_b32 s1, s1, 30
	s_add_i32 s0, s0, s1
	s_ashr_i32 s0, s0, 2
	v_cvt_f32_u32_e32 v1, s0
	s_load_dwordx4 s[28:31], s[4:5], 0x44
	s_load_dword s1, s[4:5], 0x64
	s_sub_i32 s2, 0, s0
	s_add_u32 s34, s4, 0x60
	v_rcp_iflag_f32_e32 v1, v1
	s_addc_u32 s35, s5, 0
	v_mul_f32_e32 v1, 0x4f7ffffe, v1
	v_cvt_u32_f32_e32 v1, v1
	v_readfirstlane_b32 s3, v1
	s_mul_i32 s2, s2, s3
	s_mul_hi_u32 s2, s3, s2
	s_add_i32 s3, s3, s2
	s_waitcnt lgkmcnt(0)
	s_mul_hi_u32 s2, s1, s3
	s_mul_i32 s3, s2, s0
	s_sub_i32 s1, s1, s3
	s_add_i32 s9, s2, 1
	s_sub_i32 s3, s1, s0
	s_cmp_ge_u32 s1, s0
	s_cselect_b32 s2, s9, s2
	s_cselect_b32 s1, s3, s1
	s_add_i32 s3, s2, 1
	s_cmp_ge_u32 s1, s0
	s_cselect_b32 s9, s3, s2
	v_cvt_f32_u32_e32 v1, s9
	s_abs_i32 s33, s31
	v_cvt_f32_u32_e32 v2, s33
	s_load_dwordx2 s[0:1], s[4:5], 0x10
	v_rcp_iflag_f32_e32 v1, v1
	s_sub_i32 s2, 0, s9
	v_rcp_iflag_f32_e32 v2, v2
	v_mul_f32_e32 v1, 0x4f7ffffe, v1
	v_cvt_u32_f32_e32 v1, v1
	v_mul_f32_e32 v2, 0x4f7ffffe, v2
	v_cvt_u32_f32_e32 v2, v2
	v_readfirstlane_b32 s3, v1
	s_mul_i32 s2, s2, s3
	s_mul_hi_u32 s2, s3, s2
	s_add_i32 s3, s3, s2
	v_readfirstlane_b32 s42, v2
	s_mul_hi_u32 s10, s7, s3
	s_and_saveexec_b64 s[2:3], vcc
	s_cbranch_execz .LBB76_2
; %bb.1:
	v_mov_b32_e32 v1, 0x100
	v_lshl_add_u32 v1, v13, 2, v1
	v_mov_b32_e32 v2, -1
	ds_write_b32 v1, v2
.LBB76_2:
	s_or_b64 exec, exec, s[2:3]
	s_mul_i32 s2, s10, s9
	s_sub_i32 s2, s7, s2
	s_add_i32 s3, s10, 1
	s_sub_i32 s11, s2, s9
	s_cmp_ge_u32 s2, s9
	s_cselect_b32 s3, s3, s10
	s_cselect_b32 s2, s11, s2
	s_add_i32 s10, s3, 1
	s_cmp_ge_u32 s2, s9
	s_cselect_b32 s2, s10, s3
	s_mul_i32 s3, s2, s9
	s_lshl_b32 s9, s2, 2
	s_sub_i32 s7, s7, s3
	s_mul_hi_i32 s3, s9, s27
	s_mul_i32 s2, s9, s27
	s_lshl_b64 s[2:3], s[2:3], 2
	s_waitcnt lgkmcnt(0)
	s_add_u32 s43, s0, s2
	v_add_u32_e32 v1, s9, v13
	s_addc_u32 s44, s1, s3
	v_cmp_gt_i32_e64 s[10:11], s22, v12
	v_cmp_gt_i32_e64 s[0:1], s21, v1
	v_mov_b32_e32 v1, 0
	s_and_saveexec_b64 s[14:15], s[0:1]
	s_cbranch_execz .LBB76_10
; %bb.3:
	v_mov_b32_e32 v1, 0
	s_and_saveexec_b64 s[16:17], s[10:11]
	s_cbranch_execz .LBB76_9
; %bb.4:
	v_mul_lo_u32 v2, v13, s27
	v_ashrrev_i32_e32 v3, 31, v2
	v_lshlrev_b64 v[2:3], 2, v[2:3]
	v_mov_b32_e32 v1, s44
	v_add_co_u32_e64 v4, s[2:3], s43, v2
	v_addc_co_u32_e64 v5, s[2:3], v1, v3, s[2:3]
	v_mov_b32_e32 v1, 0x100
	v_lshl_add_u32 v6, v13, 2, v1
	v_mul_lo_u32 v2, v12, s26
	s_lshl_b32 s38, s26, 6
	s_mov_b64 s[18:19], 0
	v_mov_b32_e32 v1, 0
	v_mov_b32_e32 v7, v12
	s_branch .LBB76_6
.LBB76_5:                               ;   in Loop: Header=BB76_6 Depth=1
	s_or_b64 exec, exec, s[36:37]
	v_add_u32_e32 v7, 64, v7
	v_cmp_le_i32_e64 s[12:13], s22, v7
	s_xor_b64 s[2:3], s[2:3], -1
	s_or_b64 s[2:3], s[2:3], s[12:13]
	s_and_b64 s[2:3], exec, s[2:3]
	s_or_b64 s[18:19], s[2:3], s[18:19]
	v_add_u32_e32 v2, s38, v2
	s_andn2_b64 exec, exec, s[18:19]
	s_cbranch_execz .LBB76_8
.LBB76_6:                               ; =>This Inner Loop Header: Depth=1
	v_ashrrev_i32_e32 v3, 31, v2
	v_lshlrev_b64 v[8:9], 2, v[2:3]
	v_add_co_u32_e64 v8, s[2:3], v4, v8
	v_addc_co_u32_e64 v9, s[2:3], v5, v9, s[2:3]
	global_load_dword v3, v[8:9], off
	s_waitcnt vmcnt(0)
	v_cmp_ne_u32_e64 s[2:3], s7, v3
	v_cmp_eq_u32_e64 s[12:13], s7, v3
	s_and_saveexec_b64 s[36:37], s[12:13]
	s_cbranch_execz .LBB76_5
; %bb.7:                                ;   in Loop: Header=BB76_6 Depth=1
	v_mov_b32_e32 v1, 1
	ds_write_b32 v6, v7
	s_branch .LBB76_5
.LBB76_8:
	s_or_b64 exec, exec, s[18:19]
.LBB76_9:
	s_or_b64 exec, exec, s[16:17]
.LBB76_10:
	s_or_b64 exec, exec, s[14:15]
	s_and_saveexec_b64 s[2:3], vcc
	s_cbranch_execz .LBB76_12
; %bb.11:
	v_mov_b32_e32 v2, 0x100
	v_lshl_add_u32 v2, v13, 2, v2
	v_mov_b32_e32 v3, -1
	ds_write_b32 v2, v3 offset:4
.LBB76_12:
	s_or_b64 exec, exec, s[2:3]
	v_add_u32_e32 v80, 1, v13
	v_add_u32_e32 v2, s9, v80
	v_cmp_gt_i32_e64 s[2:3], s21, v2
	s_and_saveexec_b64 s[16:17], s[2:3]
	s_cbranch_execz .LBB76_20
; %bb.13:
	s_and_saveexec_b64 s[18:19], s[10:11]
	s_cbranch_execz .LBB76_19
; %bb.14:
	v_mul_lo_u32 v2, v80, s27
	v_ashrrev_i32_e32 v3, 31, v2
	v_lshlrev_b64 v[2:3], 2, v[2:3]
	v_mov_b32_e32 v5, s44
	v_add_co_u32_e64 v4, s[12:13], s43, v2
	v_mov_b32_e32 v2, 0x100
	v_addc_co_u32_e64 v5, s[12:13], v5, v3, s[12:13]
	v_lshl_add_u32 v6, v13, 2, v2
	v_mul_lo_u32 v2, v12, s26
	s_lshl_b32 s40, s26, 6
	s_mov_b64 s[36:37], 0
	v_mov_b32_e32 v7, v12
	s_branch .LBB76_16
.LBB76_15:                              ;   in Loop: Header=BB76_16 Depth=1
	s_or_b64 exec, exec, s[38:39]
	v_add_u32_e32 v7, 64, v7
	v_cmp_le_i32_e64 s[14:15], s22, v7
	s_xor_b64 s[12:13], s[12:13], -1
	s_or_b64 s[12:13], s[12:13], s[14:15]
	s_and_b64 s[12:13], exec, s[12:13]
	s_or_b64 s[36:37], s[12:13], s[36:37]
	v_add_u32_e32 v2, s40, v2
	s_andn2_b64 exec, exec, s[36:37]
	s_cbranch_execz .LBB76_18
.LBB76_16:                              ; =>This Inner Loop Header: Depth=1
	v_ashrrev_i32_e32 v3, 31, v2
	v_lshlrev_b64 v[8:9], 2, v[2:3]
	v_add_co_u32_e64 v8, s[12:13], v4, v8
	v_addc_co_u32_e64 v9, s[12:13], v5, v9, s[12:13]
	global_load_dword v3, v[8:9], off
	s_waitcnt vmcnt(0)
	v_cmp_ne_u32_e64 s[12:13], s7, v3
	v_cmp_eq_u32_e64 s[14:15], s7, v3
	s_and_saveexec_b64 s[38:39], s[14:15]
	s_cbranch_execz .LBB76_15
; %bb.17:                               ;   in Loop: Header=BB76_16 Depth=1
	v_mov_b32_e32 v1, 1
	ds_write_b32 v6, v7 offset:4
	s_branch .LBB76_15
.LBB76_18:
	s_or_b64 exec, exec, s[36:37]
.LBB76_19:
	s_or_b64 exec, exec, s[18:19]
.LBB76_20:
	s_or_b64 exec, exec, s[16:17]
	s_sub_i32 s45, 0, s33
	s_and_saveexec_b64 s[12:13], vcc
	s_cbranch_execz .LBB76_22
; %bb.21:
	v_mov_b32_e32 v2, 0x100
	v_lshl_add_u32 v2, v13, 2, v2
	v_mov_b32_e32 v3, -1
	ds_write_b32 v2, v3 offset:8
.LBB76_22:
	s_or_b64 exec, exec, s[12:13]
	v_add_u32_e32 v81, 2, v13
	v_add_u32_e32 v2, s9, v81
	s_mul_i32 s45, s45, s42
	v_cmp_gt_i32_e64 s[12:13], s21, v2
	s_and_saveexec_b64 s[18:19], s[12:13]
	s_cbranch_execz .LBB76_30
; %bb.23:
	s_and_saveexec_b64 s[36:37], s[10:11]
	s_cbranch_execz .LBB76_29
; %bb.24:
	v_mul_lo_u32 v2, v81, s27
	v_ashrrev_i32_e32 v3, 31, v2
	v_lshlrev_b64 v[2:3], 2, v[2:3]
	v_mov_b32_e32 v5, s44
	v_add_co_u32_e64 v4, s[14:15], s43, v2
	v_mov_b32_e32 v2, 0x100
	v_addc_co_u32_e64 v5, s[14:15], v5, v3, s[14:15]
	v_lshl_add_u32 v6, v13, 2, v2
	v_mul_lo_u32 v2, v12, s26
	s_lshl_b32 s46, s26, 6
	s_mov_b64 s[38:39], 0
	v_mov_b32_e32 v7, v12
	s_branch .LBB76_26
.LBB76_25:                              ;   in Loop: Header=BB76_26 Depth=1
	s_or_b64 exec, exec, s[40:41]
	v_add_u32_e32 v7, 64, v7
	v_cmp_le_i32_e64 s[16:17], s22, v7
	s_xor_b64 s[14:15], s[14:15], -1
	s_or_b64 s[14:15], s[14:15], s[16:17]
	s_and_b64 s[14:15], exec, s[14:15]
	s_or_b64 s[38:39], s[14:15], s[38:39]
	v_add_u32_e32 v2, s46, v2
	s_andn2_b64 exec, exec, s[38:39]
	s_cbranch_execz .LBB76_28
.LBB76_26:                              ; =>This Inner Loop Header: Depth=1
	v_ashrrev_i32_e32 v3, 31, v2
	v_lshlrev_b64 v[8:9], 2, v[2:3]
	v_add_co_u32_e64 v8, s[14:15], v4, v8
	v_addc_co_u32_e64 v9, s[14:15], v5, v9, s[14:15]
	global_load_dword v3, v[8:9], off
	s_waitcnt vmcnt(0)
	v_cmp_ne_u32_e64 s[14:15], s7, v3
	v_cmp_eq_u32_e64 s[16:17], s7, v3
	s_and_saveexec_b64 s[40:41], s[16:17]
	s_cbranch_execz .LBB76_25
; %bb.27:                               ;   in Loop: Header=BB76_26 Depth=1
	v_mov_b32_e32 v1, 1
	ds_write_b32 v6, v7 offset:8
	s_branch .LBB76_25
.LBB76_28:
	s_or_b64 exec, exec, s[38:39]
.LBB76_29:
	s_or_b64 exec, exec, s[36:37]
.LBB76_30:
	s_or_b64 exec, exec, s[18:19]
	s_mul_hi_u32 s17, s42, s45
	s_and_saveexec_b64 s[14:15], vcc
	s_cbranch_execz .LBB76_32
; %bb.31:
	v_mov_b32_e32 v2, 0x100
	v_lshl_add_u32 v2, v13, 2, v2
	v_mov_b32_e32 v3, -1
	ds_write_b32 v2, v3 offset:12
.LBB76_32:
	s_or_b64 exec, exec, s[14:15]
	s_load_dwordx4 s[48:51], s[4:5], 0x54
	v_add_u32_e32 v82, 3, v13
	v_add_u32_e32 v2, s9, v82
	s_abs_i32 s16, s8
	s_add_i32 s42, s42, s17
	v_cmp_gt_i32_e64 s[14:15], s21, v2
	s_and_saveexec_b64 s[36:37], s[14:15]
	s_cbranch_execz .LBB76_40
; %bb.33:
	s_and_saveexec_b64 s[38:39], s[10:11]
	s_cbranch_execz .LBB76_39
; %bb.34:
	v_mul_lo_u32 v2, v82, s27
	v_ashrrev_i32_e32 v3, 31, v2
	v_lshlrev_b64 v[2:3], 2, v[2:3]
	v_mov_b32_e32 v5, s44
	v_add_co_u32_e32 v4, vcc, s43, v2
	v_mov_b32_e32 v2, 0x100
	v_addc_co_u32_e32 v5, vcc, v5, v3, vcc
	v_lshl_add_u32 v6, v13, 2, v2
	v_mul_lo_u32 v2, v12, s26
	s_lshl_b32 s17, s26, 6
	s_mov_b64 s[26:27], 0
	v_mov_b32_e32 v7, v12
	s_branch .LBB76_36
.LBB76_35:                              ;   in Loop: Header=BB76_36 Depth=1
	s_or_b64 exec, exec, s[40:41]
	v_add_u32_e32 v7, 64, v7
	v_cmp_le_i32_e64 s[10:11], s22, v7
	s_xor_b64 s[18:19], vcc, -1
	s_or_b64 s[10:11], s[18:19], s[10:11]
	s_and_b64 s[10:11], exec, s[10:11]
	s_or_b64 s[26:27], s[10:11], s[26:27]
	v_add_u32_e32 v2, s17, v2
	s_andn2_b64 exec, exec, s[26:27]
	s_cbranch_execz .LBB76_38
.LBB76_36:                              ; =>This Inner Loop Header: Depth=1
	v_ashrrev_i32_e32 v3, 31, v2
	v_lshlrev_b64 v[8:9], 2, v[2:3]
	v_add_co_u32_e32 v8, vcc, v4, v8
	v_addc_co_u32_e32 v9, vcc, v5, v9, vcc
	global_load_dword v3, v[8:9], off
	s_waitcnt vmcnt(0)
	v_cmp_ne_u32_e32 vcc, s7, v3
	v_cmp_eq_u32_e64 s[10:11], s7, v3
	s_and_saveexec_b64 s[40:41], s[10:11]
	s_cbranch_execz .LBB76_35
; %bb.37:                               ;   in Loop: Header=BB76_36 Depth=1
	v_mov_b32_e32 v1, 1
	ds_write_b32 v6, v7 offset:12
	s_branch .LBB76_35
.LBB76_38:
	s_or_b64 exec, exec, s[26:27]
.LBB76_39:
	s_or_b64 exec, exec, s[38:39]
.LBB76_40:
	s_or_b64 exec, exec, s[36:37]
	s_load_dwordx2 s[18:19], s[34:35], 0xc
	s_load_dwordx4 s[36:39], s[4:5], 0x0
	s_load_dwordx2 s[40:41], s[4:5], 0x18
	v_cmp_ne_u32_e32 vcc, 0, v1
	v_cndmask_b32_e64 v1, 0, 1, vcc
	s_waitcnt lgkmcnt(0)
	s_lshr_b32 s5, s18, 16
	s_and_b32 s4, s18, 0xffff
	v_or_b32_dpp v1, v1, v1 row_shl:1 row_mask:0xf bank_mask:0xf bound_ctrl:1
	s_mul_i32 s17, s5, s4
	s_and_b32 s11, s19, 0xffff
	v_or_b32_dpp v1, v1, v1 row_shl:2 row_mask:0xf bank_mask:0xf bound_ctrl:1
	s_bfe_i32 s17, s17, 0x180000
	s_mul_i32 s11, s17, s11
	v_or_b32_dpp v1, v1, v1 row_shl:4 row_mask:0xf bank_mask:0xf bound_ctrl:1
	s_add_i32 s17, s11, 63
	s_bitcmp1_b32 exec_hi, 0
	v_or_b32_dpp v1, v1, v1 row_shl:8 row_mask:0xf bank_mask:0xf bound_ctrl:1
	s_mul_hi_u32 s10, s16, s42
	s_nop 0
	v_mov_b32_dpp v2, v1 wave_shl:1 row_mask:0xf bank_mask:0xf bound_ctrl:1
	s_nop 1
	v_or_b32_dpp v1, v2, v1 row_mirror row_mask:0xf bank_mask:0xf bound_ctrl:1
	v_readlane_b32 s11, v1, 32
	s_cselect_b32 s11, s11, 0
	v_readlane_b32 s18, v1, 0
	s_or_b32 s11, s11, s18
	s_andn2_b32 s17, s17, 63
	s_cmp_lg_u32 s17, 64
	v_mov_b32_e32 v1, s11
	s_cbranch_scc0 .LBB76_47
; %bb.41:
	v_bfe_u32 v0, v0, 20, 10
	v_mbcnt_lo_u32_b32 v1, -1, 0
	v_mad_u32_u24 v0, v0, s5, v13
	v_mbcnt_hi_u32_b32 v2, -1, v1
	v_mad_u64_u32 v[0:1], s[4:5], v0, s4, v[12:13]
	v_lshrrev_b32_e32 v1, 6, v0
	v_or_b32_e32 v1, v2, v1
	v_cmp_eq_u32_e32 vcc, 0, v1
	s_and_saveexec_b64 s[4:5], vcc
	s_cbranch_execz .LBB76_43
; %bb.42:
	v_mov_b32_e32 v1, 0
	v_mov_b32_e32 v3, s11
	ds_write_b32 v1, v3
.LBB76_43:
	s_or_b64 exec, exec, s[4:5]
	v_cmp_eq_u32_e32 vcc, 0, v2
	v_cmp_lt_u32_e64 s[4:5], 63, v0
	s_and_b64 s[18:19], s[4:5], vcc
	s_waitcnt lgkmcnt(0)
	; wave barrier
	s_waitcnt lgkmcnt(0)
	s_and_saveexec_b64 s[4:5], s[18:19]
	s_cbranch_execz .LBB76_46
; %bb.44:
	v_mbcnt_lo_u32_b32 v0, exec_lo, 0
	v_mbcnt_hi_u32_b32 v0, exec_hi, v0
	v_cmp_eq_u32_e32 vcc, 0, v0
	s_and_b64 exec, exec, vcc
	s_cbranch_execz .LBB76_46
; %bb.45:
	v_mov_b32_e32 v0, 0
	v_mov_b32_e32 v1, s11
	ds_or_b32 v0, v1
.LBB76_46:
	s_or_b64 exec, exec, s[4:5]
	v_mov_b32_e32 v0, 0
	s_waitcnt lgkmcnt(0)
	; wave barrier
	s_waitcnt lgkmcnt(0)
	ds_read_b32 v1, v0
	s_waitcnt lgkmcnt(0)
	; wave barrier
	s_waitcnt lgkmcnt(0)
.LBB76_47:
	v_cmp_ne_u32_e32 vcc, 0, v1
	s_ashr_i32 s11, s8, 31
	s_ashr_i32 s17, s31, 31
	s_cbranch_vccz .LBB76_86
; %bb.48:
	v_lshlrev_b32_e32 v83, 6, v13
	v_add_u32_e32 v84, v83, v12
	v_cmp_le_i32_e32 vcc, s20, v84
	v_and_b32_e32 v0, 15, v12
                                        ; implicit-def: $sgpr18
                                        ; implicit-def: $vgpr85
	s_and_saveexec_b64 s[4:5], vcc
	s_xor_b64 s[4:5], exec, s[4:5]
; %bb.49:
	v_mul_u32_u24_e32 v85, 0x108, v0
	s_mov_b32 s18, 0
                                        ; implicit-def: $vgpr84
                                        ; implicit-def: $vgpr0
; %bb.50:
	s_or_saveexec_b64 s[4:5], s[4:5]
	s_lshl_b32 s19, s6, 6
	v_accvgpr_write_b32 a0, s18
	v_accvgpr_write_b32 a1, s18
	;; [unrolled: 1-line block ×16, first 2 shown]
	s_xor_b64 exec, exec, s[4:5]
	s_cbranch_execz .LBB76_70
; %bb.51:
	s_xor_b32 s6, s11, s17
	s_mul_i32 s11, s10, s33
	s_sub_i32 s11, s16, s11
	s_add_i32 s16, s10, 1
	s_sub_i32 s17, s11, s33
	s_cmp_ge_u32 s11, s33
	s_cselect_b32 s10, s16, s10
	s_cselect_b32 s11, s17, s11
	s_add_i32 s16, s10, 1
	s_cmp_ge_u32 s11, s33
	s_cselect_b32 s10, s16, s10
	s_xor_b32 s10, s10, s6
	s_sub_i32 s6, s10, s6
                                        ; implicit-def: $vgpr100 : SGPR spill to VGPR lane
	s_mul_hi_i32 s11, s6, s48
	s_mul_i32 s10, s6, s48
	s_mul_i32 s6, s7, s28
	v_writelane_b32 v100, s40, 0
	s_ashr_i32 s7, s6, 31
	s_lshl_b64 s[10:11], s[10:11], 2
	v_writelane_b32 v100, s41, 1
	s_add_u32 s17, s36, s10
	v_writelane_b32 v100, s19, 2
	s_mul_i32 s16, s19, s23
	s_addc_u32 s22, s37, s11
	s_lshl_b64 s[18:19], s[6:7], 2
	s_add_u32 s6, s17, s18
	s_addc_u32 s7, s22, s19
	s_ashr_i32 s17, s16, 31
	s_lshl_b64 s[42:43], s[16:17], 2
	s_add_u32 s28, s6, s42
	s_movk_i32 s6, 0x1080
	v_mov_b32_e32 v86, 0x100
	s_addc_u32 s22, s7, s43
	v_mad_u32_u24 v1, v13, s6, v86
	s_mul_hi_i32 s7, s49, s8
	v_writelane_b32 v100, s48, 3
	s_mul_i32 s6, s49, s8
	s_lshl_b64 s[6:7], s[6:7], 2
	s_mul_hi_i32 s17, s9, s24
	s_mul_i32 s16, s9, s24
	s_add_u32 s26, s38, s6
	s_addc_u32 s27, s39, s7
	s_lshl_b64 s[6:7], s[16:17], 2
	s_add_u32 s31, s26, s6
	s_addc_u32 s33, s27, s7
	s_cmp_lt_i32 s9, s21
	s_cselect_b64 s[6:7], -1, 0
	s_or_b32 s16, s9, 1
	s_cmp_lt_i32 s16, s21
	s_cselect_b64 s[16:17], -1, 0
	s_or_b32 s26, s9, 2
	s_cmp_lt_i32 s26, s21
	s_cselect_b64 s[26:27], -1, 0
	s_lshl_b32 s40, s24, 1
	s_or_b32 s34, s9, 3
	s_cmp_lt_i32 s34, s21
	s_cselect_b64 s[34:35], -1, 0
	s_ashr_i32 s39, s23, 31
	s_mov_b32 s38, s23
	s_lshl_b64 s[38:39], s[38:39], 2
	s_add_u32 s10, s10, s42
	s_addc_u32 s11, s11, s43
	s_add_u32 s10, s10, s18
	v_mul_u32_u24_e32 v85, 0x108, v0
	v_lshrrev_b32_e32 v0, 1, v12
	s_addc_u32 s11, s11, s19
	v_and_b32_e32 v0, 0x1f8, v0
	s_add_u32 s10, s36, s10
	v_writelane_b32 v100, s49, 4
	v_add3_u32 v88, v1, v85, v0
	v_lshlrev_b32_e32 v0, 2, v84
	s_addc_u32 s11, s37, s11
	v_writelane_b32 v100, s50, 5
	v_lshl_add_u32 v87, v12, 2, v1
	v_mov_b32_e32 v1, s11
	v_add_co_u32_e32 v14, vcc, s10, v0
	v_writelane_b32 v100, s51, 6
	s_mul_i32 s21, s24, 3
	v_mov_b32_e32 v89, 0
	v_addc_co_u32_e32 v15, vcc, 0, v1, vcc
	s_lshl_b32 s36, s23, 1
	s_mul_i32 s37, s23, 3
	s_lshl_b32 s41, s23, 2
	s_mul_i32 s42, s23, 5
	s_mul_i32 s43, s23, 6
	s_mul_i32 s44, s23, 7
	s_lshl_b32 s45, s23, 3
	s_mul_i32 s46, s23, 9
	s_mul_i32 s47, s23, 10
	;; [unrolled: 1-line block ×7, first 2 shown]
	s_lshl_b32 s53, s23, 4
	s_mul_i32 s54, s23, 17
	s_mul_i32 s55, s23, 18
	;; [unrolled: 1-line block ×15, first 2 shown]
	s_lshl_b32 s69, s23, 5
	s_mul_i32 s70, s23, 33
	s_mul_i32 s71, s23, 34
	;; [unrolled: 1-line block ×12, first 2 shown]
	v_mov_b32_e32 v90, s22
	s_mul_i32 s82, s23, 45
	v_accvgpr_write_b32 a15, 0
	v_accvgpr_write_b32 a14, 0
	;; [unrolled: 1-line block ×16, first 2 shown]
	v_mov_b32_e32 v91, s39
	s_mul_i32 s39, s23, 46
	s_mul_i32 s83, s23, 47
	;; [unrolled: 1-line block ×18, first 2 shown]
	s_mov_b64 s[22:23], 0
	s_branch .LBB76_54
.LBB76_52:                              ;   in Loop: Header=BB76_54 Depth=1
	v_mul_lo_u32 v92, v92, s29
	v_add_u32_e32 v92, s21, v92
	v_add_u32_e32 v92, v92, v84
	v_ashrrev_i32_e32 v93, 31, v92
	v_lshlrev_b64 v[92:93], 2, v[92:93]
	v_mov_b32_e32 v94, s33
	v_add_co_u32_e32 v92, vcc, s31, v92
	v_addc_co_u32_e32 v93, vcc, v94, v93, vcc
	global_load_dword v92, v[92:93], off
.LBB76_53:                              ;   in Loop: Header=BB76_54 Depth=1
	v_add_u32_e32 v93, 0x200, v87
	s_waitcnt vmcnt(0)
	ds_write2_b32 v93, v92, v89 offset0:86 offset1:152
	v_add_u32_e32 v92, 0x400, v87
	ds_write2_b32 v92, v89, v89 offset0:90 offset1:156
	v_add_u32_e32 v92, 0x600, v87
	;; [unrolled: 2-line block ×5, first 2 shown]
	ds_write2_b32 v92, v89, v89 offset0:106 offset1:172
	ds_write_b32 v87, v89 offset:4024
	ds_read2_b64 v[92:95], v88 offset0:8 offset1:12
	v_accvgpr_write_b32 a7, v3
	v_accvgpr_write_b32 a6, v2
	v_accvgpr_write_b32 a5, v1
	v_accvgpr_write_b32 a4, v0
	v_accvgpr_write_b32 a11, v7
	v_accvgpr_write_b32 a15, v11
	s_waitcnt lgkmcnt(0)
	v_mfma_f32_16x16x4f32 a[4:7], v44, v92, a[4:7]
	v_accvgpr_write_b32 a10, v6
	v_accvgpr_write_b32 a9, v5
	;; [unrolled: 1-line block ×6, first 2 shown]
	ds_read2_b64 v[0:3], v88 offset0:16 offset1:20
	v_mfma_f32_16x16x4f32 a[8:11], v56, v92, a[8:11]
	v_add_co_u32_e32 v14, vcc, 0x100, v14
	v_add_u32_e32 v84, 64, v84
	v_addc_co_u32_e32 v15, vcc, 0, v15, vcc
	v_cmp_le_i32_e32 vcc, s20, v84
	s_or_b64 s[22:23], vcc, s[22:23]
	v_mfma_f32_16x16x4f32 a[12:15], v62, v92, a[12:15]
	v_mfma_f32_16x16x4f32 a[0:3], v78, v92, a[0:3]
	;; [unrolled: 1-line block ×14, first 2 shown]
	s_waitcnt lgkmcnt(0)
	v_mfma_f32_16x16x4f32 a[4:7], v32, v0, a[4:7]
	v_mfma_f32_16x16x4f32 a[8:11], v48, v0, a[8:11]
	;; [unrolled: 1-line block ×16, first 2 shown]
	ds_read2_b64 v[0:3], v88 offset0:24 offset1:28
	s_waitcnt lgkmcnt(0)
	v_mfma_f32_16x16x4f32 a[4:7], v24, v0, a[4:7]
	v_mfma_f32_16x16x4f32 a[8:11], v36, v0, a[8:11]
	;; [unrolled: 1-line block ×16, first 2 shown]
	ds_read2_b64 v[0:3], v88 offset0:32 offset1:36
	s_waitcnt lgkmcnt(0)
	v_mfma_f32_16x16x4f32 a[4:7], v18, v0, a[4:7]
	v_mfma_f32_16x16x4f32 a[4:7], v19, v1, a[4:7]
	;; [unrolled: 1-line block ×16, first 2 shown]
	s_andn2_b64 exec, exec, s[22:23]
	s_cbranch_execz .LBB76_69
.LBB76_54:                              ; =>This Inner Loop Header: Depth=1
	v_add_co_u32_e32 v0, vcc, s38, v14
	v_addc_co_u32_e32 v1, vcc, v15, v91, vcc
	global_load_dword v20, v[14:15], off
	global_load_dword v21, v[0:1], off
	v_add_u32_e32 v0, s36, v84
	v_ashrrev_i32_e32 v1, 31, v0
	v_lshlrev_b64 v[0:1], 2, v[0:1]
	v_add_u32_e32 v2, s37, v84
	v_add_co_u32_e32 v0, vcc, s28, v0
	v_ashrrev_i32_e32 v3, 31, v2
	v_addc_co_u32_e32 v1, vcc, v90, v1, vcc
	v_lshlrev_b64 v[2:3], 2, v[2:3]
	v_add_u32_e32 v4, s41, v84
	v_add_co_u32_e32 v2, vcc, s28, v2
	v_ashrrev_i32_e32 v5, 31, v4
	v_addc_co_u32_e32 v3, vcc, v90, v3, vcc
	v_lshlrev_b64 v[4:5], 2, v[4:5]
	v_add_u32_e32 v6, s42, v84
	v_add_co_u32_e32 v4, vcc, s28, v4
	v_ashrrev_i32_e32 v7, 31, v6
	v_addc_co_u32_e32 v5, vcc, v90, v5, vcc
	v_lshlrev_b64 v[6:7], 2, v[6:7]
	v_add_u32_e32 v8, s43, v84
	v_add_co_u32_e32 v6, vcc, s28, v6
	v_ashrrev_i32_e32 v9, 31, v8
	v_addc_co_u32_e32 v7, vcc, v90, v7, vcc
	v_lshlrev_b64 v[8:9], 2, v[8:9]
	v_add_u32_e32 v10, s44, v84
	v_add_co_u32_e32 v8, vcc, s28, v8
	v_ashrrev_i32_e32 v11, 31, v10
	v_addc_co_u32_e32 v9, vcc, v90, v9, vcc
	v_lshlrev_b64 v[10:11], 2, v[10:11]
	v_add_co_u32_e32 v10, vcc, s28, v10
	v_addc_co_u32_e32 v11, vcc, v90, v11, vcc
	global_load_dword v22, v[0:1], off
	global_load_dword v23, v[2:3], off
	;; [unrolled: 1-line block ×6, first 2 shown]
	v_add_u32_e32 v16, s45, v84
	v_ashrrev_i32_e32 v17, 31, v16
	v_add_u32_e32 v18, s46, v84
	v_lshlrev_b64 v[16:17], 2, v[16:17]
	v_ashrrev_i32_e32 v19, 31, v18
	v_add_co_u32_e32 v16, vcc, s28, v16
	v_lshlrev_b64 v[18:19], 2, v[18:19]
	v_addc_co_u32_e32 v17, vcc, v90, v17, vcc
	v_add_co_u32_e32 v18, vcc, s28, v18
	v_addc_co_u32_e32 v19, vcc, v90, v19, vcc
	v_add_u32_e32 v28, s52, v84
	v_ashrrev_i32_e32 v29, 31, v28
	v_lshlrev_b64 v[28:29], 2, v[28:29]
	v_add_u32_e32 v30, s53, v84
	v_ashrrev_i32_e32 v31, 31, v30
	v_lshlrev_b64 v[30:31], 2, v[30:31]
	;; [unrolled: 3-line block ×6, first 2 shown]
	s_waitcnt vmcnt(7)
	ds_write_b32 v87, v20 offset:64
	s_waitcnt vmcnt(6)
	ds_write_b32 v87, v21 offset:328
	global_load_dword v16, v[16:17], off
	s_nop 0
	global_load_dword v17, v[18:19], off
	v_add_u32_e32 v18, s47, v84
	v_ashrrev_i32_e32 v19, 31, v18
	v_lshlrev_b64 v[18:19], 2, v[18:19]
	v_add_u32_e32 v20, s48, v84
	v_add_co_u32_e32 v18, vcc, s28, v18
	v_ashrrev_i32_e32 v21, 31, v20
	v_addc_co_u32_e32 v19, vcc, v90, v19, vcc
	v_lshlrev_b64 v[20:21], 2, v[20:21]
	s_waitcnt vmcnt(7)
	ds_write_b32 v87, v22 offset:592
	s_waitcnt vmcnt(6)
	ds_write_b32 v87, v23 offset:856
	;; [unrolled: 2-line block ×6, first 2 shown]
	v_add_u32_e32 v22, s49, v84
	v_add_co_u32_e32 v20, vcc, s28, v20
	v_ashrrev_i32_e32 v23, 31, v22
	v_addc_co_u32_e32 v21, vcc, v90, v21, vcc
	v_lshlrev_b64 v[22:23], 2, v[22:23]
	v_add_u32_e32 v24, s50, v84
	v_add_co_u32_e32 v22, vcc, s28, v22
	v_ashrrev_i32_e32 v25, 31, v24
	v_addc_co_u32_e32 v23, vcc, v90, v23, vcc
	v_lshlrev_b64 v[24:25], 2, v[24:25]
	;; [unrolled: 5-line block ×3, first 2 shown]
	v_add_co_u32_e32 v26, vcc, s28, v26
	v_addc_co_u32_e32 v27, vcc, v90, v27, vcc
	v_add_co_u32_e32 v28, vcc, s28, v28
	v_addc_co_u32_e32 v29, vcc, v90, v29, vcc
	;; [unrolled: 2-line block ×4, first 2 shown]
	global_load_dword v18, v[18:19], off
	s_nop 0
	global_load_dword v19, v[20:21], off
	s_nop 0
	global_load_dword v20, v[22:23], off
	global_load_dword v21, v[24:25], off
	s_nop 0
	global_load_dword v24, v[26:27], off
	global_load_dword v25, v[28:29], off
	global_load_dword v22, v[30:31], off
	global_load_dword v23, v[32:33], off
	v_add_u32_e32 v26, s55, v84
	v_ashrrev_i32_e32 v27, 31, v26
	v_lshlrev_b64 v[26:27], 2, v[26:27]
	v_add_u32_e32 v28, s56, v84
	v_add_co_u32_e32 v26, vcc, s28, v26
	v_ashrrev_i32_e32 v29, 31, v28
	v_addc_co_u32_e32 v27, vcc, v90, v27, vcc
	v_lshlrev_b64 v[28:29], 2, v[28:29]
	v_add_u32_e32 v30, s57, v84
	v_add_co_u32_e32 v28, vcc, s28, v28
	v_ashrrev_i32_e32 v31, 31, v30
	v_addc_co_u32_e32 v29, vcc, v90, v29, vcc
	;; [unrolled: 5-line block ×3, first 2 shown]
	v_lshlrev_b64 v[32:33], 2, v[32:33]
	v_add_co_u32_e32 v32, vcc, s28, v32
	v_addc_co_u32_e32 v33, vcc, v90, v33, vcc
	v_add_co_u32_e32 v34, vcc, s28, v34
	v_addc_co_u32_e32 v35, vcc, v90, v35, vcc
	;; [unrolled: 2-line block ×3, first 2 shown]
	v_add_u32_e32 v40, s62, v84
	v_add_co_u32_e32 v38, vcc, s28, v38
	v_ashrrev_i32_e32 v41, 31, v40
	v_addc_co_u32_e32 v39, vcc, v90, v39, vcc
	v_lshlrev_b64 v[40:41], 2, v[40:41]
	v_add_co_u32_e32 v40, vcc, s28, v40
	v_addc_co_u32_e32 v41, vcc, v90, v41, vcc
	global_load_dword v26, v[26:27], off
	s_nop 0
	global_load_dword v27, v[28:29], off
	s_nop 0
	;; [unrolled: 2-line block ×6, first 2 shown]
	global_load_dword v36, v[38:39], off
	global_load_dword v37, v[40:41], off
	v_add_u32_e32 v28, s63, v84
	v_ashrrev_i32_e32 v29, 31, v28
	v_lshlrev_b64 v[28:29], 2, v[28:29]
	v_add_u32_e32 v32, s64, v84
	v_add_co_u32_e32 v28, vcc, s28, v28
	v_ashrrev_i32_e32 v33, 31, v32
	v_addc_co_u32_e32 v29, vcc, v90, v29, vcc
	v_lshlrev_b64 v[32:33], 2, v[32:33]
	v_add_u32_e32 v38, s65, v84
	v_add_co_u32_e32 v32, vcc, s28, v32
	v_ashrrev_i32_e32 v39, 31, v38
	v_addc_co_u32_e32 v33, vcc, v90, v33, vcc
	;; [unrolled: 5-line block ×4, first 2 shown]
	v_lshlrev_b64 v[42:43], 2, v[42:43]
	v_add_co_u32_e32 v44, vcc, s28, v42
	v_add_u32_e32 v42, s68, v84
	v_addc_co_u32_e32 v45, vcc, v90, v43, vcc
	v_ashrrev_i32_e32 v43, 31, v42
	v_lshlrev_b64 v[42:43], 2, v[42:43]
	v_add_co_u32_e32 v50, vcc, s28, v42
	v_add_u32_e32 v42, s69, v84
	v_addc_co_u32_e32 v51, vcc, v90, v43, vcc
	v_ashrrev_i32_e32 v43, 31, v42
	;; [unrolled: 5-line block ×3, first 2 shown]
	v_lshlrev_b64 v[42:43], 2, v[42:43]
	v_add_co_u32_e32 v54, vcc, s28, v42
	v_addc_co_u32_e32 v55, vcc, v90, v43, vcc
	global_load_dword v42, v[28:29], off
	global_load_dword v43, v[32:33], off
	;; [unrolled: 1-line block ×6, first 2 shown]
	s_nop 0
	global_load_dword v40, v[52:53], off
	global_load_dword v41, v[54:55], off
	v_add_u32_e32 v28, s71, v84
	v_ashrrev_i32_e32 v29, 31, v28
	v_lshlrev_b64 v[28:29], 2, v[28:29]
	v_add_u32_e32 v32, s72, v84
	v_add_co_u32_e32 v28, vcc, s28, v28
	v_ashrrev_i32_e32 v33, 31, v32
	v_addc_co_u32_e32 v29, vcc, v90, v29, vcc
	v_lshlrev_b64 v[32:33], 2, v[32:33]
	v_add_u32_e32 v38, s73, v84
	v_add_co_u32_e32 v32, vcc, s28, v32
	v_ashrrev_i32_e32 v39, 31, v38
	v_addc_co_u32_e32 v33, vcc, v90, v33, vcc
	v_lshlrev_b64 v[38:39], 2, v[38:39]
	v_add_u32_e32 v44, s74, v84
	v_add_co_u32_e32 v38, vcc, s28, v38
	v_ashrrev_i32_e32 v45, 31, v44
	v_addc_co_u32_e32 v39, vcc, v90, v39, vcc
	v_lshlrev_b64 v[44:45], 2, v[44:45]
	v_add_u32_e32 v50, s75, v84
	v_add_co_u32_e32 v44, vcc, s28, v44
	v_ashrrev_i32_e32 v51, 31, v50
	v_addc_co_u32_e32 v45, vcc, v90, v45, vcc
	v_lshlrev_b64 v[50:51], 2, v[50:51]
	v_add_u32_e32 v52, s76, v84
	v_add_co_u32_e32 v50, vcc, s28, v50
	v_ashrrev_i32_e32 v53, 31, v52
	v_addc_co_u32_e32 v51, vcc, v90, v51, vcc
	v_lshlrev_b64 v[52:53], 2, v[52:53]
	v_add_u32_e32 v54, s77, v84
	v_add_co_u32_e32 v52, vcc, s28, v52
	v_ashrrev_i32_e32 v55, 31, v54
	v_addc_co_u32_e32 v53, vcc, v90, v53, vcc
	v_lshlrev_b64 v[54:55], 2, v[54:55]
	v_add_u32_e32 v56, s78, v84
	v_add_co_u32_e32 v54, vcc, s28, v54
	v_ashrrev_i32_e32 v57, 31, v56
	v_addc_co_u32_e32 v55, vcc, v90, v55, vcc
	v_lshlrev_b64 v[56:57], 2, v[56:57]
	v_add_co_u32_e32 v56, vcc, s28, v56
	v_addc_co_u32_e32 v57, vcc, v90, v57, vcc
	global_load_dword v58, v[28:29], off
	global_load_dword v59, v[32:33], off
	global_load_dword v60, v[38:39], off
	global_load_dword v61, v[44:45], off
	global_load_dword v62, v[50:51], off
	global_load_dword v63, v[52:53], off
	global_load_dword v64, v[54:55], off
	global_load_dword v65, v[56:57], off
	v_add_u32_e32 v28, s79, v84
	v_ashrrev_i32_e32 v29, 31, v28
	v_lshlrev_b64 v[28:29], 2, v[28:29]
	v_add_u32_e32 v32, s80, v84
	v_add_co_u32_e32 v28, vcc, s28, v28
	v_ashrrev_i32_e32 v33, 31, v32
	v_addc_co_u32_e32 v29, vcc, v90, v29, vcc
	v_lshlrev_b64 v[32:33], 2, v[32:33]
	v_add_u32_e32 v38, s81, v84
	v_add_co_u32_e32 v32, vcc, s28, v32
	v_ashrrev_i32_e32 v39, 31, v38
	v_addc_co_u32_e32 v33, vcc, v90, v33, vcc
	v_lshlrev_b64 v[38:39], 2, v[38:39]
	v_add_u32_e32 v44, s82, v84
	v_add_co_u32_e32 v38, vcc, s28, v38
	v_ashrrev_i32_e32 v45, 31, v44
	v_addc_co_u32_e32 v39, vcc, v90, v39, vcc
	v_lshlrev_b64 v[44:45], 2, v[44:45]
	v_add_u32_e32 v50, s39, v84
	v_add_co_u32_e32 v44, vcc, s28, v44
	v_ashrrev_i32_e32 v51, 31, v50
	v_addc_co_u32_e32 v45, vcc, v90, v45, vcc
	v_lshlrev_b64 v[50:51], 2, v[50:51]
	v_add_u32_e32 v52, s83, v84
	v_add_co_u32_e32 v50, vcc, s28, v50
	v_ashrrev_i32_e32 v53, 31, v52
	v_addc_co_u32_e32 v51, vcc, v90, v51, vcc
	v_lshlrev_b64 v[52:53], 2, v[52:53]
	v_add_u32_e32 v54, s84, v84
	v_add_co_u32_e32 v52, vcc, s28, v52
	v_ashrrev_i32_e32 v55, 31, v54
	v_addc_co_u32_e32 v53, vcc, v90, v53, vcc
	v_lshlrev_b64 v[54:55], 2, v[54:55]
	v_add_u32_e32 v56, s85, v84
	v_add_co_u32_e32 v54, vcc, s28, v54
	v_ashrrev_i32_e32 v57, 31, v56
	v_addc_co_u32_e32 v55, vcc, v90, v55, vcc
	v_lshlrev_b64 v[56:57], 2, v[56:57]
	v_add_co_u32_e32 v56, vcc, s28, v56
	v_addc_co_u32_e32 v57, vcc, v90, v57, vcc
	global_load_dword v66, v[28:29], off
	global_load_dword v67, v[32:33], off
	global_load_dword v68, v[38:39], off
	global_load_dword v69, v[44:45], off
	global_load_dword v70, v[50:51], off
	global_load_dword v71, v[52:53], off
	;; [unrolled: 48-line block ×3, first 2 shown]
	global_load_dword v92, v[54:55], off
	global_load_dword v93, v[56:57], off
	v_add_u32_e32 v28, s94, v84
	v_ashrrev_i32_e32 v29, 31, v28
	v_lshlrev_b64 v[28:29], 2, v[28:29]
	v_add_u32_e32 v32, s95, v84
	v_add_co_u32_e32 v28, vcc, s28, v28
	v_ashrrev_i32_e32 v33, 31, v32
	v_addc_co_u32_e32 v29, vcc, v90, v29, vcc
	v_lshlrev_b64 v[32:33], 2, v[32:33]
	v_add_u32_e32 v38, s10, v84
	v_add_co_u32_e32 v32, vcc, s28, v32
	v_ashrrev_i32_e32 v39, 31, v38
	v_addc_co_u32_e32 v33, vcc, v90, v33, vcc
	;; [unrolled: 5-line block ×5, first 2 shown]
	v_lshlrev_b64 v[52:53], 2, v[52:53]
	v_add_co_u32_e32 v52, vcc, s28, v52
	v_addc_co_u32_e32 v53, vcc, v90, v53, vcc
	global_load_dword v94, v[28:29], off
	global_load_dword v95, v[32:33], off
	;; [unrolled: 1-line block ×6, first 2 shown]
	s_waitcnt vmcnt(55)
	ds_write_b32 v87, v16 offset:2176
	s_waitcnt vmcnt(54)
	ds_write_b32 v87, v17 offset:2440
	s_waitcnt vmcnt(53)
	ds_write_b32 v87, v18 offset:2704
	s_waitcnt vmcnt(52)
	ds_write_b32 v87, v19 offset:2968
	s_waitcnt vmcnt(51)
	ds_write_b32 v87, v20 offset:3232
	s_waitcnt vmcnt(50)
	ds_write_b32 v87, v21 offset:3496
	s_waitcnt vmcnt(49)
	ds_write_b32 v87, v24 offset:3760
	s_waitcnt vmcnt(48)
	ds_write_b32 v87, v25 offset:4024
	ds_read_b64 v[44:45], v88 offset:64
	ds_read_b64 v[38:39], v88 offset:96
	ds_read_b64 v[32:33], v88 offset:128
	ds_read_b64 v[28:29], v88 offset:160
	ds_read_b64 v[24:25], v88 offset:192
	ds_read_b64 v[20:21], v88 offset:224
	ds_read_b64 v[18:19], v88 offset:256
	ds_read_b64 v[16:17], v88 offset:288
	s_waitcnt vmcnt(47)
	ds_write_b32 v87, v22 offset:64
	s_waitcnt vmcnt(46)
	ds_write_b32 v87, v23 offset:328
	s_waitcnt vmcnt(45)
	ds_write_b32 v87, v26 offset:592
	s_waitcnt vmcnt(44)
	ds_write_b32 v87, v27 offset:856
	s_waitcnt vmcnt(43)
	ds_write_b32 v87, v30 offset:1120
	s_waitcnt vmcnt(42)
	ds_write_b32 v87, v31 offset:1384
	s_waitcnt vmcnt(41)
	ds_write_b32 v87, v34 offset:1648
	s_waitcnt vmcnt(40)
	ds_write_b32 v87, v35 offset:1912
	s_waitcnt vmcnt(39)
	ds_write_b32 v87, v36 offset:2176
	s_waitcnt vmcnt(38)
	ds_write_b32 v87, v37 offset:2440
	s_waitcnt vmcnt(37)
	ds_write_b32 v87, v42 offset:2704
	s_waitcnt vmcnt(36)
	ds_write_b32 v87, v43 offset:2968
	s_waitcnt vmcnt(35)
	ds_write_b32 v87, v46 offset:3232
	s_waitcnt vmcnt(34)
	ds_write_b32 v87, v47 offset:3496
	s_waitcnt vmcnt(33)
	ds_write_b32 v87, v48 offset:3760
	s_waitcnt vmcnt(32)
	ds_write_b32 v87, v49 offset:4024
	ds_read_b64 v[56:57], v88 offset:64
	ds_read_b64 v[52:53], v88 offset:96
	ds_read_b64 v[48:49], v88 offset:128
	ds_read_b64 v[42:43], v88 offset:160
	ds_read_b64 v[36:37], v88 offset:192
	ds_read_b64 v[30:31], v88 offset:224
	ds_read_b64 v[26:27], v88 offset:256
	ds_read_b64 v[22:23], v88 offset:288
	s_waitcnt vmcnt(31)
	ds_write_b32 v87, v40 offset:64
	s_waitcnt vmcnt(30)
	ds_write_b32 v87, v41 offset:328
	s_waitcnt vmcnt(29)
	ds_write_b32 v87, v58 offset:592
	s_waitcnt vmcnt(28)
	ds_write_b32 v87, v59 offset:856
	s_waitcnt vmcnt(27)
	ds_write_b32 v87, v60 offset:1120
	s_waitcnt vmcnt(26)
	ds_write_b32 v87, v61 offset:1384
	s_waitcnt vmcnt(25)
	ds_write_b32 v87, v62 offset:1648
	s_waitcnt vmcnt(24)
	ds_write_b32 v87, v63 offset:1912
	;; [unrolled: 40-line block ×3, first 2 shown]
	s_waitcnt vmcnt(7)
	ds_write_b32 v87, v92 offset:2176
	s_waitcnt vmcnt(6)
	ds_write_b32 v87, v93 offset:2440
	;; [unrolled: 2-line block ×8, first 2 shown]
	ds_read_b64 v[78:79], v88 offset:64
	ds_read_b64 v[76:77], v88 offset:96
	;; [unrolled: 1-line block ×8, first 2 shown]
	v_accvgpr_read_b32 v3, a15
	v_accvgpr_read_b32 v2, a14
	;; [unrolled: 1-line block ×12, first 2 shown]
	s_andn2_b64 vcc, exec, s[6:7]
	v_mov_b32_e32 v92, 0
	s_cbranch_vccnz .LBB76_58
; %bb.55:                               ;   in Loop: Header=BB76_54 Depth=1
	ds_read_b32 v92, v86
	s_waitcnt lgkmcnt(0)
	v_cmp_gt_i32_e32 vcc, 0, v92
	s_cbranch_vccnz .LBB76_57
; %bb.56:                               ;   in Loop: Header=BB76_54 Depth=1
	v_mul_lo_u32 v92, v92, s29
	v_add_u32_e32 v92, v84, v92
	v_ashrrev_i32_e32 v93, 31, v92
	v_lshlrev_b64 v[92:93], 2, v[92:93]
	v_mov_b32_e32 v94, s33
	v_add_co_u32_e32 v92, vcc, s31, v92
	v_addc_co_u32_e32 v93, vcc, v94, v93, vcc
	global_load_dword v92, v[92:93], off
	s_branch .LBB76_58
.LBB76_57:                              ;   in Loop: Header=BB76_54 Depth=1
	v_mov_b32_e32 v92, 0
.LBB76_58:                              ;   in Loop: Header=BB76_54 Depth=1
	s_waitcnt vmcnt(0)
	ds_write_b32 v87, v92 offset:64
	s_andn2_b64 vcc, exec, s[16:17]
	v_mov_b32_e32 v92, 0
	v_mov_b32_e32 v93, 0
	s_cbranch_vccz .LBB76_61
; %bb.59:                               ;   in Loop: Header=BB76_54 Depth=1
	s_andn2_b64 vcc, exec, s[26:27]
	ds_write_b32 v87, v93 offset:328
	s_cbranch_vccz .LBB76_64
.LBB76_60:                              ;   in Loop: Header=BB76_54 Depth=1
	ds_write_b32 v87, v92 offset:592
	s_andn2_b64 vcc, exec, s[34:35]
	v_mov_b32_e32 v92, 0
	s_cbranch_vccnz .LBB76_53
	s_branch .LBB76_67
.LBB76_61:                              ;   in Loop: Header=BB76_54 Depth=1
	ds_read_b32 v93, v86 offset:4
	s_waitcnt lgkmcnt(0)
	v_cmp_gt_i32_e32 vcc, 0, v93
	s_cbranch_vccnz .LBB76_63
; %bb.62:                               ;   in Loop: Header=BB76_54 Depth=1
	v_mul_lo_u32 v93, v93, s29
	v_add_u32_e32 v93, s24, v93
	v_add_u32_e32 v94, v93, v84
	v_ashrrev_i32_e32 v95, 31, v94
	v_lshlrev_b64 v[94:95], 2, v[94:95]
	v_mov_b32_e32 v93, s33
	v_add_co_u32_e32 v94, vcc, s31, v94
	v_addc_co_u32_e32 v95, vcc, v93, v95, vcc
	global_load_dword v93, v[94:95], off
	s_andn2_b64 vcc, exec, s[26:27]
	s_waitcnt vmcnt(0)
	ds_write_b32 v87, v93 offset:328
	s_cbranch_vccnz .LBB76_60
	s_branch .LBB76_64
.LBB76_63:                              ;   in Loop: Header=BB76_54 Depth=1
	v_mov_b32_e32 v93, 0
	s_andn2_b64 vcc, exec, s[26:27]
	ds_write_b32 v87, v93 offset:328
	s_cbranch_vccnz .LBB76_60
.LBB76_64:                              ;   in Loop: Header=BB76_54 Depth=1
	ds_read_b32 v92, v86 offset:8
	s_waitcnt lgkmcnt(0)
	v_cmp_gt_i32_e32 vcc, 0, v92
	s_cbranch_vccnz .LBB76_66
; %bb.65:                               ;   in Loop: Header=BB76_54 Depth=1
	v_mul_lo_u32 v92, v92, s29
	v_add_u32_e32 v92, s40, v92
	v_add_u32_e32 v92, v92, v84
	v_ashrrev_i32_e32 v93, 31, v92
	v_lshlrev_b64 v[92:93], 2, v[92:93]
	v_mov_b32_e32 v94, s33
	v_add_co_u32_e32 v92, vcc, s31, v92
	v_addc_co_u32_e32 v93, vcc, v94, v93, vcc
	global_load_dword v92, v[92:93], off
	s_waitcnt vmcnt(0)
	ds_write_b32 v87, v92 offset:592
	s_andn2_b64 vcc, exec, s[34:35]
	v_mov_b32_e32 v92, 0
	s_cbranch_vccnz .LBB76_53
	s_branch .LBB76_67
.LBB76_66:                              ;   in Loop: Header=BB76_54 Depth=1
	v_mov_b32_e32 v92, 0
	ds_write_b32 v87, v92 offset:592
	s_andn2_b64 vcc, exec, s[34:35]
	v_mov_b32_e32 v92, 0
	s_cbranch_vccnz .LBB76_53
.LBB76_67:                              ;   in Loop: Header=BB76_54 Depth=1
	ds_read_b32 v92, v86 offset:12
	s_waitcnt lgkmcnt(0)
	v_cmp_gt_i32_e32 vcc, 0, v92
	s_cbranch_vccz .LBB76_52
; %bb.68:                               ;   in Loop: Header=BB76_54 Depth=1
	v_mov_b32_e32 v92, 0
	s_branch .LBB76_53
.LBB76_69:
	s_or_b64 exec, exec, s[22:23]
	v_readlane_b32 s48, v100, 3
	v_readlane_b32 s40, v100, 0
	;; [unrolled: 1-line block ×7, first 2 shown]
.LBB76_70:
	s_or_b64 exec, exec, s[4:5]
	s_movk_i32 s4, 0x100
	v_lshlrev_b32_e32 v0, 2, v83
	v_add3_u32 v0, s4, v85, v0
	v_and_b32_e32 v2, 0x3f0, v12
	v_add_u32_e32 v3, v0, v2
	ds_write2_b32 v3, a12, a13 offset0:16 offset1:17
	v_or_b32_e32 v3, 12, v12
	v_add_u32_e32 v1, 64, v0
	v_and_b32_e32 v3, 0x3fc, v3
	v_add_u32_e32 v2, v1, v2
	v_add_u32_e32 v0, v0, v3
	ds_write_b32 v2, a14 offset:8
	ds_write_b32 v0, a15 offset:64
	ds_write2_b32 v2, a8, a9 offset0:16 offset1:17
	ds_write_b32 v2, a10 offset:72
	v_add_u32_e32 v0, v1, v3
	ds_write_b32 v0, a11 offset:64
	ds_write2_b32 v2, a4, a5 offset0:32 offset1:33
	ds_write_b32 v2, a6 offset:136
	ds_write_b32 v0, a7 offset:128
	ds_write2_b32 v2, a0, a1 offset0:48 offset1:49
	ds_write_b32 v2, a2 offset:200
	ds_write_b32 v0, a3 offset:192
	v_mov_b32_e32 v0, 0x100
	v_lshl_add_u32 v1, v12, 2, v0
	s_movk_i32 s4, 0x108
	v_mad_u32_u24 v2, v13, s4, v1
	ds_read_b32 v3, v2 offset:64
	v_cmp_gt_u32_e32 vcc, 4, v13
	v_mov_b32_e32 v4, -1
	s_and_saveexec_b64 s[4:5], vcc
	s_cbranch_execz .LBB76_72
; %bb.71:
	v_lshl_add_u32 v0, v13, 2, v0
	ds_read_b32 v4, v0
.LBB76_72:
	s_or_b64 exec, exec, s[4:5]
	s_mul_hi_i32 s5, s50, s8
	s_mul_i32 s4, s50, s8
	s_lshl_b64 s[4:5], s[4:5], 2
	s_mul_hi_i32 s7, s9, s25
	s_mul_i32 s6, s9, s25
	s_add_u32 s8, s40, s4
	s_addc_u32 s9, s41, s5
	s_lshl_b64 s[4:5], s[6:7], 2
	s_add_u32 s4, s8, s4
	s_waitcnt lgkmcnt(0)
	v_cmp_lt_i32_e32 vcc, -1, v4
	v_mul_u32_u24_e32 v2, 0x108, v13
	v_add_u32_e32 v0, s19, v12
	s_addc_u32 s5, s9, s5
	s_and_b64 s[6:7], vcc, s[0:1]
	s_and_saveexec_b64 s[0:1], s[6:7]
	s_cbranch_execz .LBB76_74
; %bb.73:
	v_mul_lo_u32 v4, v4, s30
	v_mul_lo_u32 v5, v13, s25
	v_add3_u32 v4, v0, v5, v4
	v_mov_b32_e32 v5, 0
	v_lshlrev_b64 v[4:5], 2, v[4:5]
	v_mov_b32_e32 v6, s5
	v_add_co_u32_e32 v4, vcc, s4, v4
	v_add_f32_e32 v3, 0, v3
	v_addc_co_u32_e32 v5, vcc, v6, v5, vcc
	global_store_dword v[4:5], v3, off
.LBB76_74:
	s_or_b64 exec, exec, s[0:1]
	v_add_u32_e32 v1, v2, v1
	ds_read_b32 v2, v1 offset:328
	v_cmp_gt_u32_e32 vcc, 3, v13
	v_mov_b32_e32 v3, -1
	s_and_saveexec_b64 s[0:1], vcc
	s_cbranch_execz .LBB76_76
; %bb.75:
	v_mov_b32_e32 v3, 0x100
	v_lshl_add_u32 v3, v13, 2, v3
	ds_read_b32 v3, v3 offset:4
.LBB76_76:
	s_or_b64 exec, exec, s[0:1]
	s_waitcnt lgkmcnt(0)
	v_cmp_lt_i32_e32 vcc, -1, v3
	s_and_b64 s[2:3], vcc, s[2:3]
	s_and_saveexec_b64 s[0:1], s[2:3]
	s_cbranch_execz .LBB76_78
; %bb.77:
	v_add_f32_e32 v4, 0, v2
	v_mul_lo_u32 v2, v3, s30
	v_mul_lo_u32 v3, v80, s25
	v_add3_u32 v2, v0, v3, v2
	v_mov_b32_e32 v3, 0
	v_lshlrev_b64 v[2:3], 2, v[2:3]
	v_mov_b32_e32 v5, s5
	v_add_co_u32_e32 v2, vcc, s4, v2
	v_addc_co_u32_e32 v3, vcc, v5, v3, vcc
	global_store_dword v[2:3], v4, off
.LBB76_78:
	s_or_b64 exec, exec, s[0:1]
	ds_read_b32 v2, v1 offset:592
	v_cmp_gt_u32_e32 vcc, 2, v13
	v_mov_b32_e32 v3, -1
	s_and_saveexec_b64 s[0:1], vcc
	s_cbranch_execz .LBB76_80
; %bb.79:
	v_mov_b32_e32 v3, 0x100
	v_lshl_add_u32 v3, v13, 2, v3
	ds_read_b32 v3, v3 offset:8
.LBB76_80:
	s_or_b64 exec, exec, s[0:1]
	s_waitcnt lgkmcnt(0)
	v_cmp_lt_i32_e32 vcc, -1, v3
	s_and_b64 s[2:3], vcc, s[12:13]
	s_and_saveexec_b64 s[0:1], s[2:3]
	s_cbranch_execz .LBB76_82
; %bb.81:
	v_add_f32_e32 v4, 0, v2
	v_mul_lo_u32 v2, v3, s30
	v_mul_lo_u32 v3, v81, s25
	v_add3_u32 v2, v0, v3, v2
	v_mov_b32_e32 v3, 0
	v_lshlrev_b64 v[2:3], 2, v[2:3]
	v_mov_b32_e32 v5, s5
	v_add_co_u32_e32 v2, vcc, s4, v2
	v_addc_co_u32_e32 v3, vcc, v5, v3, vcc
	global_store_dword v[2:3], v4, off
.LBB76_82:
	s_or_b64 exec, exec, s[0:1]
	ds_read_b32 v1, v1 offset:856
	v_cmp_eq_u32_e32 vcc, 0, v13
	v_mov_b32_e32 v2, -1
	s_and_saveexec_b64 s[0:1], vcc
	s_cbranch_execz .LBB76_84
; %bb.83:
	v_mov_b32_e32 v2, 0x100
	ds_read_b32 v2, v2 offset:12
.LBB76_84:
	s_or_b64 exec, exec, s[0:1]
	s_waitcnt lgkmcnt(0)
	v_cmp_lt_i32_e32 vcc, -1, v2
	s_and_b64 s[0:1], vcc, s[14:15]
	s_and_saveexec_b64 s[2:3], s[0:1]
	s_cbranch_execz .LBB76_86
; %bb.85:
	v_add_f32_e32 v3, 0, v1
	v_mul_lo_u32 v1, v2, s30
	v_mul_lo_u32 v2, v82, s25
	v_add3_u32 v0, v0, v2, v1
	v_mov_b32_e32 v1, 0
	v_lshlrev_b64 v[0:1], 2, v[0:1]
	v_mov_b32_e32 v2, s5
	v_add_co_u32_e32 v0, vcc, s4, v0
	v_addc_co_u32_e32 v1, vcc, v2, v1, vcc
	global_store_dword v[0:1], v3, off
.LBB76_86:
	s_endpgm
	.section	.rodata,"a",@progbits
	.p2align	6, 0x0
	.amdhsa_kernel _ZL9mul_mat_fIfLi64ELi4ELi1ELb1EEvPKT_PKfPKiPfiiiiiiiiiiiiiiii
		.amdhsa_group_segment_fixed_size 256
		.amdhsa_private_segment_fixed_size 0
		.amdhsa_kernarg_size 352
		.amdhsa_user_sgpr_count 6
		.amdhsa_user_sgpr_private_segment_buffer 1
		.amdhsa_user_sgpr_dispatch_ptr 0
		.amdhsa_user_sgpr_queue_ptr 0
		.amdhsa_user_sgpr_kernarg_segment_ptr 1
		.amdhsa_user_sgpr_dispatch_id 0
		.amdhsa_user_sgpr_flat_scratch_init 0
		.amdhsa_user_sgpr_kernarg_preload_length 0
		.amdhsa_user_sgpr_kernarg_preload_offset 0
		.amdhsa_user_sgpr_private_segment_size 0
		.amdhsa_uses_dynamic_stack 0
		.amdhsa_system_sgpr_private_segment_wavefront_offset 0
		.amdhsa_system_sgpr_workgroup_id_x 1
		.amdhsa_system_sgpr_workgroup_id_y 1
		.amdhsa_system_sgpr_workgroup_id_z 1
		.amdhsa_system_sgpr_workgroup_info 0
		.amdhsa_system_vgpr_workitem_id 2
		.amdhsa_next_free_vgpr 124
		.amdhsa_next_free_sgpr 96
		.amdhsa_accum_offset 104
		.amdhsa_reserve_vcc 1
		.amdhsa_reserve_flat_scratch 0
		.amdhsa_float_round_mode_32 0
		.amdhsa_float_round_mode_16_64 0
		.amdhsa_float_denorm_mode_32 3
		.amdhsa_float_denorm_mode_16_64 3
		.amdhsa_dx10_clamp 1
		.amdhsa_ieee_mode 1
		.amdhsa_fp16_overflow 0
		.amdhsa_tg_split 0
		.amdhsa_exception_fp_ieee_invalid_op 0
		.amdhsa_exception_fp_denorm_src 0
		.amdhsa_exception_fp_ieee_div_zero 0
		.amdhsa_exception_fp_ieee_overflow 0
		.amdhsa_exception_fp_ieee_underflow 0
		.amdhsa_exception_fp_ieee_inexact 0
		.amdhsa_exception_int_div_zero 0
	.end_amdhsa_kernel
	.section	.text._ZL9mul_mat_fIfLi64ELi4ELi1ELb1EEvPKT_PKfPKiPfiiiiiiiiiiiiiiii,"axG",@progbits,_ZL9mul_mat_fIfLi64ELi4ELi1ELb1EEvPKT_PKfPKiPfiiiiiiiiiiiiiiii,comdat
.Lfunc_end76:
	.size	_ZL9mul_mat_fIfLi64ELi4ELi1ELb1EEvPKT_PKfPKiPfiiiiiiiiiiiiiiii, .Lfunc_end76-_ZL9mul_mat_fIfLi64ELi4ELi1ELb1EEvPKT_PKfPKiPfiiiiiiiiiiiiiiii
                                        ; -- End function
	.section	.AMDGPU.csdata,"",@progbits
; Kernel info:
; codeLenInByte = 8088
; NumSgprs: 100
; NumVgprs: 101
; NumAgprs: 20
; TotalNumVgprs: 124
; ScratchSize: 0
; MemoryBound: 0
; FloatMode: 240
; IeeeMode: 1
; LDSByteSize: 256 bytes/workgroup (compile time only)
; SGPRBlocks: 12
; VGPRBlocks: 15
; NumSGPRsForWavesPerEU: 100
; NumVGPRsForWavesPerEU: 124
; AccumOffset: 104
; Occupancy: 4
; WaveLimiterHint : 0
; COMPUTE_PGM_RSRC2:SCRATCH_EN: 0
; COMPUTE_PGM_RSRC2:USER_SGPR: 6
; COMPUTE_PGM_RSRC2:TRAP_HANDLER: 0
; COMPUTE_PGM_RSRC2:TGID_X_EN: 1
; COMPUTE_PGM_RSRC2:TGID_Y_EN: 1
; COMPUTE_PGM_RSRC2:TGID_Z_EN: 1
; COMPUTE_PGM_RSRC2:TIDIG_COMP_CNT: 2
; COMPUTE_PGM_RSRC3_GFX90A:ACCUM_OFFSET: 25
; COMPUTE_PGM_RSRC3_GFX90A:TG_SPLIT: 0
	.section	.text._ZL9mul_mat_fIfLi64ELi4ELi1ELb0EEvPKT_PKfPKiPfiiiiiiiiiiiiiiii,"axG",@progbits,_ZL9mul_mat_fIfLi64ELi4ELi1ELb0EEvPKT_PKfPKiPfiiiiiiiiiiiiiiii,comdat
	.globl	_ZL9mul_mat_fIfLi64ELi4ELi1ELb0EEvPKT_PKfPKiPfiiiiiiiiiiiiiiii ; -- Begin function _ZL9mul_mat_fIfLi64ELi4ELi1ELb0EEvPKT_PKfPKiPfiiiiiiiiiiiiiiii
	.p2align	8
	.type	_ZL9mul_mat_fIfLi64ELi4ELi1ELb0EEvPKT_PKfPKiPfiiiiiiiiiiiiiiii,@function
_ZL9mul_mat_fIfLi64ELi4ELi1ELb0EEvPKT_PKfPKiPfiiiiiiiiiiiiiiii: ; @_ZL9mul_mat_fIfLi64ELi4ELi1ELb0EEvPKT_PKfPKiPfiiiiiiiiiiiiiiii
; %bb.0:
	s_load_dwordx8 s[12:19], s[4:5], 0x40
	s_load_dword s9, s[4:5], 0x20
	s_load_dwordx4 s[0:3], s[4:5], 0x2c
	v_bfe_u32 v25, v0, 10, 10
	v_lshlrev_b32_e32 v95, 6, v25
	v_and_b32_e32 v94, 0x3ff, v0
	s_waitcnt lgkmcnt(0)
	s_abs_i32 s27, s12
	s_abs_i32 s26, s16
	v_cvt_f32_u32_e32 v1, s27
	v_cvt_f32_u32_e32 v2, s26
	v_or_b32_e32 v96, v95, v94
	s_mov_b32 s22, 0
	v_rcp_iflag_f32_e32 v1, v1
	v_rcp_iflag_f32_e32 v2, v2
	s_ashr_i32 s28, s8, 31
	v_cmp_le_i32_e32 vcc, s9, v96
	v_mul_f32_e32 v1, 0x4f7ffffe, v1
	v_mul_f32_e32 v2, 0x4f7ffffe, v2
	v_cvt_u32_f32_e32 v1, v1
	v_cvt_u32_f32_e32 v2, v2
	v_and_b32_e32 v0, 15, v94
                                        ; implicit-def: $vgpr97
	v_readfirstlane_b32 s21, v1
	v_readfirstlane_b32 s20, v2
	s_and_saveexec_b64 s[10:11], vcc
	s_xor_b64 s[10:11], exec, s[10:11]
; %bb.1:
	v_mul_u32_u24_e32 v97, 0x108, v0
                                        ; implicit-def: $vgpr96
                                        ; implicit-def: $vgpr0
; %bb.2:
	s_or_saveexec_b64 s[24:25], s[10:11]
	s_load_dwordx2 s[10:11], s[4:5], 0x18
	s_lshl_b32 s3, s6, 6
	v_accvgpr_write_b32 a0, s22
	v_accvgpr_write_b32 a1, s22
	;; [unrolled: 1-line block ×16, first 2 shown]
	v_lshlrev_b32_e32 v16, 2, v94
	s_xor_b64 exec, exec, s[24:25]
	s_cbranch_execz .LBB77_6
; %bb.3:
	s_sub_i32 s6, 0, s27
	s_sub_i32 s22, 0, s26
	s_mul_i32 s6, s6, s21
	s_mul_i32 s22, s22, s20
	s_mul_hi_u32 s6, s21, s6
	s_mul_hi_u32 s22, s20, s22
	s_abs_i32 s29, s7
	s_add_i32 s6, s21, s6
	s_add_i32 s31, s20, s22
	s_load_dwordx4 s[20:23], s[4:5], 0x0
	s_mul_hi_u32 s4, s29, s6
	s_ashr_i32 s6, s7, 31
	s_ashr_i32 s12, s12, 31
	s_xor_b32 s6, s6, s12
	s_mul_i32 s12, s4, s27
	s_abs_i32 s30, s8
	s_sub_i32 s12, s29, s12
	s_mul_hi_u32 s5, s30, s31
	s_ashr_i32 s16, s16, 31
	s_add_i32 s29, s4, 1
	s_sub_i32 s31, s12, s27
	s_cmp_ge_u32 s12, s27
	s_cselect_b32 s4, s29, s4
	s_cselect_b32 s12, s31, s12
	s_add_i32 s29, s4, 1
	s_cmp_ge_u32 s12, s27
	s_cselect_b32 s4, s29, s4
	s_mul_i32 s12, s5, s26
	s_xor_b32 s4, s4, s6
	s_sub_i32 s12, s30, s12
	s_sub_i32 s6, s4, s6
	s_xor_b32 s4, s28, s16
	s_add_i32 s16, s5, 1
	s_sub_i32 s27, s12, s26
	s_cmp_ge_u32 s12, s26
	s_cselect_b32 s5, s16, s5
	s_cselect_b32 s12, s27, s12
	s_add_i32 s16, s5, 1
	s_cmp_ge_u32 s12, s26
	s_cselect_b32 s5, s16, s5
	s_xor_b32 s5, s5, s4
	s_sub_i32 s4, s5, s4
	s_mul_i32 s12, s6, s13
	s_mul_i32 s16, s3, s0
	s_mul_hi_i32 s5, s4, s17
	s_mul_i32 s4, s4, s17
	s_ashr_i32 s13, s12, 31
	s_ashr_i32 s17, s16, 31
	s_lshl_b64 s[30:31], s[4:5], 2
	s_lshl_b64 s[4:5], s[16:17], 2
	;; [unrolled: 1-line block ×3, first 2 shown]
	s_waitcnt lgkmcnt(0)
	s_add_u32 s6, s20, s12
	s_addc_u32 s12, s21, s13
	s_add_u32 s6, s6, s4
	s_mul_i32 s28, s7, s14
	s_addc_u32 s14, s12, s5
	s_add_u32 s4, s6, s30
	s_mul_hi_i32 s27, s18, s8
	s_mul_i32 s26, s18, s8
	s_addc_u32 s73, s14, s31
	s_ashr_i32 s29, s28, 31
	s_lshl_b64 s[12:13], s[26:27], 2
	s_lshl_b64 s[16:17], s[28:29], 2
	s_add_u32 s18, s22, s16
	s_addc_u32 s22, s23, s17
	s_add_u32 s5, s18, s12
	s_movk_i32 s16, 0x1080
	v_mul_u32_u24_e32 v97, 0x108, v0
	v_lshrrev_b32_e32 v0, 1, v94
	s_addc_u32 s74, s22, s13
	v_mad_u32_u24 v1, v25, s16, 0
	v_and_b32_e32 v0, 0x1f8, v0
	s_ashr_i32 s17, s0, 31
	s_mov_b32 s16, s0
	v_add3_u32 v99, v1, v97, v0
	s_ashr_i32 s21, s1, 31
	v_lshlrev_b32_e32 v0, 8, v25
	s_lshl_b64 s[16:17], s[16:17], 2
	v_add_u32_e32 v98, v1, v16
	v_mov_b32_e32 v1, s31
	v_add_co_u32_e32 v2, vcc, s30, v0
	s_add_u32 s16, s6, s16
	v_addc_co_u32_e32 v1, vcc, 0, v1, vcc
	s_addc_u32 s17, s14, s17
	v_mov_b32_e32 v3, s17
	v_add_co_u32_e32 v18, vcc, s16, v2
	v_addc_co_u32_e32 v17, vcc, v3, v1, vcc
	v_mov_b32_e32 v3, s14
	v_add_co_u32_e32 v20, vcc, s6, v2
	s_mov_b32 s20, s1
	v_addc_co_u32_e32 v19, vcc, v3, v1, vcc
	v_mov_b32_e32 v1, s13
	v_add_co_u32_e32 v0, vcc, s12, v0
	s_lshl_b64 s[12:13], s[20:21], 2
	s_add_u32 s6, s18, s12
	v_addc_co_u32_e32 v1, vcc, 0, v1, vcc
	s_addc_u32 s12, s22, s13
	v_mov_b32_e32 v2, s12
	v_add_co_u32_e32 v22, vcc, s6, v0
	v_addc_co_u32_e32 v21, vcc, v2, v1, vcc
	v_mov_b32_e32 v2, s22
	v_add_co_u32_e32 v24, vcc, s18, v0
	v_addc_co_u32_e32 v23, vcc, v2, v1, vcc
	s_lshl_b32 s6, s1, 1
	s_mul_i32 s12, s1, 3
	s_lshl_b32 s13, s0, 1
	s_mul_i32 s14, s0, 3
	;; [unrolled: 2-line block ×3, first 2 shown]
	s_mul_i32 s18, s0, 6
	s_mul_i32 s20, s0, 7
	s_lshl_b32 s21, s0, 3
	s_mul_i32 s22, s0, 9
	s_mul_i32 s23, s0, 10
	;; [unrolled: 1-line block ×7, first 2 shown]
	s_lshl_b32 s31, s0, 4
	s_mul_i32 s33, s0, 17
	s_mul_i32 s34, s0, 18
	;; [unrolled: 1-line block ×15, first 2 shown]
	s_lshl_b32 s48, s0, 5
	s_mul_i32 s49, s0, 33
	s_mul_i32 s50, s0, 34
	;; [unrolled: 1-line block ×24, first 2 shown]
	v_mov_b32_e32 v100, s73
	s_mul_i32 s73, s0, 57
	v_mov_b32_e32 v101, s74
	s_mul_i32 s74, s0, 58
	v_mov_b32_e32 v102, 0
	v_accvgpr_write_b32 a15, 0
	v_accvgpr_write_b32 a14, 0
	;; [unrolled: 1-line block ×16, first 2 shown]
	s_mul_i32 s75, s0, 59
	s_mul_i32 s76, s0, 60
	;; [unrolled: 1-line block ×5, first 2 shown]
	s_movk_i32 s80, 0x100
	s_mov_b64 s[0:1], 0
.LBB77_4:                               ; =>This Inner Loop Header: Depth=1
	v_add_co_u32_e32 v26, vcc, v20, v16
	v_addc_co_u32_e32 v27, vcc, 0, v19, vcc
	global_load_dword v26, v[26:27], off
	v_add_u32_e32 v42, s31, v96
	v_ashrrev_i32_e32 v43, 31, v42
	v_lshlrev_b64 v[42:43], 2, v[42:43]
	v_add_u32_e32 v54, s48, v96
	v_ashrrev_i32_e32 v55, 31, v54
	v_lshlrev_b64 v[54:55], 2, v[54:55]
	v_add_u32_e32 v70, s64, v96
	v_ashrrev_i32_e32 v71, 31, v70
	v_lshlrev_b64 v[70:71], 2, v[70:71]
	v_accvgpr_read_b32 v8, a4
	v_accvgpr_read_b32 v7, a11
	;; [unrolled: 1-line block ×8, first 2 shown]
	v_accvgpr_write_b32 a8, v8
	v_accvgpr_write_b32 a9, v9
	;; [unrolled: 1-line block ×4, first 2 shown]
	v_accvgpr_read_b32 v0, a12
	v_accvgpr_read_b32 v12, a0
	;; [unrolled: 1-line block ×8, first 2 shown]
	v_accvgpr_write_b32 a0, v0
	v_accvgpr_write_b32 a4, v4
	;; [unrolled: 1-line block ×12, first 2 shown]
	s_waitcnt vmcnt(0)
	ds_write_b32 v98, v26
	v_add_co_u32_e32 v26, vcc, v18, v16
	v_addc_co_u32_e32 v27, vcc, 0, v17, vcc
	global_load_dword v26, v[26:27], off
	s_waitcnt vmcnt(0)
	ds_write_b32 v98, v26 offset:264
	v_add_u32_e32 v26, s13, v96
	v_ashrrev_i32_e32 v27, 31, v26
	v_lshlrev_b64 v[26:27], 2, v[26:27]
	v_add_co_u32_e32 v26, vcc, s4, v26
	v_addc_co_u32_e32 v27, vcc, v100, v27, vcc
	global_load_dword v26, v[26:27], off
	s_waitcnt vmcnt(0)
	ds_write_b32 v98, v26 offset:528
	v_add_u32_e32 v26, s14, v96
	v_ashrrev_i32_e32 v27, 31, v26
	v_lshlrev_b64 v[26:27], 2, v[26:27]
	;; [unrolled: 8-line block ×14, first 2 shown]
	v_add_co_u32_e32 v26, vcc, s4, v26
	v_addc_co_u32_e32 v27, vcc, v100, v27, vcc
	global_load_dword v26, v[26:27], off
	v_add_co_u32_e32 v42, vcc, s4, v42
	v_addc_co_u32_e32 v43, vcc, v100, v43, vcc
	s_waitcnt vmcnt(0)
	ds_write_b32 v98, v26 offset:3960
	ds_read_b64 v[40:41], v99
	ds_read_b64 v[38:39], v99 offset:32
	ds_read_b64 v[36:37], v99 offset:64
	;; [unrolled: 1-line block ×7, first 2 shown]
	global_load_dword v42, v[42:43], off
	s_waitcnt vmcnt(0)
	ds_write_b32 v98, v42
	v_add_u32_e32 v42, s33, v96
	v_ashrrev_i32_e32 v43, 31, v42
	v_lshlrev_b64 v[42:43], 2, v[42:43]
	v_add_co_u32_e32 v42, vcc, s4, v42
	v_addc_co_u32_e32 v43, vcc, v100, v43, vcc
	global_load_dword v42, v[42:43], off
	s_waitcnt vmcnt(0)
	ds_write_b32 v98, v42 offset:264
	v_add_u32_e32 v42, s34, v96
	v_ashrrev_i32_e32 v43, 31, v42
	v_lshlrev_b64 v[42:43], 2, v[42:43]
	v_add_co_u32_e32 v42, vcc, s4, v42
	v_addc_co_u32_e32 v43, vcc, v100, v43, vcc
	global_load_dword v42, v[42:43], off
	s_waitcnt vmcnt(0)
	ds_write_b32 v98, v42 offset:528
	v_add_u32_e32 v42, s35, v96
	v_ashrrev_i32_e32 v43, 31, v42
	v_lshlrev_b64 v[42:43], 2, v[42:43]
	v_add_co_u32_e32 v42, vcc, s4, v42
	v_addc_co_u32_e32 v43, vcc, v100, v43, vcc
	global_load_dword v42, v[42:43], off
	s_waitcnt vmcnt(0)
	ds_write_b32 v98, v42 offset:792
	v_add_u32_e32 v42, s36, v96
	v_ashrrev_i32_e32 v43, 31, v42
	v_lshlrev_b64 v[42:43], 2, v[42:43]
	v_add_co_u32_e32 v42, vcc, s4, v42
	v_addc_co_u32_e32 v43, vcc, v100, v43, vcc
	global_load_dword v42, v[42:43], off
	s_waitcnt vmcnt(0)
	ds_write_b32 v98, v42 offset:1056
	v_add_u32_e32 v42, s37, v96
	v_ashrrev_i32_e32 v43, 31, v42
	v_lshlrev_b64 v[42:43], 2, v[42:43]
	v_add_co_u32_e32 v42, vcc, s4, v42
	v_addc_co_u32_e32 v43, vcc, v100, v43, vcc
	global_load_dword v42, v[42:43], off
	s_waitcnt vmcnt(0)
	ds_write_b32 v98, v42 offset:1320
	v_add_u32_e32 v42, s38, v96
	v_ashrrev_i32_e32 v43, 31, v42
	v_lshlrev_b64 v[42:43], 2, v[42:43]
	v_add_co_u32_e32 v42, vcc, s4, v42
	v_addc_co_u32_e32 v43, vcc, v100, v43, vcc
	global_load_dword v42, v[42:43], off
	s_waitcnt vmcnt(0)
	ds_write_b32 v98, v42 offset:1584
	v_add_u32_e32 v42, s39, v96
	v_ashrrev_i32_e32 v43, 31, v42
	v_lshlrev_b64 v[42:43], 2, v[42:43]
	v_add_co_u32_e32 v42, vcc, s4, v42
	v_addc_co_u32_e32 v43, vcc, v100, v43, vcc
	global_load_dword v42, v[42:43], off
	s_waitcnt vmcnt(0)
	ds_write_b32 v98, v42 offset:1848
	v_add_u32_e32 v42, s40, v96
	v_ashrrev_i32_e32 v43, 31, v42
	v_lshlrev_b64 v[42:43], 2, v[42:43]
	v_add_co_u32_e32 v42, vcc, s4, v42
	v_addc_co_u32_e32 v43, vcc, v100, v43, vcc
	global_load_dword v42, v[42:43], off
	s_waitcnt vmcnt(0)
	ds_write_b32 v98, v42 offset:2112
	v_add_u32_e32 v42, s41, v96
	v_ashrrev_i32_e32 v43, 31, v42
	v_lshlrev_b64 v[42:43], 2, v[42:43]
	v_add_co_u32_e32 v42, vcc, s4, v42
	v_addc_co_u32_e32 v43, vcc, v100, v43, vcc
	global_load_dword v42, v[42:43], off
	s_waitcnt vmcnt(0)
	ds_write_b32 v98, v42 offset:2376
	v_add_u32_e32 v42, s42, v96
	v_ashrrev_i32_e32 v43, 31, v42
	v_lshlrev_b64 v[42:43], 2, v[42:43]
	v_add_co_u32_e32 v42, vcc, s4, v42
	v_addc_co_u32_e32 v43, vcc, v100, v43, vcc
	global_load_dword v42, v[42:43], off
	s_waitcnt vmcnt(0)
	ds_write_b32 v98, v42 offset:2640
	v_add_u32_e32 v42, s43, v96
	v_ashrrev_i32_e32 v43, 31, v42
	v_lshlrev_b64 v[42:43], 2, v[42:43]
	v_add_co_u32_e32 v42, vcc, s4, v42
	v_addc_co_u32_e32 v43, vcc, v100, v43, vcc
	global_load_dword v42, v[42:43], off
	s_waitcnt vmcnt(0)
	ds_write_b32 v98, v42 offset:2904
	v_add_u32_e32 v42, s44, v96
	v_ashrrev_i32_e32 v43, 31, v42
	v_lshlrev_b64 v[42:43], 2, v[42:43]
	v_add_co_u32_e32 v42, vcc, s4, v42
	v_addc_co_u32_e32 v43, vcc, v100, v43, vcc
	global_load_dword v42, v[42:43], off
	s_waitcnt vmcnt(0)
	ds_write_b32 v98, v42 offset:3168
	v_add_u32_e32 v42, s45, v96
	v_ashrrev_i32_e32 v43, 31, v42
	v_lshlrev_b64 v[42:43], 2, v[42:43]
	v_add_co_u32_e32 v42, vcc, s4, v42
	v_addc_co_u32_e32 v43, vcc, v100, v43, vcc
	global_load_dword v42, v[42:43], off
	s_waitcnt vmcnt(0)
	ds_write_b32 v98, v42 offset:3432
	v_add_u32_e32 v42, s46, v96
	v_ashrrev_i32_e32 v43, 31, v42
	v_lshlrev_b64 v[42:43], 2, v[42:43]
	v_add_co_u32_e32 v42, vcc, s4, v42
	v_addc_co_u32_e32 v43, vcc, v100, v43, vcc
	global_load_dword v42, v[42:43], off
	s_waitcnt vmcnt(0)
	ds_write_b32 v98, v42 offset:3696
	v_add_u32_e32 v42, s47, v96
	v_ashrrev_i32_e32 v43, 31, v42
	v_lshlrev_b64 v[42:43], 2, v[42:43]
	v_add_co_u32_e32 v42, vcc, s4, v42
	v_addc_co_u32_e32 v43, vcc, v100, v43, vcc
	global_load_dword v42, v[42:43], off
	v_add_co_u32_e32 v54, vcc, s4, v54
	v_addc_co_u32_e32 v55, vcc, v100, v55, vcc
	s_waitcnt vmcnt(0)
	ds_write_b32 v98, v42 offset:3960
	ds_read_b64 v[64:65], v99
	ds_read_b64 v[60:61], v99 offset:32
	ds_read_b64 v[52:53], v99 offset:64
	;; [unrolled: 1-line block ×7, first 2 shown]
	global_load_dword v54, v[54:55], off
	s_waitcnt vmcnt(0)
	ds_write_b32 v98, v54
	v_add_u32_e32 v54, s49, v96
	v_ashrrev_i32_e32 v55, 31, v54
	v_lshlrev_b64 v[54:55], 2, v[54:55]
	v_add_co_u32_e32 v54, vcc, s4, v54
	v_addc_co_u32_e32 v55, vcc, v100, v55, vcc
	global_load_dword v54, v[54:55], off
	s_waitcnt vmcnt(0)
	ds_write_b32 v98, v54 offset:264
	v_add_u32_e32 v54, s50, v96
	v_ashrrev_i32_e32 v55, 31, v54
	v_lshlrev_b64 v[54:55], 2, v[54:55]
	v_add_co_u32_e32 v54, vcc, s4, v54
	v_addc_co_u32_e32 v55, vcc, v100, v55, vcc
	global_load_dword v54, v[54:55], off
	s_waitcnt vmcnt(0)
	ds_write_b32 v98, v54 offset:528
	;; [unrolled: 8-line block ×14, first 2 shown]
	v_add_u32_e32 v54, s63, v96
	v_ashrrev_i32_e32 v55, 31, v54
	v_lshlrev_b64 v[54:55], 2, v[54:55]
	v_add_co_u32_e32 v54, vcc, s4, v54
	v_addc_co_u32_e32 v55, vcc, v100, v55, vcc
	global_load_dword v54, v[54:55], off
	v_add_co_u32_e32 v70, vcc, s4, v70
	v_addc_co_u32_e32 v71, vcc, v100, v71, vcc
	s_waitcnt vmcnt(0)
	ds_write_b32 v98, v54 offset:3960
	ds_read_b64 v[74:75], v99
	ds_read_b64 v[72:73], v99 offset:32
	ds_read_b64 v[68:69], v99 offset:64
	;; [unrolled: 1-line block ×7, first 2 shown]
	global_load_dword v70, v[70:71], off
	s_waitcnt vmcnt(0)
	ds_write_b32 v98, v70
	v_add_u32_e32 v70, s65, v96
	v_ashrrev_i32_e32 v71, 31, v70
	v_lshlrev_b64 v[70:71], 2, v[70:71]
	v_add_co_u32_e32 v70, vcc, s4, v70
	v_addc_co_u32_e32 v71, vcc, v100, v71, vcc
	global_load_dword v70, v[70:71], off
	s_waitcnt vmcnt(0)
	ds_write_b32 v98, v70 offset:264
	v_add_u32_e32 v70, s66, v96
	v_ashrrev_i32_e32 v71, 31, v70
	v_lshlrev_b64 v[70:71], 2, v[70:71]
	v_add_co_u32_e32 v70, vcc, s4, v70
	v_addc_co_u32_e32 v71, vcc, v100, v71, vcc
	global_load_dword v70, v[70:71], off
	s_waitcnt vmcnt(0)
	ds_write_b32 v98, v70 offset:528
	;; [unrolled: 8-line block ×14, first 2 shown]
	v_add_u32_e32 v70, s79, v96
	v_ashrrev_i32_e32 v71, 31, v70
	v_lshlrev_b64 v[70:71], 2, v[70:71]
	v_add_co_u32_e32 v70, vcc, s4, v70
	v_addc_co_u32_e32 v71, vcc, v100, v71, vcc
	global_load_dword v70, v[70:71], off
	v_add_co_u32_e32 v90, vcc, v24, v16
	v_addc_co_u32_e32 v91, vcc, 0, v23, vcc
	s_waitcnt vmcnt(0)
	ds_write_b32 v98, v70 offset:3960
	ds_read_b64 v[88:89], v99
	ds_read_b64 v[86:87], v99 offset:32
	ds_read_b64 v[84:85], v99 offset:64
	;; [unrolled: 1-line block ×7, first 2 shown]
	global_load_dword v90, v[90:91], off
	s_waitcnt vmcnt(0)
	ds_write_b32 v98, v90
	v_add_co_u32_e32 v90, vcc, v22, v16
	v_addc_co_u32_e32 v91, vcc, 0, v21, vcc
	global_load_dword v90, v[90:91], off
	s_waitcnt vmcnt(0)
	ds_write_b32 v98, v90 offset:264
	v_add_u32_e32 v90, s6, v96
	v_ashrrev_i32_e32 v91, 31, v90
	v_lshlrev_b64 v[90:91], 2, v[90:91]
	v_add_co_u32_e32 v90, vcc, s5, v90
	v_addc_co_u32_e32 v91, vcc, v101, v91, vcc
	global_load_dword v90, v[90:91], off
	s_waitcnt vmcnt(0)
	ds_write_b32 v98, v90 offset:528
	v_add_u32_e32 v90, s12, v96
	v_ashrrev_i32_e32 v91, 31, v90
	v_lshlrev_b64 v[90:91], 2, v[90:91]
	v_add_co_u32_e32 v90, vcc, s5, v90
	v_addc_co_u32_e32 v91, vcc, v101, v91, vcc
	global_load_dword v90, v[90:91], off
	s_waitcnt vmcnt(0)
	ds_write_b32 v98, v90 offset:792
	ds_write_b32 v98, v102 offset:1056
	;; [unrolled: 1-line block ×13, first 2 shown]
	ds_read_b64 v[92:93], v99
	ds_read_b64 v[90:91], v99 offset:32
	s_waitcnt lgkmcnt(1)
	v_mfma_f32_16x16x4f32 a[8:11], v74, v92, a[8:11]
	ds_read_b64 v[0:1], v99 offset:64
	v_add_co_u32_e32 v18, vcc, s80, v18
	v_addc_co_u32_e32 v17, vcc, 0, v17, vcc
	v_add_co_u32_e32 v20, vcc, 0x100, v20
	v_mfma_f32_16x16x4f32 a[0:3], v40, v92, a[0:3]
	v_addc_co_u32_e32 v19, vcc, 0, v19, vcc
	v_add_co_u32_e32 v22, vcc, 0x100, v22
	v_addc_co_u32_e32 v21, vcc, 0, v21, vcc
	v_add_co_u32_e32 v24, vcc, 0x100, v24
	v_mfma_f32_16x16x4f32 a[4:7], v64, v92, a[4:7]
	v_add_u32_e32 v96, 64, v96
	v_addc_co_u32_e32 v23, vcc, 0, v23, vcc
	v_cmp_le_i32_e32 vcc, s9, v96
	s_or_b64 s[0:1], vcc, s[0:1]
	v_mfma_f32_16x16x4f32 a[12:15], v88, v92, a[12:15]
	v_mfma_f32_16x16x4f32 a[8:11], v75, v93, a[8:11]
	;; [unrolled: 1-line block ×5, first 2 shown]
	s_waitcnt lgkmcnt(1)
	v_mfma_f32_16x16x4f32 a[8:11], v72, v90, a[8:11]
	v_mfma_f32_16x16x4f32 a[0:3], v38, v90, a[0:3]
	v_mfma_f32_16x16x4f32 a[4:7], v60, v90, a[4:7]
	v_mfma_f32_16x16x4f32 a[12:15], v86, v90, a[12:15]
	v_mfma_f32_16x16x4f32 a[8:11], v73, v91, a[8:11]
	v_mfma_f32_16x16x4f32 a[0:3], v39, v91, a[0:3]
	v_mfma_f32_16x16x4f32 a[4:7], v61, v91, a[4:7]
	v_mfma_f32_16x16x4f32 a[12:15], v87, v91, a[12:15]
	s_waitcnt lgkmcnt(0)
	v_mfma_f32_16x16x4f32 a[8:11], v68, v0, a[8:11]
	v_mfma_f32_16x16x4f32 a[0:3], v36, v0, a[0:3]
	v_mfma_f32_16x16x4f32 a[4:7], v52, v0, a[4:7]
	v_mfma_f32_16x16x4f32 a[12:15], v84, v0, a[12:15]
	v_mfma_f32_16x16x4f32 a[8:11], v69, v1, a[8:11]
	v_mfma_f32_16x16x4f32 a[0:3], v37, v1, a[0:3]
	v_mfma_f32_16x16x4f32 a[4:7], v53, v1, a[4:7]
	v_mfma_f32_16x16x4f32 a[12:15], v85, v1, a[12:15]
	ds_read_b64 v[0:1], v99 offset:96
	s_waitcnt lgkmcnt(0)
	v_mfma_f32_16x16x4f32 a[8:11], v66, v0, a[8:11]
	v_mfma_f32_16x16x4f32 a[0:3], v34, v0, a[0:3]
	v_mfma_f32_16x16x4f32 a[4:7], v50, v0, a[4:7]
	v_mfma_f32_16x16x4f32 a[12:15], v82, v0, a[12:15]
	v_mfma_f32_16x16x4f32 a[8:11], v67, v1, a[8:11]
	v_mfma_f32_16x16x4f32 a[0:3], v35, v1, a[0:3]
	v_mfma_f32_16x16x4f32 a[4:7], v51, v1, a[4:7]
	v_mfma_f32_16x16x4f32 a[12:15], v83, v1, a[12:15]
	ds_read_b64 v[0:1], v99 offset:128
	s_waitcnt lgkmcnt(0)
	v_mfma_f32_16x16x4f32 a[8:11], v62, v0, a[8:11]
	v_mfma_f32_16x16x4f32 a[0:3], v32, v0, a[0:3]
	v_mfma_f32_16x16x4f32 a[4:7], v48, v0, a[4:7]
	v_mfma_f32_16x16x4f32 a[12:15], v80, v0, a[12:15]
	v_mfma_f32_16x16x4f32 a[8:11], v63, v1, a[8:11]
	v_mfma_f32_16x16x4f32 a[0:3], v33, v1, a[0:3]
	v_mfma_f32_16x16x4f32 a[4:7], v49, v1, a[4:7]
	v_mfma_f32_16x16x4f32 a[12:15], v81, v1, a[12:15]
	ds_read_b64 v[0:1], v99 offset:160
	s_waitcnt lgkmcnt(0)
	v_mfma_f32_16x16x4f32 a[8:11], v58, v0, a[8:11]
	v_mfma_f32_16x16x4f32 a[0:3], v30, v0, a[0:3]
	v_mfma_f32_16x16x4f32 a[4:7], v46, v0, a[4:7]
	v_mfma_f32_16x16x4f32 a[12:15], v78, v0, a[12:15]
	v_mfma_f32_16x16x4f32 a[8:11], v59, v1, a[8:11]
	v_mfma_f32_16x16x4f32 a[0:3], v31, v1, a[0:3]
	v_mfma_f32_16x16x4f32 a[4:7], v47, v1, a[4:7]
	v_mfma_f32_16x16x4f32 a[12:15], v79, v1, a[12:15]
	ds_read_b64 v[0:1], v99 offset:192
	s_waitcnt lgkmcnt(0)
	v_mfma_f32_16x16x4f32 a[8:11], v56, v0, a[8:11]
	v_mfma_f32_16x16x4f32 a[0:3], v28, v0, a[0:3]
	v_mfma_f32_16x16x4f32 a[4:7], v44, v0, a[4:7]
	v_mfma_f32_16x16x4f32 a[16:19], v57, v1, a[8:11]
	v_mfma_f32_16x16x4f32 a[8:11], v76, v0, a[12:15]
	v_mfma_f32_16x16x4f32 a[0:3], v29, v1, a[0:3]
	v_mfma_f32_16x16x4f32 a[4:7], v45, v1, a[4:7]
	v_mfma_f32_16x16x4f32 a[20:23], v77, v1, a[8:11]
	ds_read_b64 v[0:1], v99 offset:224
	s_waitcnt lgkmcnt(0)
	v_mfma_f32_16x16x4f32 a[0:3], v26, v0, a[0:3]
	v_mfma_f32_16x16x4f32 a[12:15], v27, v1, a[0:3]
	v_mfma_f32_16x16x4f32 a[0:3], v42, v0, a[4:7]
	v_mfma_f32_16x16x4f32 a[8:11], v43, v1, a[0:3]
	v_mfma_f32_16x16x4f32 a[0:3], v54, v0, a[16:19]
	v_mfma_f32_16x16x4f32 a[4:7], v55, v1, a[0:3]
	v_mfma_f32_16x16x4f32 a[0:3], v70, v0, a[20:23]
	v_mfma_f32_16x16x4f32 a[0:3], v71, v1, a[0:3]
	s_andn2_b64 exec, exec, s[0:1]
	s_cbranch_execnz .LBB77_4
; %bb.5:
	s_or_b64 exec, exec, s[0:1]
.LBB77_6:
	s_or_b64 exec, exec, s[24:25]
	v_lshlrev_b32_e32 v0, 2, v95
	v_or_b32_e32 v2, 12, v94
	v_add3_u32 v0, 0, v97, v0
	v_and_b32_e32 v1, 0x3f0, v94
	v_and_b32_e32 v2, 0x3fc, v2
	s_mul_hi_i32 s1, s19, s8
	s_mul_i32 s0, s19, s8
	v_add_u32_e32 v1, v0, v1
	v_add_u32_e32 v0, v0, v2
	s_lshl_b64 s[0:1], s[0:1], 2
	ds_write2_b32 v1, a12, a13 offset1:1
	ds_write_b32 v1, a14 offset:8
	ds_write_b32 v0, a15
	ds_write2_b32 v1, a8, a9 offset0:16 offset1:17
	ds_write_b32 v1, a10 offset:72
	ds_write_b32 v0, a11 offset:64
	ds_write2_b32 v1, a4, a5 offset0:32 offset1:33
	ds_write_b32 v1, a6 offset:136
	ds_write_b32 v0, a7 offset:128
	ds_write2_b32 v1, a0, a1 offset0:48 offset1:49
	ds_write_b32 v1, a2 offset:200
	ds_write_b32 v0, a3 offset:192
	v_mul_u32_u24_e32 v0, 0x108, v25
	s_waitcnt lgkmcnt(0)
	s_add_u32 s4, s10, s0
	s_mul_i32 s0, s7, s15
	v_add3_u32 v6, 0, v16, v0
	s_addc_u32 s5, s11, s1
	ds_read2_b32 v[0:1], v6 offset1:66
	s_ashr_i32 s1, s0, 31
	s_lshl_b64 s[0:1], s[0:1], 2
	v_mul_lo_u32 v2, v25, s2
	s_add_u32 s0, s4, s0
	v_add3_u32 v2, s3, v94, v2
	v_mov_b32_e32 v3, 0
	s_addc_u32 s1, s5, s1
	v_lshlrev_b64 v[4:5], 2, v[2:3]
	v_mov_b32_e32 v7, s1
	v_add_co_u32_e32 v4, vcc, s0, v4
	s_waitcnt lgkmcnt(0)
	v_add_f32_e32 v0, 0, v0
	v_addc_co_u32_e32 v5, vcc, v7, v5, vcc
	v_add_u32_e32 v2, s2, v2
	global_store_dword v[4:5], v0, off
	v_add_f32_e32 v7, 0, v1
	v_lshlrev_b64 v[0:1], 2, v[2:3]
	ds_read2_b32 v[4:5], v6 offset0:132 offset1:198
	v_mov_b32_e32 v8, s1
	v_add_co_u32_e32 v0, vcc, s0, v0
	v_addc_co_u32_e32 v1, vcc, v8, v1, vcc
	v_add_u32_e32 v2, s2, v2
	global_store_dword v[0:1], v7, off
	v_lshlrev_b64 v[0:1], 2, v[2:3]
	v_mov_b32_e32 v6, s1
	v_add_co_u32_e32 v0, vcc, s0, v0
	s_waitcnt lgkmcnt(0)
	v_add_f32_e32 v4, 0, v4
	v_addc_co_u32_e32 v1, vcc, v6, v1, vcc
	v_add_u32_e32 v2, s2, v2
	global_store_dword v[0:1], v4, off
	v_lshlrev_b64 v[0:1], 2, v[2:3]
	v_mov_b32_e32 v2, s1
	v_add_co_u32_e32 v0, vcc, s0, v0
	v_add_f32_e32 v4, 0, v5
	v_addc_co_u32_e32 v1, vcc, v2, v1, vcc
	global_store_dword v[0:1], v4, off
	s_endpgm
	.section	.rodata,"a",@progbits
	.p2align	6, 0x0
	.amdhsa_kernel _ZL9mul_mat_fIfLi64ELi4ELi1ELb0EEvPKT_PKfPKiPfiiiiiiiiiiiiiiii
		.amdhsa_group_segment_fixed_size 0
		.amdhsa_private_segment_fixed_size 0
		.amdhsa_kernarg_size 96
		.amdhsa_user_sgpr_count 6
		.amdhsa_user_sgpr_private_segment_buffer 1
		.amdhsa_user_sgpr_dispatch_ptr 0
		.amdhsa_user_sgpr_queue_ptr 0
		.amdhsa_user_sgpr_kernarg_segment_ptr 1
		.amdhsa_user_sgpr_dispatch_id 0
		.amdhsa_user_sgpr_flat_scratch_init 0
		.amdhsa_user_sgpr_kernarg_preload_length 0
		.amdhsa_user_sgpr_kernarg_preload_offset 0
		.amdhsa_user_sgpr_private_segment_size 0
		.amdhsa_uses_dynamic_stack 0
		.amdhsa_system_sgpr_private_segment_wavefront_offset 0
		.amdhsa_system_sgpr_workgroup_id_x 1
		.amdhsa_system_sgpr_workgroup_id_y 1
		.amdhsa_system_sgpr_workgroup_id_z 1
		.amdhsa_system_sgpr_workgroup_info 0
		.amdhsa_system_vgpr_workitem_id 1
		.amdhsa_next_free_vgpr 128
		.amdhsa_next_free_sgpr 81
		.amdhsa_accum_offset 104
		.amdhsa_reserve_vcc 1
		.amdhsa_reserve_flat_scratch 0
		.amdhsa_float_round_mode_32 0
		.amdhsa_float_round_mode_16_64 0
		.amdhsa_float_denorm_mode_32 3
		.amdhsa_float_denorm_mode_16_64 3
		.amdhsa_dx10_clamp 1
		.amdhsa_ieee_mode 1
		.amdhsa_fp16_overflow 0
		.amdhsa_tg_split 0
		.amdhsa_exception_fp_ieee_invalid_op 0
		.amdhsa_exception_fp_denorm_src 0
		.amdhsa_exception_fp_ieee_div_zero 0
		.amdhsa_exception_fp_ieee_overflow 0
		.amdhsa_exception_fp_ieee_underflow 0
		.amdhsa_exception_fp_ieee_inexact 0
		.amdhsa_exception_int_div_zero 0
	.end_amdhsa_kernel
	.section	.text._ZL9mul_mat_fIfLi64ELi4ELi1ELb0EEvPKT_PKfPKiPfiiiiiiiiiiiiiiii,"axG",@progbits,_ZL9mul_mat_fIfLi64ELi4ELi1ELb0EEvPKT_PKfPKiPfiiiiiiiiiiiiiiii,comdat
.Lfunc_end77:
	.size	_ZL9mul_mat_fIfLi64ELi4ELi1ELb0EEvPKT_PKfPKiPfiiiiiiiiiiiiiiii, .Lfunc_end77-_ZL9mul_mat_fIfLi64ELi4ELi1ELb0EEvPKT_PKfPKiPfiiiiiiiiiiiiiiii
                                        ; -- End function
	.section	.AMDGPU.csdata,"",@progbits
; Kernel info:
; codeLenInByte = 5736
; NumSgprs: 85
; NumVgprs: 103
; NumAgprs: 24
; TotalNumVgprs: 128
; ScratchSize: 0
; MemoryBound: 0
; FloatMode: 240
; IeeeMode: 1
; LDSByteSize: 0 bytes/workgroup (compile time only)
; SGPRBlocks: 10
; VGPRBlocks: 15
; NumSGPRsForWavesPerEU: 85
; NumVGPRsForWavesPerEU: 128
; AccumOffset: 104
; Occupancy: 4
; WaveLimiterHint : 0
; COMPUTE_PGM_RSRC2:SCRATCH_EN: 0
; COMPUTE_PGM_RSRC2:USER_SGPR: 6
; COMPUTE_PGM_RSRC2:TRAP_HANDLER: 0
; COMPUTE_PGM_RSRC2:TGID_X_EN: 1
; COMPUTE_PGM_RSRC2:TGID_Y_EN: 1
; COMPUTE_PGM_RSRC2:TGID_Z_EN: 1
; COMPUTE_PGM_RSRC2:TIDIG_COMP_CNT: 1
; COMPUTE_PGM_RSRC3_GFX90A:ACCUM_OFFSET: 25
; COMPUTE_PGM_RSRC3_GFX90A:TG_SPLIT: 0
	.section	.text._ZL13mul_mat_f_idsIfLi64ELi4ELi2EEvPKT_PKfPKiS6_S6_Pfiiiiiiiiiiiiii15HIP_vector_typeIjLj3EES9_,"axG",@progbits,_ZL13mul_mat_f_idsIfLi64ELi4ELi2EEvPKT_PKfPKiS6_S6_Pfiiiiiiiiiiiiii15HIP_vector_typeIjLj3EES9_,comdat
	.globl	_ZL13mul_mat_f_idsIfLi64ELi4ELi2EEvPKT_PKfPKiS6_S6_Pfiiiiiiiiiiiiii15HIP_vector_typeIjLj3EES9_ ; -- Begin function _ZL13mul_mat_f_idsIfLi64ELi4ELi2EEvPKT_PKfPKiS6_S6_Pfiiiiiiiiiiiiii15HIP_vector_typeIjLj3EES9_
	.p2align	8
	.type	_ZL13mul_mat_f_idsIfLi64ELi4ELi2EEvPKT_PKfPKiS6_S6_Pfiiiiiiiiiiiiii15HIP_vector_typeIjLj3EES9_,@function
_ZL13mul_mat_f_idsIfLi64ELi4ELi2EEvPKT_PKfPKiS6_S6_Pfiiiiiiiiiiiiii15HIP_vector_typeIjLj3EES9_: ; @_ZL13mul_mat_f_idsIfLi64ELi4ELi2EEvPKT_PKfPKiS6_S6_Pfiiiiiiiiiiiiii15HIP_vector_typeIjLj3EES9_
; %bb.0:
	s_load_dwordx2 s[0:1], s[4:5], 0x20
	s_mov_b32 s34, s7
	s_ashr_i32 s35, s7, 31
	s_lshl_b64 s[2:3], s[34:35], 2
	s_waitcnt lgkmcnt(0)
	s_add_u32 s0, s0, s2
	s_addc_u32 s1, s1, s3
	s_load_dwordx2 s[26:27], s[0:1], 0x0
	s_waitcnt lgkmcnt(0)
	s_sub_i32 s33, s27, s26
	s_add_i32 s0, s33, 3
	s_ashr_i32 s1, s0, 31
	s_lshr_b32 s1, s1, 30
	s_add_i32 s0, s0, s1
	s_ashr_i32 s0, s0, 2
	s_cmp_ge_i32 s8, s0
	s_cbranch_scc1 .LBB78_25
; %bb.1:
	v_bfe_u32 v78, v0, 10, 10
	v_lshlrev_b32_e32 v80, 6, v78
	v_and_b32_e32 v79, 0x3ff, v0
	s_load_dwordx4 s[12:15], s[4:5], 0x30
	s_load_dwordx2 s[20:21], s[4:5], 0x40
	s_load_dwordx4 s[0:3], s[4:5], 0x4c
	s_load_dwordx4 s[16:19], s[4:5], 0x68
	s_load_dwordx2 s[24:25], s[4:5], 0x78
	v_add_u32_e32 v82, v80, v79
	s_ashr_i32 s27, s26, 31
	s_waitcnt lgkmcnt(0)
	v_cmp_le_i32_e32 vcc, s12, v82
	v_and_b32_e32 v81, 15, v79
                                        ; implicit-def: $sgpr3
	s_and_saveexec_b64 s[10:11], vcc
	s_xor_b64 s[10:11], exec, s[10:11]
; %bb.2:
	v_and_b32_e32 v81, 15, v79
	s_mov_b32 s3, 0
                                        ; implicit-def: $vgpr82
; %bb.3:
	s_or_saveexec_b64 s[22:23], s[10:11]
	s_load_dwordx2 s[10:11], s[4:5], 0x18
                                        ; implicit-def: $vgpr96 : SGPR spill to VGPR lane
	s_lshl_b32 s28, s6, 6
	s_lshl_b32 s6, s8, 2
	v_accvgpr_write_b32 a0, s3
	v_accvgpr_write_b32 a1, s3
	s_waitcnt lgkmcnt(0)
	v_writelane_b32 v96, s10, 0
	v_writelane_b32 v96, s11, 1
	s_load_dwordx2 s[10:11], s[4:5], 0x28
	v_accvgpr_write_b32 a2, s3
	v_accvgpr_write_b32 a3, s3
	;; [unrolled: 1-line block ×4, first 2 shown]
	s_waitcnt lgkmcnt(0)
	v_writelane_b32 v96, s10, 2
	v_writelane_b32 v96, s11, 3
	v_accvgpr_write_b32 a6, s3
	v_accvgpr_write_b32 a7, s3
	;; [unrolled: 1-line block ×10, first 2 shown]
	v_writelane_b32 v96, s22, 4
	v_writelane_b32 v96, s23, 5
	s_xor_b64 exec, exec, s[22:23]
	s_cbranch_execz .LBB78_19
; %bb.4:
	v_writelane_b32 v96, s24, 6
	v_writelane_b32 v96, s25, 7
	s_load_dwordx4 s[8:11], s[4:5], 0x0
	s_load_dwordx2 s[22:23], s[4:5], 0x10
	s_mul_i32 s4, s34, s0
	s_mul_i32 s24, s28, s15
	s_ashr_i32 s5, s4, 31
	s_ashr_i32 s25, s24, 31
	s_lshl_b64 s[24:25], s[24:25], 2
	s_lshl_b64 s[4:5], s[4:5], 2
	s_add_u32 s3, s4, s24
	s_addc_u32 s24, s5, s25
	s_waitcnt lgkmcnt(0)
	s_add_u32 s0, s3, s8
	s_addc_u32 s25, s24, s9
	s_lshl_b64 s[4:5], s[26:27], 2
	v_writelane_b32 v96, s28, 8
	s_add_u32 s28, s22, s4
	s_addc_u32 s29, s23, s5
	s_movk_i32 s4, 0x1080
	s_cmp_lt_i32 s6, s33
	v_mad_u32_u24 v0, v78, s4, 0
	s_cselect_b64 s[4:5], -1, 0
	s_ashr_i32 s7, s6, 31
	s_lshl_b64 s[22:23], s[6:7], 2
	s_add_u32 s34, s28, s22
	v_lshrrev_b32_e32 v3, 1, v79
	s_addc_u32 s35, s29, s23
	s_or_b32 s7, s6, 1
	v_lshlrev_b32_e32 v1, 2, v79
	v_mul_u32_u24_e32 v2, 0x108, v81
	v_and_b32_e32 v3, 0x1f8, v3
	s_cmp_lt_i32 s7, s33
	v_add_u32_e32 v83, v0, v1
	v_add3_u32 v84, v0, v2, v3
	s_cselect_b64 s[36:37], -1, 0
	s_or_b32 s7, s6, 2
	v_lshlrev_b32_e32 v0, 8, v78
	s_cmp_lt_i32 s7, s33
	v_mov_b32_e32 v2, s24
	v_add_co_u32_e32 v0, vcc, s3, v0
	s_cselect_b64 s[38:39], -1, 0
	s_or_b32 s7, s6, 3
	v_addc_co_u32_e32 v2, vcc, 0, v2, vcc
	s_cmp_lt_i32 s7, s33
	v_add_co_u32_e32 v0, vcc, v0, v1
	s_cselect_b64 s[40:41], -1, 0
	s_ashr_i32 s23, s15, 31
	s_mov_b32 s22, s15
	v_addc_co_u32_e32 v1, vcc, 0, v2, vcc
	s_lshl_b64 s[42:43], s[22:23], 2
	v_mov_b32_e32 v2, s9
	v_add_co_u32_e32 v12, vcc, s8, v0
	v_addc_co_u32_e32 v13, vcc, v2, v1, vcc
	s_lshl_b32 s7, s15, 1
	s_mul_i32 s44, s15, 3
	s_lshl_b32 s45, s15, 2
	s_mul_i32 s46, s15, 5
	s_mul_i32 s47, s15, 6
	;; [unrolled: 1-line block ×3, first 2 shown]
	s_lshl_b32 s49, s15, 3
	s_mul_i32 s50, s15, 9
	s_mul_i32 s51, s15, 10
	;; [unrolled: 1-line block ×7, first 2 shown]
	s_lshl_b32 s57, s15, 4
	s_mul_i32 s58, s15, 17
	s_mul_i32 s59, s15, 18
	;; [unrolled: 1-line block ×15, first 2 shown]
	s_lshl_b32 s73, s15, 5
	s_mul_i32 s74, s15, 33
	s_mul_i32 s75, s15, 34
	;; [unrolled: 1-line block ×15, first 2 shown]
	v_mov_b32_e32 v85, s25
	s_mul_i32 s89, s15, 48
	v_mov_b32_e32 v86, 0
	v_accvgpr_write_b32 a15, 0
	v_accvgpr_write_b32 a14, 0
	;; [unrolled: 1-line block ×16, first 2 shown]
	v_mov_b32_e32 v87, s43
	s_mul_i32 s43, s15, 49
	s_mul_i32 s90, s15, 50
	;; [unrolled: 1-line block ×15, first 2 shown]
	s_mov_b64 s[8:9], 0
	s_branch .LBB78_6
.LBB78_5:                               ;   in Loop: Header=BB78_6 Depth=1
	s_waitcnt vmcnt(0)
	ds_write2_b32 v83, v88, v90 offset1:66
	ds_write2_b32 v83, v89, v91 offset0:132 offset1:198
	v_add_u32_e32 v88, 0x400, v83
	ds_write2_b32 v88, v86, v86 offset0:8 offset1:74
	ds_write2_b32 v88, v86, v86 offset0:140 offset1:206
	v_add_u32_e32 v88, 0x800, v83
	ds_write2_b32 v88, v86, v86 offset0:16 offset1:82
	;; [unrolled: 3-line block ×3, first 2 shown]
	ds_write2_b32 v88, v86, v86 offset0:156 offset1:222
	ds_read2_b64 v[88:91], v84 offset1:4
	v_accvgpr_write_b32 a4, v8
	v_accvgpr_write_b32 a11, v7
	;; [unrolled: 1-line block ×12, first 2 shown]
	s_waitcnt lgkmcnt(0)
	v_mfma_f32_16x16x4f32 a[0:3], v42, v88, a[0:3]
	ds_read2_b64 v[0:3], v84 offset0:8 offset1:12
	v_add_co_u32_e32 v12, vcc, 0x200, v12
	v_add_u32_e32 v82, 0x80, v82
	v_addc_co_u32_e32 v13, vcc, 0, v13, vcc
	v_cmp_le_i32_e32 vcc, s12, v82
	v_mfma_f32_16x16x4f32 a[4:7], v54, v88, a[4:7]
	s_or_b64 s[8:9], vcc, s[8:9]
	v_mfma_f32_16x16x4f32 a[8:11], v60, v88, a[8:11]
	v_mfma_f32_16x16x4f32 a[12:15], v76, v88, a[12:15]
	;; [unrolled: 1-line block ×14, first 2 shown]
	s_waitcnt lgkmcnt(0)
	v_mfma_f32_16x16x4f32 a[0:3], v30, v0, a[0:3]
	v_mfma_f32_16x16x4f32 a[4:7], v46, v0, a[4:7]
	;; [unrolled: 1-line block ×16, first 2 shown]
	ds_read2_b64 v[0:3], v84 offset0:16 offset1:20
	s_waitcnt lgkmcnt(0)
	v_mfma_f32_16x16x4f32 a[0:3], v22, v0, a[0:3]
	v_mfma_f32_16x16x4f32 a[4:7], v34, v0, a[4:7]
	;; [unrolled: 1-line block ×16, first 2 shown]
	ds_read2_b64 v[0:3], v84 offset0:24 offset1:28
	s_waitcnt lgkmcnt(0)
	v_mfma_f32_16x16x4f32 a[0:3], v16, v0, a[0:3]
	v_mfma_f32_16x16x4f32 a[4:7], v24, v0, a[4:7]
	;; [unrolled: 1-line block ×16, first 2 shown]
	s_andn2_b64 exec, exec, s[8:9]
	s_cbranch_execz .LBB78_18
.LBB78_6:                               ; =>This Inner Loop Header: Depth=1
	v_add_co_u32_e32 v0, vcc, s42, v12
	v_addc_co_u32_e32 v1, vcc, v13, v87, vcc
	global_load_dword v18, v[12:13], off
	global_load_dword v19, v[0:1], off
	v_add_u32_e32 v0, s7, v82
	v_ashrrev_i32_e32 v1, 31, v0
	v_lshlrev_b64 v[0:1], 2, v[0:1]
	v_add_u32_e32 v2, s44, v82
	v_add_co_u32_e32 v0, vcc, s0, v0
	v_ashrrev_i32_e32 v3, 31, v2
	v_addc_co_u32_e32 v1, vcc, v85, v1, vcc
	v_lshlrev_b64 v[2:3], 2, v[2:3]
	v_add_u32_e32 v4, s45, v82
	v_add_co_u32_e32 v2, vcc, s0, v2
	v_ashrrev_i32_e32 v5, 31, v4
	v_addc_co_u32_e32 v3, vcc, v85, v3, vcc
	;; [unrolled: 5-line block ×5, first 2 shown]
	v_lshlrev_b64 v[10:11], 2, v[10:11]
	v_add_co_u32_e32 v10, vcc, s0, v10
	v_addc_co_u32_e32 v11, vcc, v85, v11, vcc
	global_load_dword v20, v[0:1], off
	global_load_dword v21, v[2:3], off
	;; [unrolled: 1-line block ×6, first 2 shown]
	v_add_u32_e32 v14, s49, v82
	v_ashrrev_i32_e32 v15, 31, v14
	v_add_u32_e32 v16, s50, v82
	v_lshlrev_b64 v[14:15], 2, v[14:15]
	v_ashrrev_i32_e32 v17, 31, v16
	v_add_co_u32_e32 v14, vcc, s0, v14
	v_lshlrev_b64 v[16:17], 2, v[16:17]
	v_addc_co_u32_e32 v15, vcc, v85, v15, vcc
	v_add_co_u32_e32 v16, vcc, s0, v16
	v_addc_co_u32_e32 v17, vcc, v85, v17, vcc
	v_add_u32_e32 v26, s56, v82
	v_ashrrev_i32_e32 v27, 31, v26
	v_lshlrev_b64 v[26:27], 2, v[26:27]
	v_add_u32_e32 v28, s57, v82
	v_ashrrev_i32_e32 v29, 31, v28
	v_lshlrev_b64 v[28:29], 2, v[28:29]
	;; [unrolled: 3-line block ×6, first 2 shown]
	s_waitcnt vmcnt(7)
	ds_write_b32 v83, v18
	s_waitcnt vmcnt(6)
	ds_write_b32 v83, v19 offset:264
	global_load_dword v14, v[14:15], off
	s_nop 0
	global_load_dword v15, v[16:17], off
	v_add_u32_e32 v16, s51, v82
	v_ashrrev_i32_e32 v17, 31, v16
	v_lshlrev_b64 v[16:17], 2, v[16:17]
	v_add_u32_e32 v18, s52, v82
	v_add_co_u32_e32 v16, vcc, s0, v16
	v_ashrrev_i32_e32 v19, 31, v18
	v_addc_co_u32_e32 v17, vcc, v85, v17, vcc
	v_lshlrev_b64 v[18:19], 2, v[18:19]
	s_waitcnt vmcnt(7)
	ds_write_b32 v83, v20 offset:528
	s_waitcnt vmcnt(6)
	ds_write_b32 v83, v21 offset:792
	;; [unrolled: 2-line block ×6, first 2 shown]
	v_add_u32_e32 v20, s53, v82
	v_add_co_u32_e32 v18, vcc, s0, v18
	v_ashrrev_i32_e32 v21, 31, v20
	v_addc_co_u32_e32 v19, vcc, v85, v19, vcc
	v_lshlrev_b64 v[20:21], 2, v[20:21]
	v_add_u32_e32 v22, s54, v82
	v_add_co_u32_e32 v20, vcc, s0, v20
	v_ashrrev_i32_e32 v23, 31, v22
	v_addc_co_u32_e32 v21, vcc, v85, v21, vcc
	v_lshlrev_b64 v[22:23], 2, v[22:23]
	;; [unrolled: 5-line block ×3, first 2 shown]
	v_add_co_u32_e32 v24, vcc, s0, v24
	v_addc_co_u32_e32 v25, vcc, v85, v25, vcc
	v_add_co_u32_e32 v26, vcc, s0, v26
	v_addc_co_u32_e32 v27, vcc, v85, v27, vcc
	;; [unrolled: 2-line block ×4, first 2 shown]
	global_load_dword v16, v[16:17], off
	s_nop 0
	global_load_dword v17, v[18:19], off
	s_nop 0
	global_load_dword v18, v[20:21], off
	global_load_dword v19, v[22:23], off
	s_nop 0
	global_load_dword v22, v[24:25], off
	global_load_dword v23, v[26:27], off
	;; [unrolled: 1-line block ×4, first 2 shown]
	v_add_u32_e32 v24, s59, v82
	v_ashrrev_i32_e32 v25, 31, v24
	v_lshlrev_b64 v[24:25], 2, v[24:25]
	v_add_u32_e32 v26, s60, v82
	v_add_co_u32_e32 v24, vcc, s0, v24
	v_ashrrev_i32_e32 v27, 31, v26
	v_addc_co_u32_e32 v25, vcc, v85, v25, vcc
	v_lshlrev_b64 v[26:27], 2, v[26:27]
	v_add_u32_e32 v28, s61, v82
	v_add_co_u32_e32 v26, vcc, s0, v26
	v_ashrrev_i32_e32 v29, 31, v28
	v_addc_co_u32_e32 v27, vcc, v85, v27, vcc
	;; [unrolled: 5-line block ×3, first 2 shown]
	v_lshlrev_b64 v[30:31], 2, v[30:31]
	v_add_co_u32_e32 v30, vcc, s0, v30
	v_addc_co_u32_e32 v31, vcc, v85, v31, vcc
	v_add_co_u32_e32 v32, vcc, s0, v32
	v_addc_co_u32_e32 v33, vcc, v85, v33, vcc
	;; [unrolled: 2-line block ×3, first 2 shown]
	v_add_u32_e32 v38, s66, v82
	v_add_co_u32_e32 v36, vcc, s0, v36
	v_ashrrev_i32_e32 v39, 31, v38
	v_addc_co_u32_e32 v37, vcc, v85, v37, vcc
	v_lshlrev_b64 v[38:39], 2, v[38:39]
	v_add_co_u32_e32 v38, vcc, s0, v38
	v_addc_co_u32_e32 v39, vcc, v85, v39, vcc
	global_load_dword v24, v[24:25], off
	s_nop 0
	global_load_dword v25, v[26:27], off
	s_nop 0
	;; [unrolled: 2-line block ×6, first 2 shown]
	global_load_dword v34, v[36:37], off
	global_load_dword v35, v[38:39], off
	v_add_u32_e32 v26, s67, v82
	v_ashrrev_i32_e32 v27, 31, v26
	v_lshlrev_b64 v[26:27], 2, v[26:27]
	v_add_u32_e32 v30, s68, v82
	v_add_co_u32_e32 v26, vcc, s0, v26
	v_ashrrev_i32_e32 v31, 31, v30
	v_addc_co_u32_e32 v27, vcc, v85, v27, vcc
	v_lshlrev_b64 v[30:31], 2, v[30:31]
	v_add_u32_e32 v36, s69, v82
	v_add_co_u32_e32 v30, vcc, s0, v30
	v_ashrrev_i32_e32 v37, 31, v36
	v_addc_co_u32_e32 v31, vcc, v85, v31, vcc
	;; [unrolled: 5-line block ×4, first 2 shown]
	v_lshlrev_b64 v[40:41], 2, v[40:41]
	v_add_co_u32_e32 v42, vcc, s0, v40
	v_add_u32_e32 v40, s72, v82
	v_addc_co_u32_e32 v43, vcc, v85, v41, vcc
	v_ashrrev_i32_e32 v41, 31, v40
	v_lshlrev_b64 v[40:41], 2, v[40:41]
	v_add_co_u32_e32 v48, vcc, s0, v40
	v_add_u32_e32 v40, s73, v82
	v_addc_co_u32_e32 v49, vcc, v85, v41, vcc
	v_ashrrev_i32_e32 v41, 31, v40
	;; [unrolled: 5-line block ×3, first 2 shown]
	v_lshlrev_b64 v[40:41], 2, v[40:41]
	v_add_co_u32_e32 v52, vcc, s0, v40
	v_addc_co_u32_e32 v53, vcc, v85, v41, vcc
	global_load_dword v40, v[26:27], off
	global_load_dword v41, v[30:31], off
	;; [unrolled: 1-line block ×6, first 2 shown]
	s_nop 0
	global_load_dword v38, v[50:51], off
	global_load_dword v39, v[52:53], off
	v_add_u32_e32 v26, s75, v82
	v_ashrrev_i32_e32 v27, 31, v26
	v_lshlrev_b64 v[26:27], 2, v[26:27]
	v_add_u32_e32 v30, s76, v82
	v_add_co_u32_e32 v26, vcc, s0, v26
	v_ashrrev_i32_e32 v31, 31, v30
	v_addc_co_u32_e32 v27, vcc, v85, v27, vcc
	v_lshlrev_b64 v[30:31], 2, v[30:31]
	v_add_u32_e32 v36, s77, v82
	v_add_co_u32_e32 v30, vcc, s0, v30
	v_ashrrev_i32_e32 v37, 31, v36
	v_addc_co_u32_e32 v31, vcc, v85, v31, vcc
	v_lshlrev_b64 v[36:37], 2, v[36:37]
	v_add_u32_e32 v42, s78, v82
	v_add_co_u32_e32 v36, vcc, s0, v36
	v_ashrrev_i32_e32 v43, 31, v42
	v_addc_co_u32_e32 v37, vcc, v85, v37, vcc
	v_lshlrev_b64 v[42:43], 2, v[42:43]
	v_add_u32_e32 v48, s79, v82
	v_add_co_u32_e32 v42, vcc, s0, v42
	v_ashrrev_i32_e32 v49, 31, v48
	v_addc_co_u32_e32 v43, vcc, v85, v43, vcc
	v_lshlrev_b64 v[48:49], 2, v[48:49]
	v_add_u32_e32 v50, s80, v82
	v_add_co_u32_e32 v48, vcc, s0, v48
	v_ashrrev_i32_e32 v51, 31, v50
	v_addc_co_u32_e32 v49, vcc, v85, v49, vcc
	v_lshlrev_b64 v[50:51], 2, v[50:51]
	v_add_u32_e32 v52, s81, v82
	v_add_co_u32_e32 v50, vcc, s0, v50
	v_ashrrev_i32_e32 v53, 31, v52
	v_addc_co_u32_e32 v51, vcc, v85, v51, vcc
	v_lshlrev_b64 v[52:53], 2, v[52:53]
	v_add_u32_e32 v54, s82, v82
	v_add_co_u32_e32 v52, vcc, s0, v52
	v_ashrrev_i32_e32 v55, 31, v54
	v_addc_co_u32_e32 v53, vcc, v85, v53, vcc
	v_lshlrev_b64 v[54:55], 2, v[54:55]
	v_add_co_u32_e32 v54, vcc, s0, v54
	v_addc_co_u32_e32 v55, vcc, v85, v55, vcc
	global_load_dword v56, v[26:27], off
	global_load_dword v57, v[30:31], off
	global_load_dword v58, v[36:37], off
	global_load_dword v59, v[42:43], off
	global_load_dword v60, v[48:49], off
	global_load_dword v61, v[50:51], off
	global_load_dword v62, v[52:53], off
	global_load_dword v63, v[54:55], off
	v_add_u32_e32 v26, s83, v82
	v_ashrrev_i32_e32 v27, 31, v26
	v_lshlrev_b64 v[26:27], 2, v[26:27]
	v_add_u32_e32 v30, s84, v82
	v_add_co_u32_e32 v26, vcc, s0, v26
	v_ashrrev_i32_e32 v31, 31, v30
	v_addc_co_u32_e32 v27, vcc, v85, v27, vcc
	v_lshlrev_b64 v[30:31], 2, v[30:31]
	v_add_u32_e32 v36, s85, v82
	v_add_co_u32_e32 v30, vcc, s0, v30
	v_ashrrev_i32_e32 v37, 31, v36
	v_addc_co_u32_e32 v31, vcc, v85, v31, vcc
	v_lshlrev_b64 v[36:37], 2, v[36:37]
	v_add_u32_e32 v42, s86, v82
	v_add_co_u32_e32 v36, vcc, s0, v36
	v_ashrrev_i32_e32 v43, 31, v42
	v_addc_co_u32_e32 v37, vcc, v85, v37, vcc
	v_lshlrev_b64 v[42:43], 2, v[42:43]
	v_add_u32_e32 v48, s87, v82
	v_add_co_u32_e32 v42, vcc, s0, v42
	v_ashrrev_i32_e32 v49, 31, v48
	v_addc_co_u32_e32 v43, vcc, v85, v43, vcc
	v_lshlrev_b64 v[48:49], 2, v[48:49]
	v_add_u32_e32 v50, s88, v82
	v_add_co_u32_e32 v48, vcc, s0, v48
	v_ashrrev_i32_e32 v51, 31, v50
	v_addc_co_u32_e32 v49, vcc, v85, v49, vcc
	v_lshlrev_b64 v[50:51], 2, v[50:51]
	v_add_u32_e32 v52, s89, v82
	v_add_co_u32_e32 v50, vcc, s0, v50
	v_ashrrev_i32_e32 v53, 31, v52
	v_addc_co_u32_e32 v51, vcc, v85, v51, vcc
	v_lshlrev_b64 v[52:53], 2, v[52:53]
	v_add_u32_e32 v54, s43, v82
	v_add_co_u32_e32 v52, vcc, s0, v52
	v_ashrrev_i32_e32 v55, 31, v54
	v_addc_co_u32_e32 v53, vcc, v85, v53, vcc
	v_lshlrev_b64 v[54:55], 2, v[54:55]
	v_add_co_u32_e32 v54, vcc, s0, v54
	v_addc_co_u32_e32 v55, vcc, v85, v55, vcc
	global_load_dword v64, v[26:27], off
	global_load_dword v65, v[30:31], off
	global_load_dword v66, v[36:37], off
	global_load_dword v67, v[42:43], off
	global_load_dword v68, v[48:49], off
	global_load_dword v69, v[50:51], off
	;; [unrolled: 48-line block ×3, first 2 shown]
	global_load_dword v88, v[52:53], off
	global_load_dword v89, v[54:55], off
	v_add_u32_e32 v26, s22, v82
	v_ashrrev_i32_e32 v27, 31, v26
	v_lshlrev_b64 v[26:27], 2, v[26:27]
	v_add_u32_e32 v30, s23, v82
	v_add_co_u32_e32 v26, vcc, s0, v26
	v_ashrrev_i32_e32 v31, 31, v30
	v_addc_co_u32_e32 v27, vcc, v85, v27, vcc
	v_lshlrev_b64 v[30:31], 2, v[30:31]
	v_add_u32_e32 v36, s28, v82
	v_add_co_u32_e32 v30, vcc, s0, v30
	v_ashrrev_i32_e32 v37, 31, v36
	v_addc_co_u32_e32 v31, vcc, v85, v31, vcc
	;; [unrolled: 5-line block ×5, first 2 shown]
	v_lshlrev_b64 v[50:51], 2, v[50:51]
	v_add_co_u32_e32 v50, vcc, s0, v50
	v_addc_co_u32_e32 v51, vcc, v85, v51, vcc
	global_load_dword v90, v[26:27], off
	global_load_dword v91, v[30:31], off
	;; [unrolled: 1-line block ×6, first 2 shown]
	s_waitcnt vmcnt(55)
	ds_write_b32 v83, v14 offset:2112
	s_waitcnt vmcnt(54)
	ds_write_b32 v83, v15 offset:2376
	s_waitcnt vmcnt(53)
	ds_write_b32 v83, v16 offset:2640
	s_waitcnt vmcnt(52)
	ds_write_b32 v83, v17 offset:2904
	s_waitcnt vmcnt(51)
	ds_write_b32 v83, v18 offset:3168
	s_waitcnt vmcnt(50)
	ds_write_b32 v83, v19 offset:3432
	s_waitcnt vmcnt(49)
	ds_write_b32 v83, v22 offset:3696
	s_waitcnt vmcnt(48)
	ds_write_b32 v83, v23 offset:3960
	ds_read_b64 v[42:43], v84
	ds_read_b64 v[36:37], v84 offset:32
	ds_read_b64 v[30:31], v84 offset:64
	ds_read_b64 v[26:27], v84 offset:96
	ds_read_b64 v[22:23], v84 offset:128
	ds_read_b64 v[18:19], v84 offset:160
	ds_read_b64 v[16:17], v84 offset:192
	ds_read_b64 v[14:15], v84 offset:224
	s_waitcnt vmcnt(47)
	ds_write_b32 v83, v20
	s_waitcnt vmcnt(46)
	ds_write_b32 v83, v21 offset:264
	s_waitcnt vmcnt(45)
	ds_write_b32 v83, v24 offset:528
	s_waitcnt vmcnt(44)
	ds_write_b32 v83, v25 offset:792
	s_waitcnt vmcnt(43)
	ds_write_b32 v83, v28 offset:1056
	s_waitcnt vmcnt(42)
	ds_write_b32 v83, v29 offset:1320
	s_waitcnt vmcnt(41)
	ds_write_b32 v83, v32 offset:1584
	s_waitcnt vmcnt(40)
	ds_write_b32 v83, v33 offset:1848
	s_waitcnt vmcnt(39)
	ds_write_b32 v83, v34 offset:2112
	s_waitcnt vmcnt(38)
	ds_write_b32 v83, v35 offset:2376
	s_waitcnt vmcnt(37)
	ds_write_b32 v83, v40 offset:2640
	s_waitcnt vmcnt(36)
	ds_write_b32 v83, v41 offset:2904
	s_waitcnt vmcnt(35)
	ds_write_b32 v83, v44 offset:3168
	s_waitcnt vmcnt(34)
	ds_write_b32 v83, v45 offset:3432
	s_waitcnt vmcnt(33)
	ds_write_b32 v83, v46 offset:3696
	s_waitcnt vmcnt(32)
	ds_write_b32 v83, v47 offset:3960
	ds_read_b64 v[54:55], v84
	ds_read_b64 v[50:51], v84 offset:32
	ds_read_b64 v[46:47], v84 offset:64
	ds_read_b64 v[40:41], v84 offset:96
	ds_read_b64 v[34:35], v84 offset:128
	ds_read_b64 v[28:29], v84 offset:160
	ds_read_b64 v[24:25], v84 offset:192
	ds_read_b64 v[20:21], v84 offset:224
	s_waitcnt vmcnt(31)
	ds_write_b32 v83, v38
	s_waitcnt vmcnt(30)
	ds_write_b32 v83, v39 offset:264
	s_waitcnt vmcnt(29)
	ds_write_b32 v83, v56 offset:528
	s_waitcnt vmcnt(28)
	ds_write_b32 v83, v57 offset:792
	s_waitcnt vmcnt(27)
	ds_write_b32 v83, v58 offset:1056
	s_waitcnt vmcnt(26)
	ds_write_b32 v83, v59 offset:1320
	s_waitcnt vmcnt(25)
	ds_write_b32 v83, v60 offset:1584
	s_waitcnt vmcnt(24)
	ds_write_b32 v83, v61 offset:1848
	;; [unrolled: 40-line block ×3, first 2 shown]
	s_waitcnt vmcnt(7)
	ds_write_b32 v83, v88 offset:2112
	s_waitcnt vmcnt(6)
	ds_write_b32 v83, v89 offset:2376
	;; [unrolled: 2-line block ×8, first 2 shown]
	ds_read_b64 v[76:77], v84
	ds_read_b64 v[74:75], v84 offset:32
	ds_read_b64 v[72:73], v84 offset:64
	;; [unrolled: 1-line block ×7, first 2 shown]
	v_accvgpr_read_b32 v3, a15
	v_accvgpr_read_b32 v2, a14
	;; [unrolled: 1-line block ×12, first 2 shown]
	s_andn2_b64 vcc, exec, s[4:5]
	v_mov_b32_e32 v88, 0
	s_cbranch_vccnz .LBB78_9
; %bb.7:                                ;   in Loop: Header=BB78_6 Depth=1
	s_load_dword vcc_lo, s[34:35], 0x0
	v_mov_b32_e32 v88, 0
	s_waitcnt lgkmcnt(0)
	s_mul_hi_u32 vcc_hi, vcc_lo, s16
	s_add_i32 vcc_hi, vcc_lo, vcc_hi
	s_lshr_b32 s30, vcc_hi, s17
	s_cmp_ge_i32 s30, s13
	s_cbranch_scc1 .LBB78_9
; %bb.8:                                ;   in Loop: Header=BB78_6 Depth=1
	s_mul_i32 vcc_hi, s30, s18
	s_sub_i32 s31, vcc_lo, vcc_hi
	s_mul_i32 s31, s31, s1
	s_mul_i32 s30, s30, s20
	s_add_i32 s30, s30, s31
	v_add_u32_e32 v88, s30, v82
	v_ashrrev_i32_e32 v89, 31, v88
	v_lshlrev_b64 v[88:89], 2, v[88:89]
	v_mov_b32_e32 v90, s11
	v_add_co_u32_e32 v88, vcc, s10, v88
	v_addc_co_u32_e32 v89, vcc, v90, v89, vcc
	global_load_dword v88, v[88:89], off
.LBB78_9:                               ;   in Loop: Header=BB78_6 Depth=1
	s_andn2_b64 vcc, exec, s[36:37]
	v_mov_b32_e32 v89, 0
	v_mov_b32_e32 v90, 0
	s_cbranch_vccnz .LBB78_12
; %bb.10:                               ;   in Loop: Header=BB78_6 Depth=1
	s_load_dword vcc_lo, s[34:35], 0x4
	v_mov_b32_e32 v90, 0
	s_waitcnt lgkmcnt(0)
	s_mul_hi_u32 s30, vcc_lo, s16
	s_add_i32 s30, vcc_lo, s30
	s_lshr_b32 vcc_hi, s30, s17
	s_cmp_ge_i32 vcc_hi, s13
	s_cbranch_scc1 .LBB78_12
; %bb.11:                               ;   in Loop: Header=BB78_6 Depth=1
	s_mul_i32 s30, vcc_hi, s18
	s_sub_i32 s30, vcc_lo, s30
	s_mul_i32 s30, s30, s1
	s_mul_i32 s31, vcc_hi, s20
	s_add_i32 s31, s31, s30
	v_add_u32_e32 v90, s31, v82
	v_ashrrev_i32_e32 v91, 31, v90
	v_lshlrev_b64 v[90:91], 2, v[90:91]
	v_mov_b32_e32 v92, s11
	v_add_co_u32_e32 v90, vcc, s10, v90
	v_addc_co_u32_e32 v91, vcc, v92, v91, vcc
	global_load_dword v90, v[90:91], off
.LBB78_12:                              ;   in Loop: Header=BB78_6 Depth=1
	s_andn2_b64 vcc, exec, s[38:39]
	s_cbranch_vccnz .LBB78_15
; %bb.13:                               ;   in Loop: Header=BB78_6 Depth=1
	s_load_dword vcc_lo, s[34:35], 0x8
	v_mov_b32_e32 v89, 0
	s_waitcnt lgkmcnt(0)
	s_mul_hi_u32 s30, vcc_lo, s16
	s_add_i32 s30, vcc_lo, s30
	s_lshr_b32 vcc_hi, s30, s17
	s_cmp_ge_i32 vcc_hi, s13
	s_cbranch_scc1 .LBB78_15
; %bb.14:                               ;   in Loop: Header=BB78_6 Depth=1
	s_mul_i32 s30, vcc_hi, s18
	s_sub_i32 s30, vcc_lo, s30
	s_mul_i32 s30, s30, s1
	s_mul_i32 s31, vcc_hi, s20
	s_add_i32 s31, s31, s30
	v_add_u32_e32 v92, s31, v82
	v_ashrrev_i32_e32 v93, 31, v92
	v_lshlrev_b64 v[92:93], 2, v[92:93]
	v_mov_b32_e32 v89, s11
	v_add_co_u32_e32 v92, vcc, s10, v92
	v_addc_co_u32_e32 v93, vcc, v89, v93, vcc
	global_load_dword v89, v[92:93], off
.LBB78_15:                              ;   in Loop: Header=BB78_6 Depth=1
	s_andn2_b64 vcc, exec, s[40:41]
	v_mov_b32_e32 v91, 0
	s_cbranch_vccnz .LBB78_5
; %bb.16:                               ;   in Loop: Header=BB78_6 Depth=1
	s_load_dword vcc_lo, s[34:35], 0xc
	v_mov_b32_e32 v91, 0
	s_waitcnt lgkmcnt(0)
	s_mul_hi_u32 s30, vcc_lo, s16
	s_add_i32 s30, vcc_lo, s30
	s_lshr_b32 vcc_hi, s30, s17
	s_cmp_ge_i32 vcc_hi, s13
	s_cbranch_scc1 .LBB78_5
; %bb.17:                               ;   in Loop: Header=BB78_6 Depth=1
	s_mul_i32 s30, vcc_hi, s18
	s_sub_i32 s30, vcc_lo, s30
	s_mul_i32 s30, s30, s1
	s_mul_i32 s31, vcc_hi, s20
	s_add_i32 s31, s31, s30
	v_add_u32_e32 v92, s31, v82
	v_ashrrev_i32_e32 v93, 31, v92
	v_lshlrev_b64 v[92:93], 2, v[92:93]
	v_mov_b32_e32 v91, s11
	v_add_co_u32_e32 v92, vcc, s10, v92
	v_addc_co_u32_e32 v93, vcc, v91, v93, vcc
	global_load_dword v91, v[92:93], off
	s_branch .LBB78_5
.LBB78_18:
	s_or_b64 exec, exec, s[8:9]
	v_readlane_b32 s24, v96, 6
	v_readlane_b32 s25, v96, 7
	;; [unrolled: 1-line block ×3, first 2 shown]
.LBB78_19:
	v_readlane_b32 s0, v96, 4
	v_readlane_b32 s1, v96, 5
	s_or_b64 exec, exec, s[0:1]
	s_lshl_b64 s[0:1], s[26:27], 2
	v_readlane_b32 s4, v96, 0
	v_mul_u32_u24_e32 v0, 0x208, v81
	v_lshlrev_b32_e32 v1, 2, v80
	v_or_b32_e32 v2, 12, v79
	v_readlane_b32 s5, v96, 1
	s_add_u32 s3, s4, s0
	v_add3_u32 v0, 0, v0, v1
	v_and_b32_e32 v1, 0x3f0, v79
	v_and_b32_e32 v2, 0x3fc, v2
	s_addc_u32 s7, s5, s1
	v_add_u32_e32 v1, v0, v1
	v_add_u32_e32 v0, v0, v2
	s_barrier
	ds_write2_b32 v1, a0, a1 offset1:1
	ds_write_b32 v1, a2 offset:8
	ds_write_b32 v0, a3
	ds_write2_b32 v1, a4, a5 offset0:16 offset1:17
	ds_write_b32 v1, a6 offset:72
	ds_write_b32 v0, a7 offset:64
	ds_write2_b32 v1, a8, a9 offset0:32 offset1:33
	ds_write_b32 v1, a10 offset:136
	ds_write_b32 v0, a11 offset:128
	;; [unrolled: 3-line block ×3, first 2 shown]
	s_cmp_gt_i32 s14, 0
	v_add_u32_e32 v0, s6, v78
	s_cselect_b64 s[4:5], -1, 0
	v_cmp_gt_i32_e64 s[0:1], s33, v0
	v_cmp_gt_u32_e32 vcc, 4, v78
	s_and_b64 s[0:1], s[4:5], s[0:1]
	v_lshl_add_u32 v3, v79, 2, 0
	v_add_u32_e32 v2, s28, v79
	v_mul_u32_u24_e32 v4, 0x208, v78
	s_and_b64 s[8:9], vcc, s[0:1]
	s_waitcnt lgkmcnt(0)
	s_barrier
	s_and_saveexec_b64 s[0:1], s[8:9]
	s_cbranch_execz .LBB78_22
; %bb.20:
	v_ashrrev_i32_e32 v1, 31, v0
	v_lshlrev_b64 v[6:7], 2, v[0:1]
	v_mov_b32_e32 v1, s7
	v_add_co_u32_e32 v6, vcc, s3, v6
	v_addc_co_u32_e32 v7, vcc, v1, v7, vcc
	global_load_dword v1, v[6:7], off
	s_waitcnt vmcnt(0)
	v_mul_hi_u32 v5, v1, s19
	v_add_u32_e32 v5, v1, v5
	v_lshrrev_b32_e32 v5, s24, v5
	v_cmp_gt_i32_e32 vcc, s13, v5
	s_and_b64 exec, exec, vcc
	s_cbranch_execz .LBB78_22
; %bb.21:
	v_add_u32_e32 v6, v3, v4
	ds_read2st64_b32 v[6:7], v6 offset1:1
	v_mul_lo_u32 v8, v5, s25
	v_sub_u32_e32 v1, v1, v8
	v_mul_lo_u32 v5, v5, s21
	v_mul_lo_u32 v1, v1, s2
	s_waitcnt lgkmcnt(0)
	v_add_f32_e32 v6, 0, v6
	v_add_f32_e32 v8, v6, v7
	v_add3_u32 v6, v2, v5, v1
	v_mov_b32_e32 v7, 0
	v_readlane_b32 s8, v96, 2
	v_lshlrev_b64 v[6:7], 2, v[6:7]
	v_readlane_b32 s9, v96, 3
	v_mov_b32_e32 v1, s9
	v_add_co_u32_e32 v6, vcc, s8, v6
	v_addc_co_u32_e32 v7, vcc, v1, v7, vcc
	global_store_dword v[6:7], v8, off
.LBB78_22:
	s_or_b64 exec, exec, s[0:1]
	v_add_u32_e32 v0, 2, v0
	v_cmp_gt_i32_e64 s[0:1], s33, v0
	v_cmp_gt_u32_e32 vcc, 2, v78
	s_and_b64 s[0:1], s[4:5], s[0:1]
	s_and_b64 s[0:1], vcc, s[0:1]
	s_and_saveexec_b64 s[4:5], s[0:1]
	s_cbranch_execz .LBB78_25
; %bb.23:
	s_ashr_i32 s0, s6, 31
	v_mov_b32_e32 v1, s0
	v_add_co_u32_e32 v0, vcc, s6, v78
	v_addc_co_u32_e32 v1, vcc, 0, v1, vcc
	v_lshlrev_b64 v[0:1], 2, v[0:1]
	v_mov_b32_e32 v5, s7
	v_add_co_u32_e32 v0, vcc, s3, v0
	v_addc_co_u32_e32 v1, vcc, v5, v1, vcc
	global_load_dword v0, v[0:1], off offset:8
	v_mov_b32_e32 v1, 0
	s_waitcnt vmcnt(0)
	v_mul_hi_u32 v5, v0, s19
	v_add_u32_e32 v5, v0, v5
	v_lshrrev_b32_e32 v5, s24, v5
	v_cmp_gt_i32_e32 vcc, s13, v5
	s_and_b64 exec, exec, vcc
	s_cbranch_execz .LBB78_25
; %bb.24:
	v_add_u32_e32 v3, v4, v3
	v_add_u32_e32 v3, 16, v3
	ds_read2st64_b32 v[6:7], v3 offset0:4 offset1:5
	v_mul_lo_u32 v3, v5, s25
	v_sub_u32_e32 v0, v0, v3
	v_mul_lo_u32 v4, v5, s21
	v_mul_lo_u32 v0, v0, s2
	v_add3_u32 v0, v2, v4, v0
	v_readlane_b32 s0, v96, 2
	v_lshlrev_b64 v[0:1], 2, v[0:1]
	v_readlane_b32 s1, v96, 3
	s_waitcnt lgkmcnt(0)
	v_add_f32_e32 v3, 0, v6
	v_mov_b32_e32 v2, s1
	v_add_co_u32_e32 v0, vcc, s0, v0
	v_add_f32_e32 v3, v3, v7
	v_addc_co_u32_e32 v1, vcc, v2, v1, vcc
	global_store_dword v[0:1], v3, off
.LBB78_25:
	s_endpgm
	.section	.rodata,"a",@progbits
	.p2align	6, 0x0
	.amdhsa_kernel _ZL13mul_mat_f_idsIfLi64ELi4ELi2EEvPKT_PKfPKiS6_S6_Pfiiiiiiiiiiiiii15HIP_vector_typeIjLj3EES9_
		.amdhsa_group_segment_fixed_size 0
		.amdhsa_private_segment_fixed_size 0
		.amdhsa_kernarg_size 128
		.amdhsa_user_sgpr_count 6
		.amdhsa_user_sgpr_private_segment_buffer 1
		.amdhsa_user_sgpr_dispatch_ptr 0
		.amdhsa_user_sgpr_queue_ptr 0
		.amdhsa_user_sgpr_kernarg_segment_ptr 1
		.amdhsa_user_sgpr_dispatch_id 0
		.amdhsa_user_sgpr_flat_scratch_init 0
		.amdhsa_user_sgpr_kernarg_preload_length 0
		.amdhsa_user_sgpr_kernarg_preload_offset 0
		.amdhsa_user_sgpr_private_segment_size 0
		.amdhsa_uses_dynamic_stack 0
		.amdhsa_system_sgpr_private_segment_wavefront_offset 0
		.amdhsa_system_sgpr_workgroup_id_x 1
		.amdhsa_system_sgpr_workgroup_id_y 1
		.amdhsa_system_sgpr_workgroup_id_z 1
		.amdhsa_system_sgpr_workgroup_info 0
		.amdhsa_system_vgpr_workitem_id 1
		.amdhsa_next_free_vgpr 116
		.amdhsa_next_free_sgpr 96
		.amdhsa_accum_offset 100
		.amdhsa_reserve_vcc 1
		.amdhsa_reserve_flat_scratch 0
		.amdhsa_float_round_mode_32 0
		.amdhsa_float_round_mode_16_64 0
		.amdhsa_float_denorm_mode_32 3
		.amdhsa_float_denorm_mode_16_64 3
		.amdhsa_dx10_clamp 1
		.amdhsa_ieee_mode 1
		.amdhsa_fp16_overflow 0
		.amdhsa_tg_split 0
		.amdhsa_exception_fp_ieee_invalid_op 0
		.amdhsa_exception_fp_denorm_src 0
		.amdhsa_exception_fp_ieee_div_zero 0
		.amdhsa_exception_fp_ieee_overflow 0
		.amdhsa_exception_fp_ieee_underflow 0
		.amdhsa_exception_fp_ieee_inexact 0
		.amdhsa_exception_int_div_zero 0
	.end_amdhsa_kernel
	.section	.text._ZL13mul_mat_f_idsIfLi64ELi4ELi2EEvPKT_PKfPKiS6_S6_Pfiiiiiiiiiiiiii15HIP_vector_typeIjLj3EES9_,"axG",@progbits,_ZL13mul_mat_f_idsIfLi64ELi4ELi2EEvPKT_PKfPKiS6_S6_Pfiiiiiiiiiiiiii15HIP_vector_typeIjLj3EES9_,comdat
.Lfunc_end78:
	.size	_ZL13mul_mat_f_idsIfLi64ELi4ELi2EEvPKT_PKfPKiS6_S6_Pfiiiiiiiiiiiiii15HIP_vector_typeIjLj3EES9_, .Lfunc_end78-_ZL13mul_mat_f_idsIfLi64ELi4ELi2EEvPKT_PKfPKiS6_S6_Pfiiiiiiiiiiiiii15HIP_vector_typeIjLj3EES9_
                                        ; -- End function
	.section	.AMDGPU.csdata,"",@progbits
; Kernel info:
; codeLenInByte = 6108
; NumSgprs: 100
; NumVgprs: 97
; NumAgprs: 16
; TotalNumVgprs: 116
; ScratchSize: 0
; MemoryBound: 0
; FloatMode: 240
; IeeeMode: 1
; LDSByteSize: 0 bytes/workgroup (compile time only)
; SGPRBlocks: 12
; VGPRBlocks: 14
; NumSGPRsForWavesPerEU: 100
; NumVGPRsForWavesPerEU: 116
; AccumOffset: 100
; Occupancy: 4
; WaveLimiterHint : 1
; COMPUTE_PGM_RSRC2:SCRATCH_EN: 0
; COMPUTE_PGM_RSRC2:USER_SGPR: 6
; COMPUTE_PGM_RSRC2:TRAP_HANDLER: 0
; COMPUTE_PGM_RSRC2:TGID_X_EN: 1
; COMPUTE_PGM_RSRC2:TGID_Y_EN: 1
; COMPUTE_PGM_RSRC2:TGID_Z_EN: 1
; COMPUTE_PGM_RSRC2:TIDIG_COMP_CNT: 1
; COMPUTE_PGM_RSRC3_GFX90A:ACCUM_OFFSET: 24
; COMPUTE_PGM_RSRC3_GFX90A:TG_SPLIT: 0
	.section	.text._ZL9mul_mat_fIfLi64ELi4ELi2ELb1EEvPKT_PKfPKiPfiiiiiiiiiiiiiiii,"axG",@progbits,_ZL9mul_mat_fIfLi64ELi4ELi2ELb1EEvPKT_PKfPKiPfiiiiiiiiiiiiiiii,comdat
	.globl	_ZL9mul_mat_fIfLi64ELi4ELi2ELb1EEvPKT_PKfPKiPfiiiiiiiiiiiiiiii ; -- Begin function _ZL9mul_mat_fIfLi64ELi4ELi2ELb1EEvPKT_PKfPKiPfiiiiiiiiiiiiiiii
	.p2align	8
	.type	_ZL9mul_mat_fIfLi64ELi4ELi2ELb1EEvPKT_PKfPKiPfiiiiiiiiiiiiiiii,@function
_ZL9mul_mat_fIfLi64ELi4ELi2ELb1EEvPKT_PKfPKiPfiiiiiiiiiiiiiiii: ; @_ZL9mul_mat_fIfLi64ELi4ELi2ELb1EEvPKT_PKfPKiPfiiiiiiiiiiiiiiii
; %bb.0:
	s_load_dwordx8 s[16:23], s[4:5], 0x20
	v_and_b32_e32 v12, 0x3ff, v0
	v_bfe_u32 v13, v0, 10, 10
	v_cmp_eq_u32_e32 vcc, 0, v12
	s_waitcnt lgkmcnt(0)
	s_add_i32 s0, s17, 3
	s_ashr_i32 s1, s0, 31
	s_lshr_b32 s1, s1, 30
	s_add_i32 s0, s0, s1
	s_ashr_i32 s0, s0, 2
	v_cvt_f32_u32_e32 v1, s0
	s_load_dwordx4 s[24:27], s[4:5], 0x44
	s_load_dword s1, s[4:5], 0x64
	s_sub_i32 s2, 0, s0
	s_add_u32 s34, s4, 0x60
	v_rcp_iflag_f32_e32 v1, v1
	s_addc_u32 s35, s5, 0
	v_mul_f32_e32 v1, 0x4f7ffffe, v1
	v_cvt_u32_f32_e32 v1, v1
	v_readfirstlane_b32 s3, v1
	s_mul_i32 s2, s2, s3
	s_mul_hi_u32 s2, s3, s2
	s_add_i32 s3, s3, s2
	s_waitcnt lgkmcnt(0)
	s_mul_hi_u32 s2, s1, s3
	s_mul_i32 s3, s2, s0
	s_sub_i32 s1, s1, s3
	s_add_i32 s9, s2, 1
	s_sub_i32 s3, s1, s0
	s_cmp_ge_u32 s1, s0
	s_cselect_b32 s2, s9, s2
	s_cselect_b32 s1, s3, s1
	s_add_i32 s3, s2, 1
	s_cmp_ge_u32 s1, s0
	s_cselect_b32 s9, s3, s2
	v_cvt_f32_u32_e32 v1, s9
	s_abs_i32 s33, s27
	v_cvt_f32_u32_e32 v2, s33
	s_load_dwordx2 s[0:1], s[4:5], 0x10
	v_rcp_iflag_f32_e32 v1, v1
	s_sub_i32 s2, 0, s9
	v_rcp_iflag_f32_e32 v2, v2
	s_sub_i32 s38, 0, s33
	v_mul_f32_e32 v1, 0x4f7ffffe, v1
	v_cvt_u32_f32_e32 v1, v1
	v_mul_f32_e32 v2, 0x4f7ffffe, v2
	v_cvt_u32_f32_e32 v2, v2
	v_readfirstlane_b32 s3, v1
	s_mul_i32 s2, s2, s3
	s_mul_hi_u32 s2, s3, s2
	s_add_i32 s3, s3, s2
	v_readfirstlane_b32 s39, v2
	s_mul_hi_u32 s10, s7, s3
	s_and_saveexec_b64 s[2:3], vcc
	s_cbranch_execz .LBB79_2
; %bb.1:
	v_mov_b32_e32 v1, 0x100
	v_lshl_add_u32 v1, v13, 2, v1
	v_mov_b32_e32 v2, -1
	ds_write_b32 v1, v2
.LBB79_2:
	s_or_b64 exec, exec, s[2:3]
	s_mul_i32 s2, s10, s9
	s_sub_i32 s2, s7, s2
	s_add_i32 s3, s10, 1
	s_sub_i32 s11, s2, s9
	s_cmp_ge_u32 s2, s9
	s_cselect_b32 s3, s3, s10
	s_cselect_b32 s2, s11, s2
	s_add_i32 s10, s3, 1
	s_cmp_ge_u32 s2, s9
	s_cselect_b32 s2, s10, s3
	s_mul_i32 s3, s2, s9
	s_lshl_b32 s9, s2, 2
	s_sub_i32 s7, s7, s3
	s_mul_hi_i32 s3, s9, s23
	s_mul_i32 s2, s9, s23
	s_lshl_b64 s[2:3], s[2:3], 2
	s_waitcnt lgkmcnt(0)
	s_add_u32 s40, s0, s2
	v_add_u32_e32 v1, s9, v13
	s_mul_i32 s38, s38, s39
	s_addc_u32 s41, s1, s3
	v_cmp_gt_i32_e64 s[10:11], s18, v12
	v_cmp_gt_i32_e64 s[0:1], s17, v1
	v_mov_b32_e32 v1, 0
	s_and_saveexec_b64 s[14:15], s[0:1]
	s_cbranch_execz .LBB79_10
; %bb.3:
	v_mov_b32_e32 v1, 0
	s_and_saveexec_b64 s[28:29], s[10:11]
	s_cbranch_execz .LBB79_9
; %bb.4:
	v_mul_lo_u32 v2, v13, s23
	v_ashrrev_i32_e32 v3, 31, v2
	v_lshlrev_b64 v[2:3], 2, v[2:3]
	v_mov_b32_e32 v1, s41
	v_add_co_u32_e64 v4, s[2:3], s40, v2
	v_addc_co_u32_e64 v5, s[2:3], v1, v3, s[2:3]
	v_mov_b32_e32 v1, 0x100
	v_lshl_add_u32 v6, v13, 2, v1
	v_mul_lo_u32 v2, v12, s22
	s_lshl_b32 s42, s22, 6
	s_mov_b64 s[30:31], 0
	v_mov_b32_e32 v1, 0
	v_mov_b32_e32 v7, v12
	s_branch .LBB79_6
.LBB79_5:                               ;   in Loop: Header=BB79_6 Depth=1
	s_or_b64 exec, exec, s[36:37]
	v_add_u32_e32 v7, 64, v7
	v_cmp_le_i32_e64 s[12:13], s18, v7
	s_xor_b64 s[2:3], s[2:3], -1
	s_or_b64 s[2:3], s[2:3], s[12:13]
	s_and_b64 s[2:3], exec, s[2:3]
	s_or_b64 s[30:31], s[2:3], s[30:31]
	v_add_u32_e32 v2, s42, v2
	s_andn2_b64 exec, exec, s[30:31]
	s_cbranch_execz .LBB79_8
.LBB79_6:                               ; =>This Inner Loop Header: Depth=1
	v_ashrrev_i32_e32 v3, 31, v2
	v_lshlrev_b64 v[8:9], 2, v[2:3]
	v_add_co_u32_e64 v8, s[2:3], v4, v8
	v_addc_co_u32_e64 v9, s[2:3], v5, v9, s[2:3]
	global_load_dword v3, v[8:9], off
	s_waitcnt vmcnt(0)
	v_cmp_ne_u32_e64 s[2:3], s7, v3
	v_cmp_eq_u32_e64 s[12:13], s7, v3
	s_and_saveexec_b64 s[36:37], s[12:13]
	s_cbranch_execz .LBB79_5
; %bb.7:                                ;   in Loop: Header=BB79_6 Depth=1
	v_mov_b32_e32 v1, 1
	ds_write_b32 v6, v7
	s_branch .LBB79_5
.LBB79_8:
	s_or_b64 exec, exec, s[30:31]
.LBB79_9:
	s_or_b64 exec, exec, s[28:29]
.LBB79_10:
	s_or_b64 exec, exec, s[14:15]
	s_mul_hi_u32 s28, s39, s38
	s_and_saveexec_b64 s[2:3], vcc
	s_cbranch_execz .LBB79_12
; %bb.11:
	v_mov_b32_e32 v2, 0x100
	v_lshl_add_u32 v2, v13, 2, v2
	v_mov_b32_e32 v3, -1
	ds_write_b32 v2, v3 offset:8
.LBB79_12:
	s_or_b64 exec, exec, s[2:3]
	s_load_dwordx4 s[12:15], s[4:5], 0x54
	v_add_u32_e32 v80, 2, v13
	v_add_u32_e32 v2, s9, v80
	s_abs_i32 s38, s8
	s_add_i32 s39, s39, s28
	v_cmp_gt_i32_e64 s[2:3], s17, v2
	s_and_saveexec_b64 s[28:29], s[2:3]
	s_cbranch_execz .LBB79_20
; %bb.13:
	s_and_saveexec_b64 s[30:31], s[10:11]
	s_cbranch_execz .LBB79_19
; %bb.14:
	v_mul_lo_u32 v2, v80, s23
	v_ashrrev_i32_e32 v3, 31, v2
	v_lshlrev_b64 v[2:3], 2, v[2:3]
	v_mov_b32_e32 v5, s41
	v_add_co_u32_e32 v4, vcc, s40, v2
	v_mov_b32_e32 v2, 0x100
	v_addc_co_u32_e32 v5, vcc, v5, v3, vcc
	v_lshl_add_u32 v6, v13, 2, v2
	v_mul_lo_u32 v2, v12, s22
	s_waitcnt lgkmcnt(0)
	s_lshl_b32 s15, s22, 6
	s_mov_b64 s[22:23], 0
	v_mov_b32_e32 v7, v12
	s_branch .LBB79_16
.LBB79_15:                              ;   in Loop: Header=BB79_16 Depth=1
	s_or_b64 exec, exec, s[36:37]
	v_add_u32_e32 v7, 64, v7
	v_cmp_le_i32_e64 s[10:11], s18, v7
	s_xor_b64 s[36:37], vcc, -1
	s_or_b64 s[10:11], s[36:37], s[10:11]
	s_and_b64 s[10:11], exec, s[10:11]
	s_or_b64 s[22:23], s[10:11], s[22:23]
	v_add_u32_e32 v2, s15, v2
	s_andn2_b64 exec, exec, s[22:23]
	s_cbranch_execz .LBB79_18
.LBB79_16:                              ; =>This Inner Loop Header: Depth=1
	v_ashrrev_i32_e32 v3, 31, v2
	v_lshlrev_b64 v[8:9], 2, v[2:3]
	v_add_co_u32_e32 v8, vcc, v4, v8
	v_addc_co_u32_e32 v9, vcc, v5, v9, vcc
	global_load_dword v3, v[8:9], off
	s_waitcnt vmcnt(0)
	v_cmp_ne_u32_e32 vcc, s7, v3
	v_cmp_eq_u32_e64 s[10:11], s7, v3
	s_and_saveexec_b64 s[36:37], s[10:11]
	s_cbranch_execz .LBB79_15
; %bb.17:                               ;   in Loop: Header=BB79_16 Depth=1
	v_mov_b32_e32 v1, 1
	ds_write_b32 v6, v7 offset:8
	s_branch .LBB79_15
.LBB79_18:
	s_or_b64 exec, exec, s[22:23]
.LBB79_19:
	s_or_b64 exec, exec, s[30:31]
.LBB79_20:
	s_or_b64 exec, exec, s[28:29]
	s_load_dwordx2 s[22:23], s[34:35], 0xc
	s_load_dwordx4 s[28:31], s[4:5], 0x0
	s_load_dwordx2 s[10:11], s[4:5], 0x18
	v_cmp_ne_u32_e32 vcc, 0, v1
	v_cndmask_b32_e64 v1, 0, 1, vcc
	s_waitcnt lgkmcnt(0)
	s_lshr_b32 s5, s22, 16
	s_and_b32 s4, s22, 0xffff
	v_or_b32_dpp v1, v1, v1 row_shl:1 row_mask:0xf bank_mask:0xf bound_ctrl:1
	s_mul_i32 s22, s5, s4
	s_and_b32 s15, s23, 0xffff
	v_or_b32_dpp v1, v1, v1 row_shl:2 row_mask:0xf bank_mask:0xf bound_ctrl:1
	s_bfe_i32 s22, s22, 0x180000
	s_mul_i32 s15, s22, s15
	v_or_b32_dpp v1, v1, v1 row_shl:4 row_mask:0xf bank_mask:0xf bound_ctrl:1
	s_add_i32 s22, s15, 63
	s_bitcmp1_b32 exec_hi, 0
	v_or_b32_dpp v1, v1, v1 row_shl:8 row_mask:0xf bank_mask:0xf bound_ctrl:1
	s_mul_hi_u32 s18, s38, s39
	s_nop 0
	v_mov_b32_dpp v2, v1 wave_shl:1 row_mask:0xf bank_mask:0xf bound_ctrl:1
	s_nop 1
	v_or_b32_dpp v1, v2, v1 row_mirror row_mask:0xf bank_mask:0xf bound_ctrl:1
	v_readlane_b32 s15, v1, 32
	s_cselect_b32 s15, s15, 0
	v_readlane_b32 s23, v1, 0
	s_or_b32 s15, s15, s23
	s_andn2_b32 s22, s22, 63
	s_cmp_lg_u32 s22, 64
	v_mov_b32_e32 v1, s15
	s_cbranch_scc0 .LBB79_27
; %bb.21:
	v_bfe_u32 v0, v0, 20, 10
	v_mbcnt_lo_u32_b32 v1, -1, 0
	v_mad_u32_u24 v0, v0, s5, v13
	v_mbcnt_hi_u32_b32 v2, -1, v1
	v_mad_u64_u32 v[0:1], s[4:5], v0, s4, v[12:13]
	v_lshrrev_b32_e32 v1, 6, v0
	v_or_b32_e32 v1, v2, v1
	v_cmp_eq_u32_e32 vcc, 0, v1
	s_and_saveexec_b64 s[4:5], vcc
	s_cbranch_execz .LBB79_23
; %bb.22:
	v_mov_b32_e32 v1, 0
	v_mov_b32_e32 v3, s15
	ds_write_b32 v1, v3
.LBB79_23:
	s_or_b64 exec, exec, s[4:5]
	v_cmp_eq_u32_e32 vcc, 0, v2
	v_cmp_lt_u32_e64 s[4:5], 63, v0
	s_and_b64 s[22:23], s[4:5], vcc
	s_waitcnt lgkmcnt(0)
	s_barrier
	s_and_saveexec_b64 s[4:5], s[22:23]
	s_cbranch_execz .LBB79_26
; %bb.24:
	v_mbcnt_lo_u32_b32 v0, exec_lo, 0
	v_mbcnt_hi_u32_b32 v0, exec_hi, v0
	v_cmp_eq_u32_e32 vcc, 0, v0
	s_and_b64 exec, exec, vcc
	s_cbranch_execz .LBB79_26
; %bb.25:
	v_mov_b32_e32 v0, 0
	v_mov_b32_e32 v1, s15
	ds_or_b32 v0, v1
.LBB79_26:
	s_or_b64 exec, exec, s[4:5]
	v_mov_b32_e32 v0, 0
	s_waitcnt lgkmcnt(0)
	s_barrier
	ds_read_b32 v1, v0
	s_waitcnt lgkmcnt(0)
	s_barrier
.LBB79_27:
	v_cmp_ne_u32_e32 vcc, 0, v1
	s_ashr_i32 s22, s8, 31
	s_ashr_i32 s23, s27, 31
	s_cbranch_vccz .LBB79_58
; %bb.28:
	v_lshlrev_b32_e32 v81, 6, v13
	v_add_u32_e32 v83, v81, v12
	v_cmp_le_i32_e32 vcc, s16, v83
	v_and_b32_e32 v82, 15, v12
                                        ; implicit-def: $sgpr27
	s_and_saveexec_b64 s[4:5], vcc
	s_xor_b64 s[4:5], exec, s[4:5]
; %bb.29:
	v_and_b32_e32 v82, 15, v12
	s_mov_b32 s27, 0
                                        ; implicit-def: $vgpr83
; %bb.30:
	s_or_saveexec_b64 s[4:5], s[4:5]
	s_lshl_b32 s15, s6, 6
	v_accvgpr_write_b32 a0, s27
	v_accvgpr_write_b32 a1, s27
	;; [unrolled: 1-line block ×16, first 2 shown]
	s_xor_b64 exec, exec, s[4:5]
	s_cbranch_execz .LBB79_50
; %bb.31:
	s_xor_b32 s6, s22, s23
	s_mul_i32 s22, s18, s33
	s_sub_i32 s22, s38, s22
	s_add_i32 s23, s18, 1
	s_sub_i32 s27, s22, s33
	s_cmp_ge_u32 s22, s33
	s_cselect_b32 s18, s23, s18
	s_cselect_b32 s22, s27, s22
	s_add_i32 s23, s18, 1
	s_cmp_ge_u32 s22, s33
	s_cselect_b32 s18, s23, s18
	s_xor_b32 s18, s18, s6
	s_sub_i32 s6, s18, s6
	s_mul_hi_i32 s23, s6, s12
	s_mul_i32 s22, s6, s12
	s_mul_i32 s6, s7, s24
	s_ashr_i32 s7, s6, 31
	s_lshl_b64 s[38:39], s[22:23], 2
	s_add_u32 s12, s28, s38
	s_addc_u32 s18, s29, s39
	s_lshl_b64 s[40:41], s[6:7], 2
	s_mul_i32 s34, s15, s19
	s_add_u32 s6, s12, s40
	s_addc_u32 s7, s18, s41
	s_ashr_i32 s35, s34, 31
	s_lshl_b64 s[42:43], s[34:35], 2
	s_add_u32 s24, s6, s42
	s_movk_i32 s6, 0x1080
	v_mov_b32_e32 v84, 0x100
	s_addc_u32 s18, s7, s43
	v_mad_u32_u24 v0, v13, s6, v84
	s_mul_hi_i32 s7, s13, s8
	s_mul_i32 s6, s13, s8
	s_lshl_b64 s[6:7], s[6:7], 2
	s_mul_hi_i32 s13, s9, s20
	s_mul_i32 s12, s9, s20
	s_add_u32 s22, s30, s6
	s_addc_u32 s23, s31, s7
	s_lshl_b64 s[6:7], s[12:13], 2
	s_add_u32 s27, s22, s6
	s_addc_u32 s33, s23, s7
	s_cmp_lt_i32 s9, s17
	s_cselect_b64 s[6:7], -1, 0
	s_or_b32 s12, s9, 1
	s_cmp_lt_i32 s12, s17
	s_cselect_b64 s[12:13], -1, 0
	s_or_b32 s22, s9, 2
	s_cmp_lt_i32 s22, s17
	s_cselect_b64 s[22:23], -1, 0
	s_lshl_b32 s36, s20, 1
	s_or_b32 s30, s9, 3
	s_cmp_lt_i32 s30, s17
	s_cselect_b64 s[30:31], -1, 0
	s_ashr_i32 s35, s19, 31
	s_mov_b32 s34, s19
	s_lshl_b64 s[34:35], s[34:35], 2
	s_add_u32 s37, s38, s42
	s_addc_u32 s38, s39, s43
	s_add_u32 s37, s37, s40
	v_lshrrev_b32_e32 v2, 1, v12
	s_addc_u32 s38, s38, s41
	v_mul_u32_u24_e32 v1, 0x108, v82
	v_and_b32_e32 v2, 0x1f8, v2
	s_add_u32 s28, s28, s37
	v_lshl_add_u32 v85, v12, 2, v0
	v_add3_u32 v86, v0, v1, v2
	v_lshlrev_b32_e32 v0, 2, v83
	s_addc_u32 s29, s29, s38
	v_mov_b32_e32 v1, s29
	v_add_co_u32_e32 v14, vcc, s28, v0
	s_mul_i32 s17, s20, 3
	v_mov_b32_e32 v87, 0
	v_addc_co_u32_e32 v15, vcc, 0, v1, vcc
	s_lshl_b32 s28, s19, 1
	s_mul_i32 s29, s19, 3
	s_lshl_b32 s37, s19, 2
	s_mul_i32 s38, s19, 5
	s_mul_i32 s39, s19, 6
	;; [unrolled: 1-line block ×3, first 2 shown]
	s_lshl_b32 s41, s19, 3
	s_mul_i32 s42, s19, 9
	s_mul_i32 s43, s19, 10
	;; [unrolled: 1-line block ×7, first 2 shown]
	s_lshl_b32 s49, s19, 4
	s_mul_i32 s50, s19, 17
	s_mul_i32 s51, s19, 18
	;; [unrolled: 1-line block ×15, first 2 shown]
	s_lshl_b32 s65, s19, 5
	s_mul_i32 s66, s19, 33
	s_mul_i32 s67, s19, 34
	;; [unrolled: 1-line block ×12, first 2 shown]
	v_mov_b32_e32 v88, s18
	s_mul_i32 s78, s19, 45
	v_accvgpr_write_b32 a15, 0
	v_accvgpr_write_b32 a14, 0
	;; [unrolled: 1-line block ×16, first 2 shown]
	v_mov_b32_e32 v89, s35
	s_mul_i32 s35, s19, 46
	s_mul_i32 s79, s19, 47
	;; [unrolled: 1-line block ×18, first 2 shown]
	s_mov_b64 s[18:19], 0
	s_branch .LBB79_34
.LBB79_32:                              ;   in Loop: Header=BB79_34 Depth=1
	v_mul_lo_u32 v90, v90, s25
	v_add_u32_e32 v90, s17, v90
	v_add_u32_e32 v90, v90, v83
	v_ashrrev_i32_e32 v91, 31, v90
	v_lshlrev_b64 v[90:91], 2, v[90:91]
	v_mov_b32_e32 v92, s33
	v_add_co_u32_e32 v90, vcc, s27, v90
	v_addc_co_u32_e32 v91, vcc, v92, v91, vcc
	global_load_dword v90, v[90:91], off
.LBB79_33:                              ;   in Loop: Header=BB79_34 Depth=1
	v_add_u32_e32 v91, 0x200, v85
	s_waitcnt vmcnt(0)
	ds_write2_b32 v91, v90, v87 offset0:86 offset1:152
	v_add_u32_e32 v90, 0x400, v85
	ds_write2_b32 v90, v87, v87 offset0:90 offset1:156
	v_add_u32_e32 v90, 0x600, v85
	;; [unrolled: 2-line block ×5, first 2 shown]
	ds_write2_b32 v90, v87, v87 offset0:106 offset1:172
	ds_write_b32 v85, v87 offset:4024
	ds_read2_b64 v[90:93], v86 offset0:8 offset1:12
	v_accvgpr_write_b32 a7, v3
	v_accvgpr_write_b32 a6, v2
	;; [unrolled: 1-line block ×6, first 2 shown]
	s_waitcnt lgkmcnt(0)
	v_mfma_f32_16x16x4f32 a[4:7], v44, v90, a[4:7]
	v_accvgpr_write_b32 a10, v6
	v_accvgpr_write_b32 a9, v5
	v_accvgpr_write_b32 a8, v4
	v_accvgpr_write_b32 a14, v10
	v_accvgpr_write_b32 a13, v9
	v_accvgpr_write_b32 a12, v8
	ds_read2_b64 v[0:3], v86 offset0:16 offset1:20
	v_mfma_f32_16x16x4f32 a[8:11], v56, v90, a[8:11]
	v_add_co_u32_e32 v14, vcc, 0x200, v14
	v_add_u32_e32 v83, 0x80, v83
	v_addc_co_u32_e32 v15, vcc, 0, v15, vcc
	v_cmp_le_i32_e32 vcc, s16, v83
	s_or_b64 s[18:19], vcc, s[18:19]
	v_mfma_f32_16x16x4f32 a[12:15], v62, v90, a[12:15]
	v_mfma_f32_16x16x4f32 a[0:3], v78, v90, a[0:3]
	v_mfma_f32_16x16x4f32 a[4:7], v45, v91, a[4:7]
	v_mfma_f32_16x16x4f32 a[8:11], v57, v91, a[8:11]
	v_mfma_f32_16x16x4f32 a[12:15], v63, v91, a[12:15]
	v_mfma_f32_16x16x4f32 a[0:3], v79, v91, a[0:3]
	v_mfma_f32_16x16x4f32 a[4:7], v38, v92, a[4:7]
	v_mfma_f32_16x16x4f32 a[8:11], v52, v92, a[8:11]
	v_mfma_f32_16x16x4f32 a[12:15], v60, v92, a[12:15]
	v_mfma_f32_16x16x4f32 a[0:3], v76, v92, a[0:3]
	v_mfma_f32_16x16x4f32 a[4:7], v39, v93, a[4:7]
	v_mfma_f32_16x16x4f32 a[8:11], v53, v93, a[8:11]
	v_mfma_f32_16x16x4f32 a[12:15], v61, v93, a[12:15]
	v_mfma_f32_16x16x4f32 a[0:3], v77, v93, a[0:3]
	s_waitcnt lgkmcnt(0)
	v_mfma_f32_16x16x4f32 a[4:7], v32, v0, a[4:7]
	v_mfma_f32_16x16x4f32 a[8:11], v48, v0, a[8:11]
	;; [unrolled: 1-line block ×16, first 2 shown]
	ds_read2_b64 v[0:3], v86 offset0:24 offset1:28
	s_waitcnt lgkmcnt(0)
	v_mfma_f32_16x16x4f32 a[4:7], v24, v0, a[4:7]
	v_mfma_f32_16x16x4f32 a[8:11], v36, v0, a[8:11]
	v_mfma_f32_16x16x4f32 a[12:15], v50, v0, a[12:15]
	v_mfma_f32_16x16x4f32 a[0:3], v70, v0, a[0:3]
	v_mfma_f32_16x16x4f32 a[4:7], v25, v1, a[4:7]
	v_mfma_f32_16x16x4f32 a[8:11], v37, v1, a[8:11]
	v_mfma_f32_16x16x4f32 a[12:15], v51, v1, a[12:15]
	v_mfma_f32_16x16x4f32 a[0:3], v71, v1, a[0:3]
	v_mfma_f32_16x16x4f32 a[4:7], v20, v2, a[4:7]
	v_mfma_f32_16x16x4f32 a[8:11], v30, v2, a[8:11]
	v_mfma_f32_16x16x4f32 a[12:15], v46, v2, a[12:15]
	v_mfma_f32_16x16x4f32 a[0:3], v68, v2, a[0:3]
	v_mfma_f32_16x16x4f32 a[4:7], v21, v3, a[4:7]
	v_mfma_f32_16x16x4f32 a[8:11], v31, v3, a[8:11]
	v_mfma_f32_16x16x4f32 a[12:15], v47, v3, a[12:15]
	v_mfma_f32_16x16x4f32 a[0:3], v69, v3, a[0:3]
	ds_read2_b64 v[0:3], v86 offset0:32 offset1:36
	s_waitcnt lgkmcnt(0)
	v_mfma_f32_16x16x4f32 a[4:7], v18, v0, a[4:7]
	v_mfma_f32_16x16x4f32 a[4:7], v19, v1, a[4:7]
	;; [unrolled: 1-line block ×16, first 2 shown]
	s_andn2_b64 exec, exec, s[18:19]
	s_cbranch_execz .LBB79_49
.LBB79_34:                              ; =>This Inner Loop Header: Depth=1
	v_add_co_u32_e32 v0, vcc, s34, v14
	v_addc_co_u32_e32 v1, vcc, v15, v89, vcc
	global_load_dword v20, v[14:15], off
	global_load_dword v21, v[0:1], off
	v_add_u32_e32 v0, s28, v83
	v_ashrrev_i32_e32 v1, 31, v0
	v_lshlrev_b64 v[0:1], 2, v[0:1]
	v_add_u32_e32 v2, s29, v83
	v_add_co_u32_e32 v0, vcc, s24, v0
	v_ashrrev_i32_e32 v3, 31, v2
	v_addc_co_u32_e32 v1, vcc, v88, v1, vcc
	v_lshlrev_b64 v[2:3], 2, v[2:3]
	v_add_u32_e32 v4, s37, v83
	v_add_co_u32_e32 v2, vcc, s24, v2
	v_ashrrev_i32_e32 v5, 31, v4
	v_addc_co_u32_e32 v3, vcc, v88, v3, vcc
	;; [unrolled: 5-line block ×5, first 2 shown]
	v_lshlrev_b64 v[10:11], 2, v[10:11]
	v_add_co_u32_e32 v10, vcc, s24, v10
	v_addc_co_u32_e32 v11, vcc, v88, v11, vcc
	global_load_dword v22, v[0:1], off
	global_load_dword v23, v[2:3], off
	global_load_dword v24, v[4:5], off
	global_load_dword v25, v[6:7], off
	global_load_dword v26, v[8:9], off
	global_load_dword v27, v[10:11], off
	v_add_u32_e32 v16, s41, v83
	v_ashrrev_i32_e32 v17, 31, v16
	v_add_u32_e32 v18, s42, v83
	v_lshlrev_b64 v[16:17], 2, v[16:17]
	v_ashrrev_i32_e32 v19, 31, v18
	v_add_co_u32_e32 v16, vcc, s24, v16
	v_lshlrev_b64 v[18:19], 2, v[18:19]
	v_addc_co_u32_e32 v17, vcc, v88, v17, vcc
	v_add_co_u32_e32 v18, vcc, s24, v18
	v_addc_co_u32_e32 v19, vcc, v88, v19, vcc
	v_add_u32_e32 v28, s48, v83
	v_ashrrev_i32_e32 v29, 31, v28
	v_lshlrev_b64 v[28:29], 2, v[28:29]
	v_add_u32_e32 v30, s49, v83
	v_ashrrev_i32_e32 v31, 31, v30
	v_lshlrev_b64 v[30:31], 2, v[30:31]
	;; [unrolled: 3-line block ×6, first 2 shown]
	s_waitcnt vmcnt(7)
	ds_write_b32 v85, v20 offset:64
	s_waitcnt vmcnt(6)
	ds_write_b32 v85, v21 offset:328
	global_load_dword v16, v[16:17], off
	s_nop 0
	global_load_dword v17, v[18:19], off
	v_add_u32_e32 v18, s43, v83
	v_ashrrev_i32_e32 v19, 31, v18
	v_lshlrev_b64 v[18:19], 2, v[18:19]
	v_add_u32_e32 v20, s44, v83
	v_add_co_u32_e32 v18, vcc, s24, v18
	v_ashrrev_i32_e32 v21, 31, v20
	v_addc_co_u32_e32 v19, vcc, v88, v19, vcc
	v_lshlrev_b64 v[20:21], 2, v[20:21]
	s_waitcnt vmcnt(7)
	ds_write_b32 v85, v22 offset:592
	s_waitcnt vmcnt(6)
	ds_write_b32 v85, v23 offset:856
	;; [unrolled: 2-line block ×6, first 2 shown]
	v_add_u32_e32 v22, s45, v83
	v_add_co_u32_e32 v20, vcc, s24, v20
	v_ashrrev_i32_e32 v23, 31, v22
	v_addc_co_u32_e32 v21, vcc, v88, v21, vcc
	v_lshlrev_b64 v[22:23], 2, v[22:23]
	v_add_u32_e32 v24, s46, v83
	v_add_co_u32_e32 v22, vcc, s24, v22
	v_ashrrev_i32_e32 v25, 31, v24
	v_addc_co_u32_e32 v23, vcc, v88, v23, vcc
	v_lshlrev_b64 v[24:25], 2, v[24:25]
	;; [unrolled: 5-line block ×3, first 2 shown]
	v_add_co_u32_e32 v26, vcc, s24, v26
	v_addc_co_u32_e32 v27, vcc, v88, v27, vcc
	v_add_co_u32_e32 v28, vcc, s24, v28
	v_addc_co_u32_e32 v29, vcc, v88, v29, vcc
	;; [unrolled: 2-line block ×4, first 2 shown]
	global_load_dword v18, v[18:19], off
	s_nop 0
	global_load_dword v19, v[20:21], off
	s_nop 0
	global_load_dword v20, v[22:23], off
	global_load_dword v21, v[24:25], off
	s_nop 0
	global_load_dword v24, v[26:27], off
	global_load_dword v25, v[28:29], off
	;; [unrolled: 1-line block ×4, first 2 shown]
	v_add_u32_e32 v26, s51, v83
	v_ashrrev_i32_e32 v27, 31, v26
	v_lshlrev_b64 v[26:27], 2, v[26:27]
	v_add_u32_e32 v28, s52, v83
	v_add_co_u32_e32 v26, vcc, s24, v26
	v_ashrrev_i32_e32 v29, 31, v28
	v_addc_co_u32_e32 v27, vcc, v88, v27, vcc
	v_lshlrev_b64 v[28:29], 2, v[28:29]
	v_add_u32_e32 v30, s53, v83
	v_add_co_u32_e32 v28, vcc, s24, v28
	v_ashrrev_i32_e32 v31, 31, v30
	v_addc_co_u32_e32 v29, vcc, v88, v29, vcc
	;; [unrolled: 5-line block ×3, first 2 shown]
	v_lshlrev_b64 v[32:33], 2, v[32:33]
	v_add_co_u32_e32 v32, vcc, s24, v32
	v_addc_co_u32_e32 v33, vcc, v88, v33, vcc
	v_add_co_u32_e32 v34, vcc, s24, v34
	v_addc_co_u32_e32 v35, vcc, v88, v35, vcc
	;; [unrolled: 2-line block ×3, first 2 shown]
	v_add_u32_e32 v40, s58, v83
	v_add_co_u32_e32 v38, vcc, s24, v38
	v_ashrrev_i32_e32 v41, 31, v40
	v_addc_co_u32_e32 v39, vcc, v88, v39, vcc
	v_lshlrev_b64 v[40:41], 2, v[40:41]
	v_add_co_u32_e32 v40, vcc, s24, v40
	v_addc_co_u32_e32 v41, vcc, v88, v41, vcc
	global_load_dword v26, v[26:27], off
	s_nop 0
	global_load_dword v27, v[28:29], off
	s_nop 0
	;; [unrolled: 2-line block ×6, first 2 shown]
	global_load_dword v36, v[38:39], off
	global_load_dword v37, v[40:41], off
	v_add_u32_e32 v28, s59, v83
	v_ashrrev_i32_e32 v29, 31, v28
	v_lshlrev_b64 v[28:29], 2, v[28:29]
	v_add_u32_e32 v32, s60, v83
	v_add_co_u32_e32 v28, vcc, s24, v28
	v_ashrrev_i32_e32 v33, 31, v32
	v_addc_co_u32_e32 v29, vcc, v88, v29, vcc
	v_lshlrev_b64 v[32:33], 2, v[32:33]
	v_add_u32_e32 v38, s61, v83
	v_add_co_u32_e32 v32, vcc, s24, v32
	v_ashrrev_i32_e32 v39, 31, v38
	v_addc_co_u32_e32 v33, vcc, v88, v33, vcc
	;; [unrolled: 5-line block ×4, first 2 shown]
	v_lshlrev_b64 v[42:43], 2, v[42:43]
	v_add_co_u32_e32 v44, vcc, s24, v42
	v_add_u32_e32 v42, s64, v83
	v_addc_co_u32_e32 v45, vcc, v88, v43, vcc
	v_ashrrev_i32_e32 v43, 31, v42
	v_lshlrev_b64 v[42:43], 2, v[42:43]
	v_add_co_u32_e32 v50, vcc, s24, v42
	v_add_u32_e32 v42, s65, v83
	v_addc_co_u32_e32 v51, vcc, v88, v43, vcc
	v_ashrrev_i32_e32 v43, 31, v42
	v_lshlrev_b64 v[42:43], 2, v[42:43]
	v_add_co_u32_e32 v52, vcc, s24, v42
	v_add_u32_e32 v42, s66, v83
	v_addc_co_u32_e32 v53, vcc, v88, v43, vcc
	v_ashrrev_i32_e32 v43, 31, v42
	v_lshlrev_b64 v[42:43], 2, v[42:43]
	v_add_co_u32_e32 v54, vcc, s24, v42
	v_addc_co_u32_e32 v55, vcc, v88, v43, vcc
	global_load_dword v42, v[28:29], off
	global_load_dword v43, v[32:33], off
	;; [unrolled: 1-line block ×6, first 2 shown]
	s_nop 0
	global_load_dword v40, v[52:53], off
	global_load_dword v41, v[54:55], off
	v_add_u32_e32 v28, s67, v83
	v_ashrrev_i32_e32 v29, 31, v28
	v_lshlrev_b64 v[28:29], 2, v[28:29]
	v_add_u32_e32 v32, s68, v83
	v_add_co_u32_e32 v28, vcc, s24, v28
	v_ashrrev_i32_e32 v33, 31, v32
	v_addc_co_u32_e32 v29, vcc, v88, v29, vcc
	v_lshlrev_b64 v[32:33], 2, v[32:33]
	v_add_u32_e32 v38, s69, v83
	v_add_co_u32_e32 v32, vcc, s24, v32
	v_ashrrev_i32_e32 v39, 31, v38
	v_addc_co_u32_e32 v33, vcc, v88, v33, vcc
	v_lshlrev_b64 v[38:39], 2, v[38:39]
	v_add_u32_e32 v44, s70, v83
	v_add_co_u32_e32 v38, vcc, s24, v38
	v_ashrrev_i32_e32 v45, 31, v44
	v_addc_co_u32_e32 v39, vcc, v88, v39, vcc
	v_lshlrev_b64 v[44:45], 2, v[44:45]
	v_add_u32_e32 v50, s71, v83
	v_add_co_u32_e32 v44, vcc, s24, v44
	v_ashrrev_i32_e32 v51, 31, v50
	v_addc_co_u32_e32 v45, vcc, v88, v45, vcc
	v_lshlrev_b64 v[50:51], 2, v[50:51]
	v_add_u32_e32 v52, s72, v83
	v_add_co_u32_e32 v50, vcc, s24, v50
	v_ashrrev_i32_e32 v53, 31, v52
	v_addc_co_u32_e32 v51, vcc, v88, v51, vcc
	v_lshlrev_b64 v[52:53], 2, v[52:53]
	v_add_u32_e32 v54, s73, v83
	v_add_co_u32_e32 v52, vcc, s24, v52
	v_ashrrev_i32_e32 v55, 31, v54
	v_addc_co_u32_e32 v53, vcc, v88, v53, vcc
	v_lshlrev_b64 v[54:55], 2, v[54:55]
	v_add_u32_e32 v56, s74, v83
	v_add_co_u32_e32 v54, vcc, s24, v54
	v_ashrrev_i32_e32 v57, 31, v56
	v_addc_co_u32_e32 v55, vcc, v88, v55, vcc
	v_lshlrev_b64 v[56:57], 2, v[56:57]
	v_add_co_u32_e32 v56, vcc, s24, v56
	v_addc_co_u32_e32 v57, vcc, v88, v57, vcc
	global_load_dword v58, v[28:29], off
	global_load_dword v59, v[32:33], off
	global_load_dword v60, v[38:39], off
	global_load_dword v61, v[44:45], off
	global_load_dword v62, v[50:51], off
	global_load_dword v63, v[52:53], off
	global_load_dword v64, v[54:55], off
	global_load_dword v65, v[56:57], off
	v_add_u32_e32 v28, s75, v83
	v_ashrrev_i32_e32 v29, 31, v28
	v_lshlrev_b64 v[28:29], 2, v[28:29]
	v_add_u32_e32 v32, s76, v83
	v_add_co_u32_e32 v28, vcc, s24, v28
	v_ashrrev_i32_e32 v33, 31, v32
	v_addc_co_u32_e32 v29, vcc, v88, v29, vcc
	v_lshlrev_b64 v[32:33], 2, v[32:33]
	v_add_u32_e32 v38, s77, v83
	v_add_co_u32_e32 v32, vcc, s24, v32
	v_ashrrev_i32_e32 v39, 31, v38
	v_addc_co_u32_e32 v33, vcc, v88, v33, vcc
	v_lshlrev_b64 v[38:39], 2, v[38:39]
	v_add_u32_e32 v44, s78, v83
	v_add_co_u32_e32 v38, vcc, s24, v38
	v_ashrrev_i32_e32 v45, 31, v44
	v_addc_co_u32_e32 v39, vcc, v88, v39, vcc
	v_lshlrev_b64 v[44:45], 2, v[44:45]
	v_add_u32_e32 v50, s35, v83
	v_add_co_u32_e32 v44, vcc, s24, v44
	v_ashrrev_i32_e32 v51, 31, v50
	v_addc_co_u32_e32 v45, vcc, v88, v45, vcc
	v_lshlrev_b64 v[50:51], 2, v[50:51]
	v_add_u32_e32 v52, s79, v83
	v_add_co_u32_e32 v50, vcc, s24, v50
	v_ashrrev_i32_e32 v53, 31, v52
	v_addc_co_u32_e32 v51, vcc, v88, v51, vcc
	v_lshlrev_b64 v[52:53], 2, v[52:53]
	v_add_u32_e32 v54, s80, v83
	v_add_co_u32_e32 v52, vcc, s24, v52
	v_ashrrev_i32_e32 v55, 31, v54
	v_addc_co_u32_e32 v53, vcc, v88, v53, vcc
	v_lshlrev_b64 v[54:55], 2, v[54:55]
	v_add_u32_e32 v56, s81, v83
	v_add_co_u32_e32 v54, vcc, s24, v54
	v_ashrrev_i32_e32 v57, 31, v56
	v_addc_co_u32_e32 v55, vcc, v88, v55, vcc
	v_lshlrev_b64 v[56:57], 2, v[56:57]
	v_add_co_u32_e32 v56, vcc, s24, v56
	v_addc_co_u32_e32 v57, vcc, v88, v57, vcc
	global_load_dword v66, v[28:29], off
	global_load_dword v67, v[32:33], off
	global_load_dword v68, v[38:39], off
	global_load_dword v69, v[44:45], off
	global_load_dword v70, v[50:51], off
	global_load_dword v71, v[52:53], off
	global_load_dword v72, v[54:55], off
	global_load_dword v73, v[56:57], off
	v_add_u32_e32 v28, s82, v83
	v_ashrrev_i32_e32 v29, 31, v28
	v_lshlrev_b64 v[28:29], 2, v[28:29]
	v_add_u32_e32 v32, s83, v83
	v_add_co_u32_e32 v28, vcc, s24, v28
	v_ashrrev_i32_e32 v33, 31, v32
	v_addc_co_u32_e32 v29, vcc, v88, v29, vcc
	v_lshlrev_b64 v[32:33], 2, v[32:33]
	v_add_u32_e32 v38, s84, v83
	v_add_co_u32_e32 v32, vcc, s24, v32
	v_ashrrev_i32_e32 v39, 31, v38
	v_addc_co_u32_e32 v33, vcc, v88, v33, vcc
	v_lshlrev_b64 v[38:39], 2, v[38:39]
	v_add_u32_e32 v44, s85, v83
	v_add_co_u32_e32 v38, vcc, s24, v38
	v_ashrrev_i32_e32 v45, 31, v44
	v_addc_co_u32_e32 v39, vcc, v88, v39, vcc
	v_lshlrev_b64 v[44:45], 2, v[44:45]
	v_add_u32_e32 v50, s86, v83
	v_add_co_u32_e32 v44, vcc, s24, v44
	v_ashrrev_i32_e32 v51, 31, v50
	v_addc_co_u32_e32 v45, vcc, v88, v45, vcc
	v_lshlrev_b64 v[50:51], 2, v[50:51]
	v_add_u32_e32 v52, s87, v83
	v_add_co_u32_e32 v50, vcc, s24, v50
	v_ashrrev_i32_e32 v53, 31, v52
	v_addc_co_u32_e32 v51, vcc, v88, v51, vcc
	v_lshlrev_b64 v[52:53], 2, v[52:53]
	v_add_u32_e32 v54, s88, v83
	v_add_co_u32_e32 v52, vcc, s24, v52
	v_ashrrev_i32_e32 v55, 31, v54
	v_addc_co_u32_e32 v53, vcc, v88, v53, vcc
	v_lshlrev_b64 v[54:55], 2, v[54:55]
	v_add_u32_e32 v56, s89, v83
	v_add_co_u32_e32 v54, vcc, s24, v54
	v_ashrrev_i32_e32 v57, 31, v56
	v_addc_co_u32_e32 v55, vcc, v88, v55, vcc
	v_lshlrev_b64 v[56:57], 2, v[56:57]
	v_add_co_u32_e32 v56, vcc, s24, v56
	v_addc_co_u32_e32 v57, vcc, v88, v57, vcc
	global_load_dword v74, v[28:29], off
	global_load_dword v75, v[32:33], off
	global_load_dword v76, v[38:39], off
	global_load_dword v77, v[44:45], off
	global_load_dword v78, v[50:51], off
	global_load_dword v79, v[52:53], off
	global_load_dword v90, v[54:55], off
	global_load_dword v91, v[56:57], off
	v_add_u32_e32 v28, s90, v83
	v_ashrrev_i32_e32 v29, 31, v28
	v_lshlrev_b64 v[28:29], 2, v[28:29]
	v_add_u32_e32 v32, s91, v83
	v_add_co_u32_e32 v28, vcc, s24, v28
	v_ashrrev_i32_e32 v33, 31, v32
	v_addc_co_u32_e32 v29, vcc, v88, v29, vcc
	v_lshlrev_b64 v[32:33], 2, v[32:33]
	v_add_u32_e32 v38, s92, v83
	v_add_co_u32_e32 v32, vcc, s24, v32
	v_ashrrev_i32_e32 v39, 31, v38
	v_addc_co_u32_e32 v33, vcc, v88, v33, vcc
	v_lshlrev_b64 v[38:39], 2, v[38:39]
	v_add_u32_e32 v44, s93, v83
	v_add_co_u32_e32 v38, vcc, s24, v38
	v_ashrrev_i32_e32 v45, 31, v44
	v_addc_co_u32_e32 v39, vcc, v88, v39, vcc
	v_lshlrev_b64 v[44:45], 2, v[44:45]
	v_add_u32_e32 v50, s94, v83
	v_add_co_u32_e32 v44, vcc, s24, v44
	v_ashrrev_i32_e32 v51, 31, v50
	v_addc_co_u32_e32 v45, vcc, v88, v45, vcc
	v_lshlrev_b64 v[50:51], 2, v[50:51]
	v_add_u32_e32 v52, s95, v83
	v_add_co_u32_e32 v50, vcc, s24, v50
	v_ashrrev_i32_e32 v53, 31, v52
	v_addc_co_u32_e32 v51, vcc, v88, v51, vcc
	v_lshlrev_b64 v[52:53], 2, v[52:53]
	v_add_co_u32_e32 v52, vcc, s24, v52
	v_addc_co_u32_e32 v53, vcc, v88, v53, vcc
	global_load_dword v92, v[28:29], off
	global_load_dword v93, v[32:33], off
	;; [unrolled: 1-line block ×6, first 2 shown]
	s_waitcnt vmcnt(55)
	ds_write_b32 v85, v16 offset:2176
	s_waitcnt vmcnt(54)
	ds_write_b32 v85, v17 offset:2440
	s_waitcnt vmcnt(53)
	ds_write_b32 v85, v18 offset:2704
	s_waitcnt vmcnt(52)
	ds_write_b32 v85, v19 offset:2968
	s_waitcnt vmcnt(51)
	ds_write_b32 v85, v20 offset:3232
	s_waitcnt vmcnt(50)
	ds_write_b32 v85, v21 offset:3496
	s_waitcnt vmcnt(49)
	ds_write_b32 v85, v24 offset:3760
	s_waitcnt vmcnt(48)
	ds_write_b32 v85, v25 offset:4024
	ds_read_b64 v[44:45], v86 offset:64
	ds_read_b64 v[38:39], v86 offset:96
	ds_read_b64 v[32:33], v86 offset:128
	ds_read_b64 v[28:29], v86 offset:160
	ds_read_b64 v[24:25], v86 offset:192
	ds_read_b64 v[20:21], v86 offset:224
	ds_read_b64 v[18:19], v86 offset:256
	ds_read_b64 v[16:17], v86 offset:288
	s_waitcnt vmcnt(47)
	ds_write_b32 v85, v22 offset:64
	s_waitcnt vmcnt(46)
	ds_write_b32 v85, v23 offset:328
	s_waitcnt vmcnt(45)
	ds_write_b32 v85, v26 offset:592
	s_waitcnt vmcnt(44)
	ds_write_b32 v85, v27 offset:856
	s_waitcnt vmcnt(43)
	ds_write_b32 v85, v30 offset:1120
	s_waitcnt vmcnt(42)
	ds_write_b32 v85, v31 offset:1384
	s_waitcnt vmcnt(41)
	ds_write_b32 v85, v34 offset:1648
	s_waitcnt vmcnt(40)
	ds_write_b32 v85, v35 offset:1912
	s_waitcnt vmcnt(39)
	ds_write_b32 v85, v36 offset:2176
	s_waitcnt vmcnt(38)
	ds_write_b32 v85, v37 offset:2440
	s_waitcnt vmcnt(37)
	ds_write_b32 v85, v42 offset:2704
	s_waitcnt vmcnt(36)
	ds_write_b32 v85, v43 offset:2968
	s_waitcnt vmcnt(35)
	ds_write_b32 v85, v46 offset:3232
	s_waitcnt vmcnt(34)
	ds_write_b32 v85, v47 offset:3496
	s_waitcnt vmcnt(33)
	ds_write_b32 v85, v48 offset:3760
	s_waitcnt vmcnt(32)
	ds_write_b32 v85, v49 offset:4024
	ds_read_b64 v[56:57], v86 offset:64
	ds_read_b64 v[52:53], v86 offset:96
	ds_read_b64 v[48:49], v86 offset:128
	ds_read_b64 v[42:43], v86 offset:160
	ds_read_b64 v[36:37], v86 offset:192
	ds_read_b64 v[30:31], v86 offset:224
	ds_read_b64 v[26:27], v86 offset:256
	ds_read_b64 v[22:23], v86 offset:288
	s_waitcnt vmcnt(31)
	ds_write_b32 v85, v40 offset:64
	s_waitcnt vmcnt(30)
	ds_write_b32 v85, v41 offset:328
	s_waitcnt vmcnt(29)
	ds_write_b32 v85, v58 offset:592
	s_waitcnt vmcnt(28)
	ds_write_b32 v85, v59 offset:856
	s_waitcnt vmcnt(27)
	ds_write_b32 v85, v60 offset:1120
	s_waitcnt vmcnt(26)
	ds_write_b32 v85, v61 offset:1384
	s_waitcnt vmcnt(25)
	ds_write_b32 v85, v62 offset:1648
	s_waitcnt vmcnt(24)
	ds_write_b32 v85, v63 offset:1912
	;; [unrolled: 40-line block ×3, first 2 shown]
	s_waitcnt vmcnt(7)
	ds_write_b32 v85, v90 offset:2176
	s_waitcnt vmcnt(6)
	ds_write_b32 v85, v91 offset:2440
	;; [unrolled: 2-line block ×8, first 2 shown]
	ds_read_b64 v[78:79], v86 offset:64
	ds_read_b64 v[76:77], v86 offset:96
	;; [unrolled: 1-line block ×8, first 2 shown]
	v_accvgpr_read_b32 v3, a15
	v_accvgpr_read_b32 v2, a14
	;; [unrolled: 1-line block ×12, first 2 shown]
	s_andn2_b64 vcc, exec, s[6:7]
	v_mov_b32_e32 v90, 0
	s_cbranch_vccnz .LBB79_38
; %bb.35:                               ;   in Loop: Header=BB79_34 Depth=1
	ds_read_b32 v90, v84
	s_waitcnt lgkmcnt(0)
	v_cmp_gt_i32_e32 vcc, 0, v90
	s_cbranch_vccnz .LBB79_37
; %bb.36:                               ;   in Loop: Header=BB79_34 Depth=1
	v_mul_lo_u32 v90, v90, s25
	v_add_u32_e32 v90, v83, v90
	v_ashrrev_i32_e32 v91, 31, v90
	v_lshlrev_b64 v[90:91], 2, v[90:91]
	v_mov_b32_e32 v92, s33
	v_add_co_u32_e32 v90, vcc, s27, v90
	v_addc_co_u32_e32 v91, vcc, v92, v91, vcc
	global_load_dword v90, v[90:91], off
	s_branch .LBB79_38
.LBB79_37:                              ;   in Loop: Header=BB79_34 Depth=1
	v_mov_b32_e32 v90, 0
.LBB79_38:                              ;   in Loop: Header=BB79_34 Depth=1
	s_waitcnt vmcnt(0)
	ds_write_b32 v85, v90 offset:64
	s_andn2_b64 vcc, exec, s[12:13]
	v_mov_b32_e32 v90, 0
	v_mov_b32_e32 v91, 0
	s_cbranch_vccz .LBB79_41
; %bb.39:                               ;   in Loop: Header=BB79_34 Depth=1
	s_andn2_b64 vcc, exec, s[22:23]
	ds_write_b32 v85, v91 offset:328
	s_cbranch_vccz .LBB79_44
.LBB79_40:                              ;   in Loop: Header=BB79_34 Depth=1
	ds_write_b32 v85, v90 offset:592
	s_andn2_b64 vcc, exec, s[30:31]
	v_mov_b32_e32 v90, 0
	s_cbranch_vccnz .LBB79_33
	s_branch .LBB79_47
.LBB79_41:                              ;   in Loop: Header=BB79_34 Depth=1
	ds_read_b32 v91, v84 offset:4
	s_waitcnt lgkmcnt(0)
	v_cmp_gt_i32_e32 vcc, 0, v91
	s_cbranch_vccnz .LBB79_43
; %bb.42:                               ;   in Loop: Header=BB79_34 Depth=1
	v_mul_lo_u32 v91, v91, s25
	v_add_u32_e32 v91, s20, v91
	v_add_u32_e32 v92, v91, v83
	v_ashrrev_i32_e32 v93, 31, v92
	v_lshlrev_b64 v[92:93], 2, v[92:93]
	v_mov_b32_e32 v91, s33
	v_add_co_u32_e32 v92, vcc, s27, v92
	v_addc_co_u32_e32 v93, vcc, v91, v93, vcc
	global_load_dword v91, v[92:93], off
	s_andn2_b64 vcc, exec, s[22:23]
	s_waitcnt vmcnt(0)
	ds_write_b32 v85, v91 offset:328
	s_cbranch_vccnz .LBB79_40
	s_branch .LBB79_44
.LBB79_43:                              ;   in Loop: Header=BB79_34 Depth=1
	v_mov_b32_e32 v91, 0
	s_andn2_b64 vcc, exec, s[22:23]
	ds_write_b32 v85, v91 offset:328
	s_cbranch_vccnz .LBB79_40
.LBB79_44:                              ;   in Loop: Header=BB79_34 Depth=1
	ds_read_b32 v90, v84 offset:8
	s_waitcnt lgkmcnt(0)
	v_cmp_gt_i32_e32 vcc, 0, v90
	s_cbranch_vccnz .LBB79_46
; %bb.45:                               ;   in Loop: Header=BB79_34 Depth=1
	v_mul_lo_u32 v90, v90, s25
	v_add_u32_e32 v90, s36, v90
	v_add_u32_e32 v90, v90, v83
	v_ashrrev_i32_e32 v91, 31, v90
	v_lshlrev_b64 v[90:91], 2, v[90:91]
	v_mov_b32_e32 v92, s33
	v_add_co_u32_e32 v90, vcc, s27, v90
	v_addc_co_u32_e32 v91, vcc, v92, v91, vcc
	global_load_dword v90, v[90:91], off
	s_waitcnt vmcnt(0)
	ds_write_b32 v85, v90 offset:592
	s_andn2_b64 vcc, exec, s[30:31]
	v_mov_b32_e32 v90, 0
	s_cbranch_vccnz .LBB79_33
	s_branch .LBB79_47
.LBB79_46:                              ;   in Loop: Header=BB79_34 Depth=1
	v_mov_b32_e32 v90, 0
	ds_write_b32 v85, v90 offset:592
	s_andn2_b64 vcc, exec, s[30:31]
	v_mov_b32_e32 v90, 0
	s_cbranch_vccnz .LBB79_33
.LBB79_47:                              ;   in Loop: Header=BB79_34 Depth=1
	ds_read_b32 v90, v84 offset:12
	s_waitcnt lgkmcnt(0)
	v_cmp_gt_i32_e32 vcc, 0, v90
	s_cbranch_vccz .LBB79_32
; %bb.48:                               ;   in Loop: Header=BB79_34 Depth=1
	v_mov_b32_e32 v90, 0
	s_branch .LBB79_33
.LBB79_49:
	s_or_b64 exec, exec, s[18:19]
.LBB79_50:
	s_or_b64 exec, exec, s[4:5]
	v_mul_u32_u24_e32 v0, 0x208, v82
	s_movk_i32 s5, 0x100
	v_lshlrev_b32_e32 v1, 2, v81
	v_add3_u32 v0, s5, v0, v1
	v_and_b32_e32 v2, 0x3f0, v12
	v_add_u32_e32 v3, v0, v2
	s_barrier
	ds_write2_b32 v3, a12, a13 offset0:16 offset1:17
	v_or_b32_e32 v3, 12, v12
	v_add_u32_e32 v1, 64, v0
	v_and_b32_e32 v3, 0x3fc, v3
	v_add_u32_e32 v2, v1, v2
	v_add_u32_e32 v0, v0, v3
	ds_write_b32 v2, a14 offset:8
	ds_write_b32 v0, a15 offset:64
	ds_write2_b32 v2, a8, a9 offset0:16 offset1:17
	ds_write_b32 v2, a10 offset:72
	v_add_u32_e32 v0, v1, v3
	ds_write_b32 v0, a11 offset:64
	ds_write2_b32 v2, a4, a5 offset0:32 offset1:33
	ds_write_b32 v2, a6 offset:136
	ds_write_b32 v0, a7 offset:128
	ds_write2_b32 v2, a0, a1 offset0:48 offset1:49
	ds_write_b32 v2, a2 offset:200
	ds_write_b32 v0, a3 offset:192
	v_mov_b32_e32 v2, 0x100
	s_movk_i32 s4, 0x208
	v_lshl_add_u32 v3, v12, 2, v2
	v_mad_u32_u24 v0, v13, s4, v3
	s_waitcnt lgkmcnt(0)
	s_barrier
	ds_read2_b32 v[0:1], v0 offset0:16 offset1:80
	v_cmp_gt_u32_e32 vcc, 4, v13
	v_mov_b32_e32 v5, -1
	s_and_saveexec_b64 s[4:5], vcc
	s_cbranch_execz .LBB79_52
; %bb.51:
	v_lshl_add_u32 v2, v13, 2, v2
	ds_read_b32 v5, v2
.LBB79_52:
	s_or_b64 exec, exec, s[4:5]
	s_mul_hi_i32 s5, s14, s8
	s_mul_i32 s4, s14, s8
	s_lshl_b64 s[4:5], s[4:5], 2
	s_mul_hi_i32 s7, s9, s21
	s_mul_i32 s6, s9, s21
	s_add_u32 s8, s10, s4
	s_addc_u32 s9, s11, s5
	s_lshl_b64 s[4:5], s[6:7], 2
	s_add_u32 s4, s8, s4
	s_waitcnt lgkmcnt(0)
	v_cmp_lt_i32_e32 vcc, -1, v5
	v_mul_u32_u24_e32 v4, 0x208, v13
	v_add_u32_e32 v2, s15, v12
	s_addc_u32 s5, s9, s5
	s_and_b64 s[6:7], vcc, s[0:1]
	s_and_saveexec_b64 s[0:1], s[6:7]
	s_cbranch_execz .LBB79_54
; %bb.53:
	v_add_f32_e32 v0, 0, v0
	v_add_f32_e32 v6, v0, v1
	v_mul_lo_u32 v0, v5, s26
	v_mul_lo_u32 v1, v13, s21
	v_add3_u32 v0, v2, v1, v0
	v_mov_b32_e32 v1, 0
	v_lshlrev_b64 v[0:1], 2, v[0:1]
	v_mov_b32_e32 v5, s5
	v_add_co_u32_e32 v0, vcc, s4, v0
	v_addc_co_u32_e32 v1, vcc, v5, v1, vcc
	global_store_dword v[0:1], v6, off
.LBB79_54:
	s_or_b64 exec, exec, s[0:1]
	v_add_u32_e32 v0, v4, v3
	v_add_u32_e32 v0, 0x50, v0
	ds_read2st64_b32 v[0:1], v0 offset0:4 offset1:5
	v_cmp_gt_u32_e32 vcc, 2, v13
	v_mov_b32_e32 v3, -1
	s_and_saveexec_b64 s[0:1], vcc
	s_cbranch_execz .LBB79_56
; %bb.55:
	v_mov_b32_e32 v3, 0x100
	v_lshl_add_u32 v3, v13, 2, v3
	ds_read_b32 v3, v3 offset:8
.LBB79_56:
	s_or_b64 exec, exec, s[0:1]
	s_waitcnt lgkmcnt(0)
	v_cmp_lt_i32_e32 vcc, -1, v3
	s_and_b64 s[0:1], vcc, s[2:3]
	s_and_saveexec_b64 s[2:3], s[0:1]
	s_cbranch_execz .LBB79_58
; %bb.57:
	v_add_f32_e32 v0, 0, v0
	v_add_f32_e32 v4, v0, v1
	v_mul_lo_u32 v0, v3, s26
	v_mul_lo_u32 v1, v80, s21
	v_add3_u32 v0, v2, v1, v0
	v_mov_b32_e32 v1, 0
	v_lshlrev_b64 v[0:1], 2, v[0:1]
	v_mov_b32_e32 v2, s5
	v_add_co_u32_e32 v0, vcc, s4, v0
	v_addc_co_u32_e32 v1, vcc, v2, v1, vcc
	global_store_dword v[0:1], v4, off
.LBB79_58:
	s_endpgm
	.section	.rodata,"a",@progbits
	.p2align	6, 0x0
	.amdhsa_kernel _ZL9mul_mat_fIfLi64ELi4ELi2ELb1EEvPKT_PKfPKiPfiiiiiiiiiiiiiiii
		.amdhsa_group_segment_fixed_size 256
		.amdhsa_private_segment_fixed_size 0
		.amdhsa_kernarg_size 352
		.amdhsa_user_sgpr_count 6
		.amdhsa_user_sgpr_private_segment_buffer 1
		.amdhsa_user_sgpr_dispatch_ptr 0
		.amdhsa_user_sgpr_queue_ptr 0
		.amdhsa_user_sgpr_kernarg_segment_ptr 1
		.amdhsa_user_sgpr_dispatch_id 0
		.amdhsa_user_sgpr_flat_scratch_init 0
		.amdhsa_user_sgpr_kernarg_preload_length 0
		.amdhsa_user_sgpr_kernarg_preload_offset 0
		.amdhsa_user_sgpr_private_segment_size 0
		.amdhsa_uses_dynamic_stack 0
		.amdhsa_system_sgpr_private_segment_wavefront_offset 0
		.amdhsa_system_sgpr_workgroup_id_x 1
		.amdhsa_system_sgpr_workgroup_id_y 1
		.amdhsa_system_sgpr_workgroup_id_z 1
		.amdhsa_system_sgpr_workgroup_info 0
		.amdhsa_system_vgpr_workitem_id 2
		.amdhsa_next_free_vgpr 120
		.amdhsa_next_free_sgpr 96
		.amdhsa_accum_offset 100
		.amdhsa_reserve_vcc 1
		.amdhsa_reserve_flat_scratch 0
		.amdhsa_float_round_mode_32 0
		.amdhsa_float_round_mode_16_64 0
		.amdhsa_float_denorm_mode_32 3
		.amdhsa_float_denorm_mode_16_64 3
		.amdhsa_dx10_clamp 1
		.amdhsa_ieee_mode 1
		.amdhsa_fp16_overflow 0
		.amdhsa_tg_split 0
		.amdhsa_exception_fp_ieee_invalid_op 0
		.amdhsa_exception_fp_denorm_src 0
		.amdhsa_exception_fp_ieee_div_zero 0
		.amdhsa_exception_fp_ieee_overflow 0
		.amdhsa_exception_fp_ieee_underflow 0
		.amdhsa_exception_fp_ieee_inexact 0
		.amdhsa_exception_int_div_zero 0
	.end_amdhsa_kernel
	.section	.text._ZL9mul_mat_fIfLi64ELi4ELi2ELb1EEvPKT_PKfPKiPfiiiiiiiiiiiiiiii,"axG",@progbits,_ZL9mul_mat_fIfLi64ELi4ELi2ELb1EEvPKT_PKfPKiPfiiiiiiiiiiiiiiii,comdat
.Lfunc_end79:
	.size	_ZL9mul_mat_fIfLi64ELi4ELi2ELb1EEvPKT_PKfPKiPfiiiiiiiiiiiiiiii, .Lfunc_end79-_ZL9mul_mat_fIfLi64ELi4ELi2ELb1EEvPKT_PKfPKiPfiiiiiiiiiiiiiiii
                                        ; -- End function
	.section	.AMDGPU.csdata,"",@progbits
; Kernel info:
; codeLenInByte = 7176
; NumSgprs: 100
; NumVgprs: 98
; NumAgprs: 20
; TotalNumVgprs: 120
; ScratchSize: 0
; MemoryBound: 0
; FloatMode: 240
; IeeeMode: 1
; LDSByteSize: 256 bytes/workgroup (compile time only)
; SGPRBlocks: 12
; VGPRBlocks: 14
; NumSGPRsForWavesPerEU: 100
; NumVGPRsForWavesPerEU: 120
; AccumOffset: 100
; Occupancy: 4
; WaveLimiterHint : 0
; COMPUTE_PGM_RSRC2:SCRATCH_EN: 0
; COMPUTE_PGM_RSRC2:USER_SGPR: 6
; COMPUTE_PGM_RSRC2:TRAP_HANDLER: 0
; COMPUTE_PGM_RSRC2:TGID_X_EN: 1
; COMPUTE_PGM_RSRC2:TGID_Y_EN: 1
; COMPUTE_PGM_RSRC2:TGID_Z_EN: 1
; COMPUTE_PGM_RSRC2:TIDIG_COMP_CNT: 2
; COMPUTE_PGM_RSRC3_GFX90A:ACCUM_OFFSET: 24
; COMPUTE_PGM_RSRC3_GFX90A:TG_SPLIT: 0
	.section	.text._ZL9mul_mat_fIfLi64ELi4ELi2ELb0EEvPKT_PKfPKiPfiiiiiiiiiiiiiiii,"axG",@progbits,_ZL9mul_mat_fIfLi64ELi4ELi2ELb0EEvPKT_PKfPKiPfiiiiiiiiiiiiiiii,comdat
	.globl	_ZL9mul_mat_fIfLi64ELi4ELi2ELb0EEvPKT_PKfPKiPfiiiiiiiiiiiiiiii ; -- Begin function _ZL9mul_mat_fIfLi64ELi4ELi2ELb0EEvPKT_PKfPKiPfiiiiiiiiiiiiiiii
	.p2align	8
	.type	_ZL9mul_mat_fIfLi64ELi4ELi2ELb0EEvPKT_PKfPKiPfiiiiiiiiiiiiiiii,@function
_ZL9mul_mat_fIfLi64ELi4ELi2ELb0EEvPKT_PKfPKiPfiiiiiiiiiiiiiiii: ; @_ZL9mul_mat_fIfLi64ELi4ELi2ELb0EEvPKT_PKfPKiPfiiiiiiiiiiiiiiii
; %bb.0:
	s_load_dwordx8 s[12:19], s[4:5], 0x40
	s_load_dword s9, s[4:5], 0x20
	s_load_dwordx4 s[0:3], s[4:5], 0x2c
	v_bfe_u32 v25, v0, 10, 10
	v_lshlrev_b32_e32 v95, 6, v25
	v_and_b32_e32 v94, 0x3ff, v0
	s_waitcnt lgkmcnt(0)
	s_abs_i32 s27, s12
	s_abs_i32 s26, s16
	v_cvt_f32_u32_e32 v1, s27
	v_cvt_f32_u32_e32 v2, s26
	v_add_u32_e32 v97, v95, v94
	s_mov_b32 s22, 0
	v_rcp_iflag_f32_e32 v1, v1
	v_rcp_iflag_f32_e32 v2, v2
	s_ashr_i32 s28, s8, 31
	v_cmp_le_i32_e32 vcc, s9, v97
	v_mul_f32_e32 v1, 0x4f7ffffe, v1
	v_mul_f32_e32 v2, 0x4f7ffffe, v2
	v_cvt_u32_f32_e32 v1, v1
	v_cvt_u32_f32_e32 v2, v2
	v_and_b32_e32 v96, 15, v94
	v_readfirstlane_b32 s21, v1
	v_readfirstlane_b32 s20, v2
	s_and_saveexec_b64 s[10:11], vcc
	s_xor_b64 s[10:11], exec, s[10:11]
; %bb.1:
	v_and_b32_e32 v96, 15, v94
                                        ; implicit-def: $vgpr97
; %bb.2:
	s_or_saveexec_b64 s[24:25], s[10:11]
	s_load_dwordx2 s[10:11], s[4:5], 0x18
	s_lshl_b32 s3, s6, 6
	v_accvgpr_write_b32 a0, s22
	v_accvgpr_write_b32 a1, s22
	;; [unrolled: 1-line block ×16, first 2 shown]
	v_lshlrev_b32_e32 v16, 2, v94
	s_xor_b64 exec, exec, s[24:25]
	s_cbranch_execz .LBB80_6
; %bb.3:
	s_sub_i32 s6, 0, s27
	s_sub_i32 s22, 0, s26
	s_mul_i32 s6, s6, s21
	s_mul_i32 s22, s22, s20
	s_mul_hi_u32 s6, s21, s6
	s_mul_hi_u32 s22, s20, s22
	s_abs_i32 s29, s7
	s_add_i32 s6, s21, s6
	s_add_i32 s31, s20, s22
	s_load_dwordx4 s[20:23], s[4:5], 0x0
	s_mul_hi_u32 s4, s29, s6
	s_ashr_i32 s6, s7, 31
	s_ashr_i32 s12, s12, 31
	s_xor_b32 s6, s6, s12
	s_mul_i32 s12, s4, s27
	s_abs_i32 s30, s8
	s_sub_i32 s12, s29, s12
	s_mul_hi_u32 s5, s30, s31
	s_ashr_i32 s16, s16, 31
	s_add_i32 s29, s4, 1
	s_sub_i32 s31, s12, s27
	s_cmp_ge_u32 s12, s27
	s_cselect_b32 s4, s29, s4
	s_cselect_b32 s12, s31, s12
	s_add_i32 s29, s4, 1
	s_cmp_ge_u32 s12, s27
	s_cselect_b32 s4, s29, s4
	s_mul_i32 s12, s5, s26
	s_xor_b32 s4, s4, s6
	s_sub_i32 s12, s30, s12
	s_sub_i32 s6, s4, s6
	s_xor_b32 s4, s28, s16
	s_add_i32 s16, s5, 1
	s_sub_i32 s27, s12, s26
	s_cmp_ge_u32 s12, s26
	s_cselect_b32 s5, s16, s5
	s_cselect_b32 s12, s27, s12
	s_add_i32 s16, s5, 1
	s_cmp_ge_u32 s12, s26
	s_cselect_b32 s5, s16, s5
	s_xor_b32 s5, s5, s4
	s_sub_i32 s4, s5, s4
	s_mul_i32 s12, s6, s13
	s_mul_i32 s16, s3, s0
	s_mul_hi_i32 s5, s4, s17
	s_mul_i32 s4, s4, s17
	s_ashr_i32 s13, s12, 31
	s_ashr_i32 s17, s16, 31
	s_lshl_b64 s[30:31], s[4:5], 2
	s_lshl_b64 s[4:5], s[16:17], 2
	;; [unrolled: 1-line block ×3, first 2 shown]
	s_waitcnt lgkmcnt(0)
	s_add_u32 s6, s20, s12
	s_addc_u32 s12, s21, s13
	s_add_u32 s6, s6, s4
	s_mul_i32 s28, s7, s14
	s_addc_u32 s14, s12, s5
	s_add_u32 s4, s6, s30
	s_mul_hi_i32 s27, s18, s8
	s_mul_i32 s26, s18, s8
	s_addc_u32 s73, s14, s31
	s_ashr_i32 s29, s28, 31
	s_lshl_b64 s[12:13], s[26:27], 2
	s_lshl_b64 s[16:17], s[28:29], 2
	s_add_u32 s18, s22, s16
	s_addc_u32 s22, s23, s17
	s_add_u32 s5, s18, s12
	s_movk_i32 s16, 0x1080
	v_lshrrev_b32_e32 v2, 1, v94
	s_addc_u32 s74, s22, s13
	v_mad_u32_u24 v0, v25, s16, 0
	v_mul_u32_u24_e32 v1, 0x108, v96
	v_and_b32_e32 v2, 0x1f8, v2
	s_ashr_i32 s17, s0, 31
	s_mov_b32 s16, s0
	v_add_u32_e32 v98, v0, v16
	v_add3_u32 v99, v0, v1, v2
	s_ashr_i32 s21, s1, 31
	v_lshlrev_b32_e32 v0, 8, v25
	s_lshl_b64 s[16:17], s[16:17], 2
	v_mov_b32_e32 v1, s31
	v_add_co_u32_e32 v2, vcc, s30, v0
	s_add_u32 s16, s6, s16
	v_addc_co_u32_e32 v1, vcc, 0, v1, vcc
	s_addc_u32 s17, s14, s17
	v_mov_b32_e32 v3, s17
	v_add_co_u32_e32 v18, vcc, s16, v2
	v_addc_co_u32_e32 v17, vcc, v3, v1, vcc
	v_mov_b32_e32 v3, s14
	v_add_co_u32_e32 v20, vcc, s6, v2
	s_mov_b32 s20, s1
	v_addc_co_u32_e32 v19, vcc, v3, v1, vcc
	v_mov_b32_e32 v1, s13
	v_add_co_u32_e32 v0, vcc, s12, v0
	s_lshl_b64 s[12:13], s[20:21], 2
	s_add_u32 s6, s18, s12
	v_addc_co_u32_e32 v1, vcc, 0, v1, vcc
	s_addc_u32 s12, s22, s13
	v_mov_b32_e32 v2, s12
	v_add_co_u32_e32 v22, vcc, s6, v0
	v_addc_co_u32_e32 v21, vcc, v2, v1, vcc
	v_mov_b32_e32 v2, s22
	v_add_co_u32_e32 v24, vcc, s18, v0
	v_addc_co_u32_e32 v23, vcc, v2, v1, vcc
	s_lshl_b32 s6, s1, 1
	s_mul_i32 s12, s1, 3
	s_lshl_b32 s13, s0, 1
	s_mul_i32 s14, s0, 3
	;; [unrolled: 2-line block ×3, first 2 shown]
	s_mul_i32 s18, s0, 6
	s_mul_i32 s20, s0, 7
	s_lshl_b32 s21, s0, 3
	s_mul_i32 s22, s0, 9
	s_mul_i32 s23, s0, 10
	s_mul_i32 s26, s0, 11
	s_mul_i32 s27, s0, 12
	s_mul_i32 s28, s0, 13
	s_mul_i32 s29, s0, 14
	s_mul_i32 s30, s0, 15
	s_lshl_b32 s31, s0, 4
	s_mul_i32 s33, s0, 17
	s_mul_i32 s34, s0, 18
	;; [unrolled: 1-line block ×15, first 2 shown]
	s_lshl_b32 s48, s0, 5
	s_mul_i32 s49, s0, 33
	s_mul_i32 s50, s0, 34
	;; [unrolled: 1-line block ×24, first 2 shown]
	v_mov_b32_e32 v100, s73
	s_mul_i32 s73, s0, 57
	v_mov_b32_e32 v101, s74
	s_mul_i32 s74, s0, 58
	v_mov_b32_e32 v102, 0
	v_accvgpr_write_b32 a15, 0
	v_accvgpr_write_b32 a14, 0
	;; [unrolled: 1-line block ×16, first 2 shown]
	s_mul_i32 s75, s0, 59
	s_mul_i32 s76, s0, 60
	;; [unrolled: 1-line block ×5, first 2 shown]
	s_movk_i32 s80, 0x200
	s_mov_b64 s[0:1], 0
.LBB80_4:                               ; =>This Inner Loop Header: Depth=1
	v_add_co_u32_e32 v26, vcc, v20, v16
	v_addc_co_u32_e32 v27, vcc, 0, v19, vcc
	global_load_dword v26, v[26:27], off
	v_add_u32_e32 v42, s31, v97
	v_ashrrev_i32_e32 v43, 31, v42
	v_lshlrev_b64 v[42:43], 2, v[42:43]
	v_add_u32_e32 v54, s48, v97
	v_ashrrev_i32_e32 v55, 31, v54
	v_lshlrev_b64 v[54:55], 2, v[54:55]
	;; [unrolled: 3-line block ×3, first 2 shown]
	v_accvgpr_read_b32 v8, a4
	v_accvgpr_read_b32 v7, a11
	v_accvgpr_read_b32 v6, a10
	v_accvgpr_read_b32 v5, a9
	v_accvgpr_read_b32 v4, a8
	v_accvgpr_read_b32 v11, a7
	v_accvgpr_read_b32 v10, a6
	v_accvgpr_read_b32 v9, a5
	v_accvgpr_write_b32 a8, v8
	v_accvgpr_write_b32 a9, v9
	;; [unrolled: 1-line block ×4, first 2 shown]
	v_accvgpr_read_b32 v0, a12
	v_accvgpr_read_b32 v12, a0
	;; [unrolled: 1-line block ×8, first 2 shown]
	v_accvgpr_write_b32 a0, v0
	v_accvgpr_write_b32 a4, v4
	;; [unrolled: 1-line block ×12, first 2 shown]
	s_waitcnt vmcnt(0)
	ds_write_b32 v98, v26
	v_add_co_u32_e32 v26, vcc, v18, v16
	v_addc_co_u32_e32 v27, vcc, 0, v17, vcc
	global_load_dword v26, v[26:27], off
	s_waitcnt vmcnt(0)
	ds_write_b32 v98, v26 offset:264
	v_add_u32_e32 v26, s13, v97
	v_ashrrev_i32_e32 v27, 31, v26
	v_lshlrev_b64 v[26:27], 2, v[26:27]
	v_add_co_u32_e32 v26, vcc, s4, v26
	v_addc_co_u32_e32 v27, vcc, v100, v27, vcc
	global_load_dword v26, v[26:27], off
	s_waitcnt vmcnt(0)
	ds_write_b32 v98, v26 offset:528
	v_add_u32_e32 v26, s14, v97
	v_ashrrev_i32_e32 v27, 31, v26
	v_lshlrev_b64 v[26:27], 2, v[26:27]
	v_add_co_u32_e32 v26, vcc, s4, v26
	v_addc_co_u32_e32 v27, vcc, v100, v27, vcc
	global_load_dword v26, v[26:27], off
	s_waitcnt vmcnt(0)
	ds_write_b32 v98, v26 offset:792
	v_add_u32_e32 v26, s16, v97
	v_ashrrev_i32_e32 v27, 31, v26
	v_lshlrev_b64 v[26:27], 2, v[26:27]
	v_add_co_u32_e32 v26, vcc, s4, v26
	v_addc_co_u32_e32 v27, vcc, v100, v27, vcc
	global_load_dword v26, v[26:27], off
	s_waitcnt vmcnt(0)
	ds_write_b32 v98, v26 offset:1056
	v_add_u32_e32 v26, s17, v97
	v_ashrrev_i32_e32 v27, 31, v26
	v_lshlrev_b64 v[26:27], 2, v[26:27]
	v_add_co_u32_e32 v26, vcc, s4, v26
	v_addc_co_u32_e32 v27, vcc, v100, v27, vcc
	global_load_dword v26, v[26:27], off
	s_waitcnt vmcnt(0)
	ds_write_b32 v98, v26 offset:1320
	v_add_u32_e32 v26, s18, v97
	v_ashrrev_i32_e32 v27, 31, v26
	v_lshlrev_b64 v[26:27], 2, v[26:27]
	v_add_co_u32_e32 v26, vcc, s4, v26
	v_addc_co_u32_e32 v27, vcc, v100, v27, vcc
	global_load_dword v26, v[26:27], off
	s_waitcnt vmcnt(0)
	ds_write_b32 v98, v26 offset:1584
	v_add_u32_e32 v26, s20, v97
	v_ashrrev_i32_e32 v27, 31, v26
	v_lshlrev_b64 v[26:27], 2, v[26:27]
	v_add_co_u32_e32 v26, vcc, s4, v26
	v_addc_co_u32_e32 v27, vcc, v100, v27, vcc
	global_load_dword v26, v[26:27], off
	s_waitcnt vmcnt(0)
	ds_write_b32 v98, v26 offset:1848
	v_add_u32_e32 v26, s21, v97
	v_ashrrev_i32_e32 v27, 31, v26
	v_lshlrev_b64 v[26:27], 2, v[26:27]
	v_add_co_u32_e32 v26, vcc, s4, v26
	v_addc_co_u32_e32 v27, vcc, v100, v27, vcc
	global_load_dword v26, v[26:27], off
	s_waitcnt vmcnt(0)
	ds_write_b32 v98, v26 offset:2112
	v_add_u32_e32 v26, s22, v97
	v_ashrrev_i32_e32 v27, 31, v26
	v_lshlrev_b64 v[26:27], 2, v[26:27]
	v_add_co_u32_e32 v26, vcc, s4, v26
	v_addc_co_u32_e32 v27, vcc, v100, v27, vcc
	global_load_dword v26, v[26:27], off
	s_waitcnt vmcnt(0)
	ds_write_b32 v98, v26 offset:2376
	v_add_u32_e32 v26, s23, v97
	v_ashrrev_i32_e32 v27, 31, v26
	v_lshlrev_b64 v[26:27], 2, v[26:27]
	v_add_co_u32_e32 v26, vcc, s4, v26
	v_addc_co_u32_e32 v27, vcc, v100, v27, vcc
	global_load_dword v26, v[26:27], off
	s_waitcnt vmcnt(0)
	ds_write_b32 v98, v26 offset:2640
	v_add_u32_e32 v26, s26, v97
	v_ashrrev_i32_e32 v27, 31, v26
	v_lshlrev_b64 v[26:27], 2, v[26:27]
	v_add_co_u32_e32 v26, vcc, s4, v26
	v_addc_co_u32_e32 v27, vcc, v100, v27, vcc
	global_load_dword v26, v[26:27], off
	s_waitcnt vmcnt(0)
	ds_write_b32 v98, v26 offset:2904
	v_add_u32_e32 v26, s27, v97
	v_ashrrev_i32_e32 v27, 31, v26
	v_lshlrev_b64 v[26:27], 2, v[26:27]
	v_add_co_u32_e32 v26, vcc, s4, v26
	v_addc_co_u32_e32 v27, vcc, v100, v27, vcc
	global_load_dword v26, v[26:27], off
	s_waitcnt vmcnt(0)
	ds_write_b32 v98, v26 offset:3168
	v_add_u32_e32 v26, s28, v97
	v_ashrrev_i32_e32 v27, 31, v26
	v_lshlrev_b64 v[26:27], 2, v[26:27]
	v_add_co_u32_e32 v26, vcc, s4, v26
	v_addc_co_u32_e32 v27, vcc, v100, v27, vcc
	global_load_dword v26, v[26:27], off
	s_waitcnt vmcnt(0)
	ds_write_b32 v98, v26 offset:3432
	v_add_u32_e32 v26, s29, v97
	v_ashrrev_i32_e32 v27, 31, v26
	v_lshlrev_b64 v[26:27], 2, v[26:27]
	v_add_co_u32_e32 v26, vcc, s4, v26
	v_addc_co_u32_e32 v27, vcc, v100, v27, vcc
	global_load_dword v26, v[26:27], off
	s_waitcnt vmcnt(0)
	ds_write_b32 v98, v26 offset:3696
	v_add_u32_e32 v26, s30, v97
	v_ashrrev_i32_e32 v27, 31, v26
	v_lshlrev_b64 v[26:27], 2, v[26:27]
	v_add_co_u32_e32 v26, vcc, s4, v26
	v_addc_co_u32_e32 v27, vcc, v100, v27, vcc
	global_load_dword v26, v[26:27], off
	v_add_co_u32_e32 v42, vcc, s4, v42
	v_addc_co_u32_e32 v43, vcc, v100, v43, vcc
	s_waitcnt vmcnt(0)
	ds_write_b32 v98, v26 offset:3960
	ds_read_b64 v[40:41], v99
	ds_read_b64 v[38:39], v99 offset:32
	ds_read_b64 v[36:37], v99 offset:64
	;; [unrolled: 1-line block ×7, first 2 shown]
	global_load_dword v42, v[42:43], off
	s_waitcnt vmcnt(0)
	ds_write_b32 v98, v42
	v_add_u32_e32 v42, s33, v97
	v_ashrrev_i32_e32 v43, 31, v42
	v_lshlrev_b64 v[42:43], 2, v[42:43]
	v_add_co_u32_e32 v42, vcc, s4, v42
	v_addc_co_u32_e32 v43, vcc, v100, v43, vcc
	global_load_dword v42, v[42:43], off
	s_waitcnt vmcnt(0)
	ds_write_b32 v98, v42 offset:264
	v_add_u32_e32 v42, s34, v97
	v_ashrrev_i32_e32 v43, 31, v42
	v_lshlrev_b64 v[42:43], 2, v[42:43]
	v_add_co_u32_e32 v42, vcc, s4, v42
	v_addc_co_u32_e32 v43, vcc, v100, v43, vcc
	global_load_dword v42, v[42:43], off
	s_waitcnt vmcnt(0)
	ds_write_b32 v98, v42 offset:528
	;; [unrolled: 8-line block ×14, first 2 shown]
	v_add_u32_e32 v42, s47, v97
	v_ashrrev_i32_e32 v43, 31, v42
	v_lshlrev_b64 v[42:43], 2, v[42:43]
	v_add_co_u32_e32 v42, vcc, s4, v42
	v_addc_co_u32_e32 v43, vcc, v100, v43, vcc
	global_load_dword v42, v[42:43], off
	v_add_co_u32_e32 v54, vcc, s4, v54
	v_addc_co_u32_e32 v55, vcc, v100, v55, vcc
	s_waitcnt vmcnt(0)
	ds_write_b32 v98, v42 offset:3960
	ds_read_b64 v[64:65], v99
	ds_read_b64 v[60:61], v99 offset:32
	ds_read_b64 v[52:53], v99 offset:64
	;; [unrolled: 1-line block ×7, first 2 shown]
	global_load_dword v54, v[54:55], off
	s_waitcnt vmcnt(0)
	ds_write_b32 v98, v54
	v_add_u32_e32 v54, s49, v97
	v_ashrrev_i32_e32 v55, 31, v54
	v_lshlrev_b64 v[54:55], 2, v[54:55]
	v_add_co_u32_e32 v54, vcc, s4, v54
	v_addc_co_u32_e32 v55, vcc, v100, v55, vcc
	global_load_dword v54, v[54:55], off
	s_waitcnt vmcnt(0)
	ds_write_b32 v98, v54 offset:264
	v_add_u32_e32 v54, s50, v97
	v_ashrrev_i32_e32 v55, 31, v54
	v_lshlrev_b64 v[54:55], 2, v[54:55]
	v_add_co_u32_e32 v54, vcc, s4, v54
	v_addc_co_u32_e32 v55, vcc, v100, v55, vcc
	global_load_dword v54, v[54:55], off
	s_waitcnt vmcnt(0)
	ds_write_b32 v98, v54 offset:528
	;; [unrolled: 8-line block ×14, first 2 shown]
	v_add_u32_e32 v54, s63, v97
	v_ashrrev_i32_e32 v55, 31, v54
	v_lshlrev_b64 v[54:55], 2, v[54:55]
	v_add_co_u32_e32 v54, vcc, s4, v54
	v_addc_co_u32_e32 v55, vcc, v100, v55, vcc
	global_load_dword v54, v[54:55], off
	v_add_co_u32_e32 v70, vcc, s4, v70
	v_addc_co_u32_e32 v71, vcc, v100, v71, vcc
	s_waitcnt vmcnt(0)
	ds_write_b32 v98, v54 offset:3960
	ds_read_b64 v[74:75], v99
	ds_read_b64 v[72:73], v99 offset:32
	ds_read_b64 v[68:69], v99 offset:64
	;; [unrolled: 1-line block ×7, first 2 shown]
	global_load_dword v70, v[70:71], off
	s_waitcnt vmcnt(0)
	ds_write_b32 v98, v70
	v_add_u32_e32 v70, s65, v97
	v_ashrrev_i32_e32 v71, 31, v70
	v_lshlrev_b64 v[70:71], 2, v[70:71]
	v_add_co_u32_e32 v70, vcc, s4, v70
	v_addc_co_u32_e32 v71, vcc, v100, v71, vcc
	global_load_dword v70, v[70:71], off
	s_waitcnt vmcnt(0)
	ds_write_b32 v98, v70 offset:264
	v_add_u32_e32 v70, s66, v97
	v_ashrrev_i32_e32 v71, 31, v70
	v_lshlrev_b64 v[70:71], 2, v[70:71]
	v_add_co_u32_e32 v70, vcc, s4, v70
	v_addc_co_u32_e32 v71, vcc, v100, v71, vcc
	global_load_dword v70, v[70:71], off
	s_waitcnt vmcnt(0)
	ds_write_b32 v98, v70 offset:528
	;; [unrolled: 8-line block ×14, first 2 shown]
	v_add_u32_e32 v70, s79, v97
	v_ashrrev_i32_e32 v71, 31, v70
	v_lshlrev_b64 v[70:71], 2, v[70:71]
	v_add_co_u32_e32 v70, vcc, s4, v70
	v_addc_co_u32_e32 v71, vcc, v100, v71, vcc
	global_load_dword v70, v[70:71], off
	v_add_co_u32_e32 v90, vcc, v24, v16
	v_addc_co_u32_e32 v91, vcc, 0, v23, vcc
	s_waitcnt vmcnt(0)
	ds_write_b32 v98, v70 offset:3960
	ds_read_b64 v[88:89], v99
	ds_read_b64 v[86:87], v99 offset:32
	ds_read_b64 v[84:85], v99 offset:64
	;; [unrolled: 1-line block ×7, first 2 shown]
	global_load_dword v90, v[90:91], off
	s_waitcnt vmcnt(0)
	ds_write_b32 v98, v90
	v_add_co_u32_e32 v90, vcc, v22, v16
	v_addc_co_u32_e32 v91, vcc, 0, v21, vcc
	global_load_dword v90, v[90:91], off
	s_waitcnt vmcnt(0)
	ds_write_b32 v98, v90 offset:264
	v_add_u32_e32 v90, s6, v97
	v_ashrrev_i32_e32 v91, 31, v90
	v_lshlrev_b64 v[90:91], 2, v[90:91]
	v_add_co_u32_e32 v90, vcc, s5, v90
	v_addc_co_u32_e32 v91, vcc, v101, v91, vcc
	global_load_dword v90, v[90:91], off
	s_waitcnt vmcnt(0)
	ds_write_b32 v98, v90 offset:528
	v_add_u32_e32 v90, s12, v97
	v_ashrrev_i32_e32 v91, 31, v90
	v_lshlrev_b64 v[90:91], 2, v[90:91]
	v_add_co_u32_e32 v90, vcc, s5, v90
	v_addc_co_u32_e32 v91, vcc, v101, v91, vcc
	global_load_dword v90, v[90:91], off
	s_waitcnt vmcnt(0)
	ds_write_b32 v98, v90 offset:792
	ds_write_b32 v98, v102 offset:1056
	;; [unrolled: 1-line block ×13, first 2 shown]
	ds_read_b64 v[92:93], v99
	ds_read_b64 v[90:91], v99 offset:32
	s_waitcnt lgkmcnt(1)
	v_mfma_f32_16x16x4f32 a[8:11], v74, v92, a[8:11]
	ds_read_b64 v[0:1], v99 offset:64
	v_add_co_u32_e32 v18, vcc, s80, v18
	v_addc_co_u32_e32 v17, vcc, 0, v17, vcc
	v_add_co_u32_e32 v20, vcc, 0x200, v20
	v_mfma_f32_16x16x4f32 a[0:3], v40, v92, a[0:3]
	v_addc_co_u32_e32 v19, vcc, 0, v19, vcc
	v_add_co_u32_e32 v22, vcc, 0x200, v22
	v_addc_co_u32_e32 v21, vcc, 0, v21, vcc
	v_add_co_u32_e32 v24, vcc, 0x200, v24
	v_mfma_f32_16x16x4f32 a[4:7], v64, v92, a[4:7]
	v_add_u32_e32 v97, 0x80, v97
	v_addc_co_u32_e32 v23, vcc, 0, v23, vcc
	v_cmp_le_i32_e32 vcc, s9, v97
	s_or_b64 s[0:1], vcc, s[0:1]
	v_mfma_f32_16x16x4f32 a[12:15], v88, v92, a[12:15]
	v_mfma_f32_16x16x4f32 a[8:11], v75, v93, a[8:11]
	;; [unrolled: 1-line block ×5, first 2 shown]
	s_waitcnt lgkmcnt(1)
	v_mfma_f32_16x16x4f32 a[8:11], v72, v90, a[8:11]
	v_mfma_f32_16x16x4f32 a[0:3], v38, v90, a[0:3]
	;; [unrolled: 1-line block ×8, first 2 shown]
	s_waitcnt lgkmcnt(0)
	v_mfma_f32_16x16x4f32 a[8:11], v68, v0, a[8:11]
	v_mfma_f32_16x16x4f32 a[0:3], v36, v0, a[0:3]
	v_mfma_f32_16x16x4f32 a[4:7], v52, v0, a[4:7]
	v_mfma_f32_16x16x4f32 a[12:15], v84, v0, a[12:15]
	v_mfma_f32_16x16x4f32 a[8:11], v69, v1, a[8:11]
	v_mfma_f32_16x16x4f32 a[0:3], v37, v1, a[0:3]
	v_mfma_f32_16x16x4f32 a[4:7], v53, v1, a[4:7]
	v_mfma_f32_16x16x4f32 a[12:15], v85, v1, a[12:15]
	ds_read_b64 v[0:1], v99 offset:96
	s_waitcnt lgkmcnt(0)
	v_mfma_f32_16x16x4f32 a[8:11], v66, v0, a[8:11]
	v_mfma_f32_16x16x4f32 a[0:3], v34, v0, a[0:3]
	v_mfma_f32_16x16x4f32 a[4:7], v50, v0, a[4:7]
	v_mfma_f32_16x16x4f32 a[12:15], v82, v0, a[12:15]
	v_mfma_f32_16x16x4f32 a[8:11], v67, v1, a[8:11]
	v_mfma_f32_16x16x4f32 a[0:3], v35, v1, a[0:3]
	v_mfma_f32_16x16x4f32 a[4:7], v51, v1, a[4:7]
	v_mfma_f32_16x16x4f32 a[12:15], v83, v1, a[12:15]
	ds_read_b64 v[0:1], v99 offset:128
	;; [unrolled: 10-line block ×5, first 2 shown]
	s_waitcnt lgkmcnt(0)
	v_mfma_f32_16x16x4f32 a[0:3], v26, v0, a[0:3]
	v_mfma_f32_16x16x4f32 a[12:15], v27, v1, a[0:3]
	v_mfma_f32_16x16x4f32 a[0:3], v42, v0, a[4:7]
	v_mfma_f32_16x16x4f32 a[8:11], v43, v1, a[0:3]
	v_mfma_f32_16x16x4f32 a[0:3], v54, v0, a[16:19]
	v_mfma_f32_16x16x4f32 a[4:7], v55, v1, a[0:3]
	v_mfma_f32_16x16x4f32 a[0:3], v70, v0, a[20:23]
	v_mfma_f32_16x16x4f32 a[0:3], v71, v1, a[0:3]
	s_andn2_b64 exec, exec, s[0:1]
	s_cbranch_execnz .LBB80_4
; %bb.5:
	s_or_b64 exec, exec, s[0:1]
.LBB80_6:
	s_or_b64 exec, exec, s[24:25]
	v_mul_u32_u24_e32 v0, 0x208, v96
	v_lshlrev_b32_e32 v1, 2, v95
	v_or_b32_e32 v2, 12, v94
	v_add3_u32 v0, 0, v0, v1
	v_and_b32_e32 v1, 0x3f0, v94
	v_and_b32_e32 v2, 0x3fc, v2
	v_add_u32_e32 v1, v0, v1
	v_add_u32_e32 v0, v0, v2
	s_waitcnt lgkmcnt(0)
	s_barrier
	ds_write2_b32 v1, a12, a13 offset1:1
	ds_write_b32 v1, a14 offset:8
	ds_write_b32 v0, a15
	ds_write2_b32 v1, a8, a9 offset0:16 offset1:17
	ds_write_b32 v1, a10 offset:72
	ds_write_b32 v0, a11 offset:64
	ds_write2_b32 v1, a4, a5 offset0:32 offset1:33
	ds_write_b32 v1, a6 offset:136
	ds_write_b32 v0, a7 offset:128
	;; [unrolled: 3-line block ×3, first 2 shown]
	v_mul_u32_u24_e32 v0, 0x208, v25
	v_add3_u32 v4, 0, v16, v0
	s_waitcnt lgkmcnt(0)
	s_barrier
	ds_read2st64_b32 v[0:1], v4 offset1:1
	s_mul_hi_i32 s1, s19, s8
	s_mul_i32 s0, s19, s8
	s_lshl_b64 s[0:1], s[0:1], 2
	s_add_u32 s4, s10, s0
	s_mul_i32 s0, s7, s15
	s_addc_u32 s5, s11, s1
	s_ashr_i32 s1, s0, 31
	s_waitcnt lgkmcnt(0)
	v_add_f32_e32 v0, 0, v0
	v_add_u32_e32 v4, 16, v4
	s_lshl_b64 s[0:1], s[0:1], 2
	v_add_f32_e32 v6, v0, v1
	v_mul_lo_u32 v0, v25, s2
	ds_read2st64_b32 v[4:5], v4 offset0:4 offset1:5
	s_add_u32 s0, s4, s0
	v_add3_u32 v0, s3, v94, v0
	v_mov_b32_e32 v1, 0
	s_addc_u32 s1, s5, s1
	v_lshlrev_b64 v[2:3], 2, v[0:1]
	v_mov_b32_e32 v7, s1
	v_add_co_u32_e32 v2, vcc, s0, v2
	v_lshl_add_u32 v0, s2, 1, v0
	v_addc_co_u32_e32 v3, vcc, v7, v3, vcc
	v_lshlrev_b64 v[0:1], 2, v[0:1]
	global_store_dword v[2:3], v6, off
	s_waitcnt lgkmcnt(0)
	v_add_f32_e32 v2, 0, v4
	v_mov_b32_e32 v3, s1
	v_add_co_u32_e32 v0, vcc, s0, v0
	v_add_f32_e32 v2, v2, v5
	v_addc_co_u32_e32 v1, vcc, v3, v1, vcc
	global_store_dword v[0:1], v2, off
	s_endpgm
	.section	.rodata,"a",@progbits
	.p2align	6, 0x0
	.amdhsa_kernel _ZL9mul_mat_fIfLi64ELi4ELi2ELb0EEvPKT_PKfPKiPfiiiiiiiiiiiiiiii
		.amdhsa_group_segment_fixed_size 0
		.amdhsa_private_segment_fixed_size 0
		.amdhsa_kernarg_size 96
		.amdhsa_user_sgpr_count 6
		.amdhsa_user_sgpr_private_segment_buffer 1
		.amdhsa_user_sgpr_dispatch_ptr 0
		.amdhsa_user_sgpr_queue_ptr 0
		.amdhsa_user_sgpr_kernarg_segment_ptr 1
		.amdhsa_user_sgpr_dispatch_id 0
		.amdhsa_user_sgpr_flat_scratch_init 0
		.amdhsa_user_sgpr_kernarg_preload_length 0
		.amdhsa_user_sgpr_kernarg_preload_offset 0
		.amdhsa_user_sgpr_private_segment_size 0
		.amdhsa_uses_dynamic_stack 0
		.amdhsa_system_sgpr_private_segment_wavefront_offset 0
		.amdhsa_system_sgpr_workgroup_id_x 1
		.amdhsa_system_sgpr_workgroup_id_y 1
		.amdhsa_system_sgpr_workgroup_id_z 1
		.amdhsa_system_sgpr_workgroup_info 0
		.amdhsa_system_vgpr_workitem_id 1
		.amdhsa_next_free_vgpr 128
		.amdhsa_next_free_sgpr 81
		.amdhsa_accum_offset 104
		.amdhsa_reserve_vcc 1
		.amdhsa_reserve_flat_scratch 0
		.amdhsa_float_round_mode_32 0
		.amdhsa_float_round_mode_16_64 0
		.amdhsa_float_denorm_mode_32 3
		.amdhsa_float_denorm_mode_16_64 3
		.amdhsa_dx10_clamp 1
		.amdhsa_ieee_mode 1
		.amdhsa_fp16_overflow 0
		.amdhsa_tg_split 0
		.amdhsa_exception_fp_ieee_invalid_op 0
		.amdhsa_exception_fp_denorm_src 0
		.amdhsa_exception_fp_ieee_div_zero 0
		.amdhsa_exception_fp_ieee_overflow 0
		.amdhsa_exception_fp_ieee_underflow 0
		.amdhsa_exception_fp_ieee_inexact 0
		.amdhsa_exception_int_div_zero 0
	.end_amdhsa_kernel
	.section	.text._ZL9mul_mat_fIfLi64ELi4ELi2ELb0EEvPKT_PKfPKiPfiiiiiiiiiiiiiiii,"axG",@progbits,_ZL9mul_mat_fIfLi64ELi4ELi2ELb0EEvPKT_PKfPKiPfiiiiiiiiiiiiiiii,comdat
.Lfunc_end80:
	.size	_ZL9mul_mat_fIfLi64ELi4ELi2ELb0EEvPKT_PKfPKiPfiiiiiiiiiiiiiiii, .Lfunc_end80-_ZL9mul_mat_fIfLi64ELi4ELi2ELb0EEvPKT_PKfPKiPfiiiiiiiiiiiiiiii
                                        ; -- End function
	.section	.AMDGPU.csdata,"",@progbits
; Kernel info:
; codeLenInByte = 5700
; NumSgprs: 85
; NumVgprs: 103
; NumAgprs: 24
; TotalNumVgprs: 128
; ScratchSize: 0
; MemoryBound: 0
; FloatMode: 240
; IeeeMode: 1
; LDSByteSize: 0 bytes/workgroup (compile time only)
; SGPRBlocks: 10
; VGPRBlocks: 15
; NumSGPRsForWavesPerEU: 85
; NumVGPRsForWavesPerEU: 128
; AccumOffset: 104
; Occupancy: 4
; WaveLimiterHint : 0
; COMPUTE_PGM_RSRC2:SCRATCH_EN: 0
; COMPUTE_PGM_RSRC2:USER_SGPR: 6
; COMPUTE_PGM_RSRC2:TRAP_HANDLER: 0
; COMPUTE_PGM_RSRC2:TGID_X_EN: 1
; COMPUTE_PGM_RSRC2:TGID_Y_EN: 1
; COMPUTE_PGM_RSRC2:TGID_Z_EN: 1
; COMPUTE_PGM_RSRC2:TIDIG_COMP_CNT: 1
; COMPUTE_PGM_RSRC3_GFX90A:ACCUM_OFFSET: 25
; COMPUTE_PGM_RSRC3_GFX90A:TG_SPLIT: 0
	.section	.text._ZL13mul_mat_f_idsIfLi64ELi4ELi3EEvPKT_PKfPKiS6_S6_Pfiiiiiiiiiiiiii15HIP_vector_typeIjLj3EES9_,"axG",@progbits,_ZL13mul_mat_f_idsIfLi64ELi4ELi3EEvPKT_PKfPKiS6_S6_Pfiiiiiiiiiiiiii15HIP_vector_typeIjLj3EES9_,comdat
	.globl	_ZL13mul_mat_f_idsIfLi64ELi4ELi3EEvPKT_PKfPKiS6_S6_Pfiiiiiiiiiiiiii15HIP_vector_typeIjLj3EES9_ ; -- Begin function _ZL13mul_mat_f_idsIfLi64ELi4ELi3EEvPKT_PKfPKiS6_S6_Pfiiiiiiiiiiiiii15HIP_vector_typeIjLj3EES9_
	.p2align	8
	.type	_ZL13mul_mat_f_idsIfLi64ELi4ELi3EEvPKT_PKfPKiS6_S6_Pfiiiiiiiiiiiiii15HIP_vector_typeIjLj3EES9_,@function
_ZL13mul_mat_f_idsIfLi64ELi4ELi3EEvPKT_PKfPKiS6_S6_Pfiiiiiiiiiiiiii15HIP_vector_typeIjLj3EES9_: ; @_ZL13mul_mat_f_idsIfLi64ELi4ELi3EEvPKT_PKfPKiS6_S6_Pfiiiiiiiiiiiiii15HIP_vector_typeIjLj3EES9_
; %bb.0:
	s_load_dwordx2 s[0:1], s[4:5], 0x20
	s_mov_b32 s34, s7
	s_ashr_i32 s35, s7, 31
	s_lshl_b64 s[2:3], s[34:35], 2
	s_waitcnt lgkmcnt(0)
	s_add_u32 s0, s0, s2
	s_addc_u32 s1, s1, s3
	s_load_dwordx2 s[26:27], s[0:1], 0x0
	s_waitcnt lgkmcnt(0)
	s_sub_i32 s33, s27, s26
	s_add_i32 s0, s33, 3
	s_ashr_i32 s1, s0, 31
	s_lshr_b32 s1, s1, 30
	s_add_i32 s0, s0, s1
	s_ashr_i32 s0, s0, 2
	s_cmp_ge_i32 s8, s0
	s_cbranch_scc1 .LBB81_26
; %bb.1:
	v_bfe_u32 v78, v0, 10, 10
	v_lshlrev_b32_e32 v80, 6, v78
	v_and_b32_e32 v79, 0x3ff, v0
	s_load_dwordx4 s[12:15], s[4:5], 0x30
	s_load_dwordx2 s[20:21], s[4:5], 0x40
	s_load_dwordx4 s[0:3], s[4:5], 0x4c
	s_load_dwordx4 s[16:19], s[4:5], 0x68
	s_load_dwordx2 s[24:25], s[4:5], 0x78
	v_add_u32_e32 v82, v80, v79
	s_ashr_i32 s27, s26, 31
	s_waitcnt lgkmcnt(0)
	v_cmp_le_i32_e32 vcc, s12, v82
	v_and_b32_e32 v81, 15, v79
                                        ; implicit-def: $sgpr3
	s_and_saveexec_b64 s[10:11], vcc
	s_xor_b64 s[10:11], exec, s[10:11]
; %bb.2:
	v_and_b32_e32 v81, 15, v79
	s_mov_b32 s3, 0
                                        ; implicit-def: $vgpr82
; %bb.3:
	s_or_saveexec_b64 s[22:23], s[10:11]
	s_load_dwordx2 s[10:11], s[4:5], 0x18
                                        ; implicit-def: $vgpr96 : SGPR spill to VGPR lane
	s_lshl_b32 s7, s6, 6
	s_lshl_b32 s6, s8, 2
	v_accvgpr_write_b32 a0, s3
	v_accvgpr_write_b32 a1, s3
	s_waitcnt lgkmcnt(0)
	v_writelane_b32 v96, s10, 0
	v_writelane_b32 v96, s11, 1
	s_load_dwordx2 s[10:11], s[4:5], 0x28
	v_accvgpr_write_b32 a2, s3
	v_accvgpr_write_b32 a3, s3
	;; [unrolled: 1-line block ×4, first 2 shown]
	s_waitcnt lgkmcnt(0)
	v_writelane_b32 v96, s10, 2
	v_writelane_b32 v96, s11, 3
	v_accvgpr_write_b32 a6, s3
	v_accvgpr_write_b32 a7, s3
	;; [unrolled: 1-line block ×10, first 2 shown]
	v_writelane_b32 v96, s22, 4
	v_writelane_b32 v96, s23, 5
	s_xor_b64 exec, exec, s[22:23]
	s_cbranch_execz .LBB81_19
; %bb.4:
	v_writelane_b32 v96, s24, 6
	v_writelane_b32 v96, s25, 7
	s_load_dwordx4 s[8:11], s[4:5], 0x0
	s_load_dwordx2 s[22:23], s[4:5], 0x10
	s_mul_i32 s4, s34, s0
	s_mul_i32 s24, s7, s15
	s_ashr_i32 s5, s4, 31
	s_ashr_i32 s25, s24, 31
	s_lshl_b64 s[24:25], s[24:25], 2
	s_lshl_b64 s[4:5], s[4:5], 2
	s_add_u32 s3, s4, s24
	s_addc_u32 s24, s5, s25
	s_waitcnt lgkmcnt(0)
	s_add_u32 s0, s3, s8
	s_addc_u32 s25, s24, s9
	s_lshl_b64 s[4:5], s[26:27], 2
	s_add_u32 s28, s22, s4
	s_addc_u32 s29, s23, s5
	s_movk_i32 s4, 0x1080
	s_cmp_lt_i32 s6, s33
	v_writelane_b32 v96, s7, 8
	v_mad_u32_u24 v0, v78, s4, 0
	s_cselect_b64 s[4:5], -1, 0
	s_ashr_i32 s7, s6, 31
	s_lshl_b64 s[22:23], s[6:7], 2
	s_add_u32 s34, s28, s22
	v_lshrrev_b32_e32 v3, 1, v79
	s_addc_u32 s35, s29, s23
	s_or_b32 s7, s6, 1
	v_lshlrev_b32_e32 v1, 2, v79
	v_mul_u32_u24_e32 v2, 0x108, v81
	v_and_b32_e32 v3, 0x1f8, v3
	s_cmp_lt_i32 s7, s33
	v_add_u32_e32 v83, v0, v1
	v_add3_u32 v84, v0, v2, v3
	s_cselect_b64 s[36:37], -1, 0
	s_or_b32 s7, s6, 2
	v_lshlrev_b32_e32 v0, 8, v78
	s_cmp_lt_i32 s7, s33
	v_mov_b32_e32 v2, s24
	v_add_co_u32_e32 v0, vcc, s3, v0
	s_cselect_b64 s[38:39], -1, 0
	s_or_b32 s7, s6, 3
	v_addc_co_u32_e32 v2, vcc, 0, v2, vcc
	s_cmp_lt_i32 s7, s33
	v_add_co_u32_e32 v0, vcc, v0, v1
	s_cselect_b64 s[40:41], -1, 0
	s_ashr_i32 s23, s15, 31
	s_mov_b32 s22, s15
	v_addc_co_u32_e32 v1, vcc, 0, v2, vcc
	s_lshl_b64 s[42:43], s[22:23], 2
	v_mov_b32_e32 v2, s9
	v_add_co_u32_e32 v12, vcc, s8, v0
	v_addc_co_u32_e32 v13, vcc, v2, v1, vcc
	s_lshl_b32 s7, s15, 1
	s_mul_i32 s44, s15, 3
	s_lshl_b32 s45, s15, 2
	s_mul_i32 s46, s15, 5
	s_mul_i32 s47, s15, 6
	;; [unrolled: 1-line block ×3, first 2 shown]
	s_lshl_b32 s49, s15, 3
	s_mul_i32 s50, s15, 9
	s_mul_i32 s51, s15, 10
	;; [unrolled: 1-line block ×7, first 2 shown]
	s_lshl_b32 s57, s15, 4
	s_mul_i32 s58, s15, 17
	s_mul_i32 s59, s15, 18
	;; [unrolled: 1-line block ×15, first 2 shown]
	s_lshl_b32 s73, s15, 5
	s_mul_i32 s74, s15, 33
	s_mul_i32 s75, s15, 34
	;; [unrolled: 1-line block ×15, first 2 shown]
	v_mov_b32_e32 v85, s25
	s_mul_i32 s89, s15, 48
	v_mov_b32_e32 v86, 0
	v_accvgpr_write_b32 a15, 0
	v_accvgpr_write_b32 a14, 0
	;; [unrolled: 1-line block ×16, first 2 shown]
	v_mov_b32_e32 v87, s43
	s_mul_i32 s43, s15, 49
	s_mul_i32 s90, s15, 50
	;; [unrolled: 1-line block ×15, first 2 shown]
	s_mov_b64 s[8:9], 0
	s_branch .LBB81_6
.LBB81_5:                               ;   in Loop: Header=BB81_6 Depth=1
	s_waitcnt vmcnt(0)
	ds_write2_b32 v83, v88, v90 offset1:66
	ds_write2_b32 v83, v89, v91 offset0:132 offset1:198
	v_add_u32_e32 v88, 0x400, v83
	ds_write2_b32 v88, v86, v86 offset0:8 offset1:74
	ds_write2_b32 v88, v86, v86 offset0:140 offset1:206
	v_add_u32_e32 v88, 0x800, v83
	ds_write2_b32 v88, v86, v86 offset0:16 offset1:82
	ds_write2_b32 v88, v86, v86 offset0:148 offset1:214
	v_add_u32_e32 v88, 0xc00, v83
	ds_write2_b32 v88, v86, v86 offset0:24 offset1:90
	ds_write2_b32 v88, v86, v86 offset0:156 offset1:222
	ds_read2_b64 v[88:91], v84 offset1:4
	v_accvgpr_write_b32 a4, v8
	v_accvgpr_write_b32 a11, v7
	;; [unrolled: 1-line block ×12, first 2 shown]
	s_waitcnt lgkmcnt(0)
	v_mfma_f32_16x16x4f32 a[0:3], v42, v88, a[0:3]
	ds_read2_b64 v[0:3], v84 offset0:8 offset1:12
	v_add_co_u32_e32 v12, vcc, 0x300, v12
	v_add_u32_e32 v82, 0xc0, v82
	v_addc_co_u32_e32 v13, vcc, 0, v13, vcc
	v_cmp_le_i32_e32 vcc, s12, v82
	v_mfma_f32_16x16x4f32 a[4:7], v54, v88, a[4:7]
	s_or_b64 s[8:9], vcc, s[8:9]
	v_mfma_f32_16x16x4f32 a[8:11], v60, v88, a[8:11]
	v_mfma_f32_16x16x4f32 a[12:15], v76, v88, a[12:15]
	;; [unrolled: 1-line block ×14, first 2 shown]
	s_waitcnt lgkmcnt(0)
	v_mfma_f32_16x16x4f32 a[0:3], v30, v0, a[0:3]
	v_mfma_f32_16x16x4f32 a[4:7], v46, v0, a[4:7]
	;; [unrolled: 1-line block ×16, first 2 shown]
	ds_read2_b64 v[0:3], v84 offset0:16 offset1:20
	s_waitcnt lgkmcnt(0)
	v_mfma_f32_16x16x4f32 a[0:3], v22, v0, a[0:3]
	v_mfma_f32_16x16x4f32 a[4:7], v34, v0, a[4:7]
	;; [unrolled: 1-line block ×16, first 2 shown]
	ds_read2_b64 v[0:3], v84 offset0:24 offset1:28
	s_waitcnt lgkmcnt(0)
	v_mfma_f32_16x16x4f32 a[0:3], v16, v0, a[0:3]
	v_mfma_f32_16x16x4f32 a[4:7], v24, v0, a[4:7]
	;; [unrolled: 1-line block ×16, first 2 shown]
	s_andn2_b64 exec, exec, s[8:9]
	s_cbranch_execz .LBB81_18
.LBB81_6:                               ; =>This Inner Loop Header: Depth=1
	v_add_co_u32_e32 v0, vcc, s42, v12
	v_addc_co_u32_e32 v1, vcc, v13, v87, vcc
	global_load_dword v18, v[12:13], off
	global_load_dword v19, v[0:1], off
	v_add_u32_e32 v0, s7, v82
	v_ashrrev_i32_e32 v1, 31, v0
	v_lshlrev_b64 v[0:1], 2, v[0:1]
	v_add_u32_e32 v2, s44, v82
	v_add_co_u32_e32 v0, vcc, s0, v0
	v_ashrrev_i32_e32 v3, 31, v2
	v_addc_co_u32_e32 v1, vcc, v85, v1, vcc
	v_lshlrev_b64 v[2:3], 2, v[2:3]
	v_add_u32_e32 v4, s45, v82
	v_add_co_u32_e32 v2, vcc, s0, v2
	v_ashrrev_i32_e32 v5, 31, v4
	v_addc_co_u32_e32 v3, vcc, v85, v3, vcc
	v_lshlrev_b64 v[4:5], 2, v[4:5]
	v_add_u32_e32 v6, s46, v82
	v_add_co_u32_e32 v4, vcc, s0, v4
	v_ashrrev_i32_e32 v7, 31, v6
	v_addc_co_u32_e32 v5, vcc, v85, v5, vcc
	v_lshlrev_b64 v[6:7], 2, v[6:7]
	v_add_u32_e32 v8, s47, v82
	v_add_co_u32_e32 v6, vcc, s0, v6
	v_ashrrev_i32_e32 v9, 31, v8
	v_addc_co_u32_e32 v7, vcc, v85, v7, vcc
	v_lshlrev_b64 v[8:9], 2, v[8:9]
	v_add_u32_e32 v10, s48, v82
	v_add_co_u32_e32 v8, vcc, s0, v8
	v_ashrrev_i32_e32 v11, 31, v10
	v_addc_co_u32_e32 v9, vcc, v85, v9, vcc
	v_lshlrev_b64 v[10:11], 2, v[10:11]
	v_add_co_u32_e32 v10, vcc, s0, v10
	v_addc_co_u32_e32 v11, vcc, v85, v11, vcc
	global_load_dword v20, v[0:1], off
	global_load_dword v21, v[2:3], off
	;; [unrolled: 1-line block ×6, first 2 shown]
	v_add_u32_e32 v14, s49, v82
	v_ashrrev_i32_e32 v15, 31, v14
	v_add_u32_e32 v16, s50, v82
	v_lshlrev_b64 v[14:15], 2, v[14:15]
	v_ashrrev_i32_e32 v17, 31, v16
	v_add_co_u32_e32 v14, vcc, s0, v14
	v_lshlrev_b64 v[16:17], 2, v[16:17]
	v_addc_co_u32_e32 v15, vcc, v85, v15, vcc
	v_add_co_u32_e32 v16, vcc, s0, v16
	v_addc_co_u32_e32 v17, vcc, v85, v17, vcc
	v_add_u32_e32 v26, s56, v82
	v_ashrrev_i32_e32 v27, 31, v26
	v_lshlrev_b64 v[26:27], 2, v[26:27]
	v_add_u32_e32 v28, s57, v82
	v_ashrrev_i32_e32 v29, 31, v28
	v_lshlrev_b64 v[28:29], 2, v[28:29]
	;; [unrolled: 3-line block ×6, first 2 shown]
	s_waitcnt vmcnt(7)
	ds_write_b32 v83, v18
	s_waitcnt vmcnt(6)
	ds_write_b32 v83, v19 offset:264
	global_load_dword v14, v[14:15], off
	s_nop 0
	global_load_dword v15, v[16:17], off
	v_add_u32_e32 v16, s51, v82
	v_ashrrev_i32_e32 v17, 31, v16
	v_lshlrev_b64 v[16:17], 2, v[16:17]
	v_add_u32_e32 v18, s52, v82
	v_add_co_u32_e32 v16, vcc, s0, v16
	v_ashrrev_i32_e32 v19, 31, v18
	v_addc_co_u32_e32 v17, vcc, v85, v17, vcc
	v_lshlrev_b64 v[18:19], 2, v[18:19]
	s_waitcnt vmcnt(7)
	ds_write_b32 v83, v20 offset:528
	s_waitcnt vmcnt(6)
	ds_write_b32 v83, v21 offset:792
	s_waitcnt vmcnt(5)
	ds_write_b32 v83, v22 offset:1056
	s_waitcnt vmcnt(4)
	ds_write_b32 v83, v23 offset:1320
	s_waitcnt vmcnt(3)
	ds_write_b32 v83, v24 offset:1584
	s_waitcnt vmcnt(2)
	ds_write_b32 v83, v25 offset:1848
	v_add_u32_e32 v20, s53, v82
	v_add_co_u32_e32 v18, vcc, s0, v18
	v_ashrrev_i32_e32 v21, 31, v20
	v_addc_co_u32_e32 v19, vcc, v85, v19, vcc
	v_lshlrev_b64 v[20:21], 2, v[20:21]
	v_add_u32_e32 v22, s54, v82
	v_add_co_u32_e32 v20, vcc, s0, v20
	v_ashrrev_i32_e32 v23, 31, v22
	v_addc_co_u32_e32 v21, vcc, v85, v21, vcc
	v_lshlrev_b64 v[22:23], 2, v[22:23]
	;; [unrolled: 5-line block ×3, first 2 shown]
	v_add_co_u32_e32 v24, vcc, s0, v24
	v_addc_co_u32_e32 v25, vcc, v85, v25, vcc
	v_add_co_u32_e32 v26, vcc, s0, v26
	v_addc_co_u32_e32 v27, vcc, v85, v27, vcc
	;; [unrolled: 2-line block ×4, first 2 shown]
	global_load_dword v16, v[16:17], off
	s_nop 0
	global_load_dword v17, v[18:19], off
	s_nop 0
	global_load_dword v18, v[20:21], off
	global_load_dword v19, v[22:23], off
	s_nop 0
	global_load_dword v22, v[24:25], off
	global_load_dword v23, v[26:27], off
	;; [unrolled: 1-line block ×4, first 2 shown]
	v_add_u32_e32 v24, s59, v82
	v_ashrrev_i32_e32 v25, 31, v24
	v_lshlrev_b64 v[24:25], 2, v[24:25]
	v_add_u32_e32 v26, s60, v82
	v_add_co_u32_e32 v24, vcc, s0, v24
	v_ashrrev_i32_e32 v27, 31, v26
	v_addc_co_u32_e32 v25, vcc, v85, v25, vcc
	v_lshlrev_b64 v[26:27], 2, v[26:27]
	v_add_u32_e32 v28, s61, v82
	v_add_co_u32_e32 v26, vcc, s0, v26
	v_ashrrev_i32_e32 v29, 31, v28
	v_addc_co_u32_e32 v27, vcc, v85, v27, vcc
	;; [unrolled: 5-line block ×3, first 2 shown]
	v_lshlrev_b64 v[30:31], 2, v[30:31]
	v_add_co_u32_e32 v30, vcc, s0, v30
	v_addc_co_u32_e32 v31, vcc, v85, v31, vcc
	v_add_co_u32_e32 v32, vcc, s0, v32
	v_addc_co_u32_e32 v33, vcc, v85, v33, vcc
	;; [unrolled: 2-line block ×3, first 2 shown]
	v_add_u32_e32 v38, s66, v82
	v_add_co_u32_e32 v36, vcc, s0, v36
	v_ashrrev_i32_e32 v39, 31, v38
	v_addc_co_u32_e32 v37, vcc, v85, v37, vcc
	v_lshlrev_b64 v[38:39], 2, v[38:39]
	v_add_co_u32_e32 v38, vcc, s0, v38
	v_addc_co_u32_e32 v39, vcc, v85, v39, vcc
	global_load_dword v24, v[24:25], off
	s_nop 0
	global_load_dword v25, v[26:27], off
	s_nop 0
	;; [unrolled: 2-line block ×6, first 2 shown]
	global_load_dword v34, v[36:37], off
	global_load_dword v35, v[38:39], off
	v_add_u32_e32 v26, s67, v82
	v_ashrrev_i32_e32 v27, 31, v26
	v_lshlrev_b64 v[26:27], 2, v[26:27]
	v_add_u32_e32 v30, s68, v82
	v_add_co_u32_e32 v26, vcc, s0, v26
	v_ashrrev_i32_e32 v31, 31, v30
	v_addc_co_u32_e32 v27, vcc, v85, v27, vcc
	v_lshlrev_b64 v[30:31], 2, v[30:31]
	v_add_u32_e32 v36, s69, v82
	v_add_co_u32_e32 v30, vcc, s0, v30
	v_ashrrev_i32_e32 v37, 31, v36
	v_addc_co_u32_e32 v31, vcc, v85, v31, vcc
	;; [unrolled: 5-line block ×4, first 2 shown]
	v_lshlrev_b64 v[40:41], 2, v[40:41]
	v_add_co_u32_e32 v42, vcc, s0, v40
	v_add_u32_e32 v40, s72, v82
	v_addc_co_u32_e32 v43, vcc, v85, v41, vcc
	v_ashrrev_i32_e32 v41, 31, v40
	v_lshlrev_b64 v[40:41], 2, v[40:41]
	v_add_co_u32_e32 v48, vcc, s0, v40
	v_add_u32_e32 v40, s73, v82
	v_addc_co_u32_e32 v49, vcc, v85, v41, vcc
	v_ashrrev_i32_e32 v41, 31, v40
	;; [unrolled: 5-line block ×3, first 2 shown]
	v_lshlrev_b64 v[40:41], 2, v[40:41]
	v_add_co_u32_e32 v52, vcc, s0, v40
	v_addc_co_u32_e32 v53, vcc, v85, v41, vcc
	global_load_dword v40, v[26:27], off
	global_load_dword v41, v[30:31], off
	;; [unrolled: 1-line block ×6, first 2 shown]
	s_nop 0
	global_load_dword v38, v[50:51], off
	global_load_dword v39, v[52:53], off
	v_add_u32_e32 v26, s75, v82
	v_ashrrev_i32_e32 v27, 31, v26
	v_lshlrev_b64 v[26:27], 2, v[26:27]
	v_add_u32_e32 v30, s76, v82
	v_add_co_u32_e32 v26, vcc, s0, v26
	v_ashrrev_i32_e32 v31, 31, v30
	v_addc_co_u32_e32 v27, vcc, v85, v27, vcc
	v_lshlrev_b64 v[30:31], 2, v[30:31]
	v_add_u32_e32 v36, s77, v82
	v_add_co_u32_e32 v30, vcc, s0, v30
	v_ashrrev_i32_e32 v37, 31, v36
	v_addc_co_u32_e32 v31, vcc, v85, v31, vcc
	v_lshlrev_b64 v[36:37], 2, v[36:37]
	v_add_u32_e32 v42, s78, v82
	v_add_co_u32_e32 v36, vcc, s0, v36
	v_ashrrev_i32_e32 v43, 31, v42
	v_addc_co_u32_e32 v37, vcc, v85, v37, vcc
	v_lshlrev_b64 v[42:43], 2, v[42:43]
	v_add_u32_e32 v48, s79, v82
	v_add_co_u32_e32 v42, vcc, s0, v42
	v_ashrrev_i32_e32 v49, 31, v48
	v_addc_co_u32_e32 v43, vcc, v85, v43, vcc
	v_lshlrev_b64 v[48:49], 2, v[48:49]
	v_add_u32_e32 v50, s80, v82
	v_add_co_u32_e32 v48, vcc, s0, v48
	v_ashrrev_i32_e32 v51, 31, v50
	v_addc_co_u32_e32 v49, vcc, v85, v49, vcc
	v_lshlrev_b64 v[50:51], 2, v[50:51]
	v_add_u32_e32 v52, s81, v82
	v_add_co_u32_e32 v50, vcc, s0, v50
	v_ashrrev_i32_e32 v53, 31, v52
	v_addc_co_u32_e32 v51, vcc, v85, v51, vcc
	v_lshlrev_b64 v[52:53], 2, v[52:53]
	v_add_u32_e32 v54, s82, v82
	v_add_co_u32_e32 v52, vcc, s0, v52
	v_ashrrev_i32_e32 v55, 31, v54
	v_addc_co_u32_e32 v53, vcc, v85, v53, vcc
	v_lshlrev_b64 v[54:55], 2, v[54:55]
	v_add_co_u32_e32 v54, vcc, s0, v54
	v_addc_co_u32_e32 v55, vcc, v85, v55, vcc
	global_load_dword v56, v[26:27], off
	global_load_dword v57, v[30:31], off
	global_load_dword v58, v[36:37], off
	global_load_dword v59, v[42:43], off
	global_load_dword v60, v[48:49], off
	global_load_dword v61, v[50:51], off
	global_load_dword v62, v[52:53], off
	global_load_dword v63, v[54:55], off
	v_add_u32_e32 v26, s83, v82
	v_ashrrev_i32_e32 v27, 31, v26
	v_lshlrev_b64 v[26:27], 2, v[26:27]
	v_add_u32_e32 v30, s84, v82
	v_add_co_u32_e32 v26, vcc, s0, v26
	v_ashrrev_i32_e32 v31, 31, v30
	v_addc_co_u32_e32 v27, vcc, v85, v27, vcc
	v_lshlrev_b64 v[30:31], 2, v[30:31]
	v_add_u32_e32 v36, s85, v82
	v_add_co_u32_e32 v30, vcc, s0, v30
	v_ashrrev_i32_e32 v37, 31, v36
	v_addc_co_u32_e32 v31, vcc, v85, v31, vcc
	v_lshlrev_b64 v[36:37], 2, v[36:37]
	v_add_u32_e32 v42, s86, v82
	v_add_co_u32_e32 v36, vcc, s0, v36
	v_ashrrev_i32_e32 v43, 31, v42
	v_addc_co_u32_e32 v37, vcc, v85, v37, vcc
	v_lshlrev_b64 v[42:43], 2, v[42:43]
	v_add_u32_e32 v48, s87, v82
	v_add_co_u32_e32 v42, vcc, s0, v42
	v_ashrrev_i32_e32 v49, 31, v48
	v_addc_co_u32_e32 v43, vcc, v85, v43, vcc
	v_lshlrev_b64 v[48:49], 2, v[48:49]
	v_add_u32_e32 v50, s88, v82
	v_add_co_u32_e32 v48, vcc, s0, v48
	v_ashrrev_i32_e32 v51, 31, v50
	v_addc_co_u32_e32 v49, vcc, v85, v49, vcc
	v_lshlrev_b64 v[50:51], 2, v[50:51]
	v_add_u32_e32 v52, s89, v82
	v_add_co_u32_e32 v50, vcc, s0, v50
	v_ashrrev_i32_e32 v53, 31, v52
	v_addc_co_u32_e32 v51, vcc, v85, v51, vcc
	v_lshlrev_b64 v[52:53], 2, v[52:53]
	v_add_u32_e32 v54, s43, v82
	v_add_co_u32_e32 v52, vcc, s0, v52
	v_ashrrev_i32_e32 v55, 31, v54
	v_addc_co_u32_e32 v53, vcc, v85, v53, vcc
	v_lshlrev_b64 v[54:55], 2, v[54:55]
	v_add_co_u32_e32 v54, vcc, s0, v54
	v_addc_co_u32_e32 v55, vcc, v85, v55, vcc
	global_load_dword v64, v[26:27], off
	global_load_dword v65, v[30:31], off
	global_load_dword v66, v[36:37], off
	global_load_dword v67, v[42:43], off
	global_load_dword v68, v[48:49], off
	global_load_dword v69, v[50:51], off
	;; [unrolled: 48-line block ×3, first 2 shown]
	global_load_dword v88, v[52:53], off
	global_load_dword v89, v[54:55], off
	v_add_u32_e32 v26, s22, v82
	v_ashrrev_i32_e32 v27, 31, v26
	v_lshlrev_b64 v[26:27], 2, v[26:27]
	v_add_u32_e32 v30, s23, v82
	v_add_co_u32_e32 v26, vcc, s0, v26
	v_ashrrev_i32_e32 v31, 31, v30
	v_addc_co_u32_e32 v27, vcc, v85, v27, vcc
	v_lshlrev_b64 v[30:31], 2, v[30:31]
	v_add_u32_e32 v36, s28, v82
	v_add_co_u32_e32 v30, vcc, s0, v30
	v_ashrrev_i32_e32 v37, 31, v36
	v_addc_co_u32_e32 v31, vcc, v85, v31, vcc
	;; [unrolled: 5-line block ×5, first 2 shown]
	v_lshlrev_b64 v[50:51], 2, v[50:51]
	v_add_co_u32_e32 v50, vcc, s0, v50
	v_addc_co_u32_e32 v51, vcc, v85, v51, vcc
	global_load_dword v90, v[26:27], off
	global_load_dword v91, v[30:31], off
	;; [unrolled: 1-line block ×6, first 2 shown]
	s_waitcnt vmcnt(55)
	ds_write_b32 v83, v14 offset:2112
	s_waitcnt vmcnt(54)
	ds_write_b32 v83, v15 offset:2376
	s_waitcnt vmcnt(53)
	ds_write_b32 v83, v16 offset:2640
	s_waitcnt vmcnt(52)
	ds_write_b32 v83, v17 offset:2904
	s_waitcnt vmcnt(51)
	ds_write_b32 v83, v18 offset:3168
	s_waitcnt vmcnt(50)
	ds_write_b32 v83, v19 offset:3432
	s_waitcnt vmcnt(49)
	ds_write_b32 v83, v22 offset:3696
	s_waitcnt vmcnt(48)
	ds_write_b32 v83, v23 offset:3960
	ds_read_b64 v[42:43], v84
	ds_read_b64 v[36:37], v84 offset:32
	ds_read_b64 v[30:31], v84 offset:64
	ds_read_b64 v[26:27], v84 offset:96
	ds_read_b64 v[22:23], v84 offset:128
	ds_read_b64 v[18:19], v84 offset:160
	ds_read_b64 v[16:17], v84 offset:192
	ds_read_b64 v[14:15], v84 offset:224
	s_waitcnt vmcnt(47)
	ds_write_b32 v83, v20
	s_waitcnt vmcnt(46)
	ds_write_b32 v83, v21 offset:264
	s_waitcnt vmcnt(45)
	ds_write_b32 v83, v24 offset:528
	s_waitcnt vmcnt(44)
	ds_write_b32 v83, v25 offset:792
	s_waitcnt vmcnt(43)
	ds_write_b32 v83, v28 offset:1056
	s_waitcnt vmcnt(42)
	ds_write_b32 v83, v29 offset:1320
	s_waitcnt vmcnt(41)
	ds_write_b32 v83, v32 offset:1584
	s_waitcnt vmcnt(40)
	ds_write_b32 v83, v33 offset:1848
	s_waitcnt vmcnt(39)
	ds_write_b32 v83, v34 offset:2112
	s_waitcnt vmcnt(38)
	ds_write_b32 v83, v35 offset:2376
	s_waitcnt vmcnt(37)
	ds_write_b32 v83, v40 offset:2640
	s_waitcnt vmcnt(36)
	ds_write_b32 v83, v41 offset:2904
	s_waitcnt vmcnt(35)
	ds_write_b32 v83, v44 offset:3168
	s_waitcnt vmcnt(34)
	ds_write_b32 v83, v45 offset:3432
	s_waitcnt vmcnt(33)
	ds_write_b32 v83, v46 offset:3696
	s_waitcnt vmcnt(32)
	ds_write_b32 v83, v47 offset:3960
	ds_read_b64 v[54:55], v84
	ds_read_b64 v[50:51], v84 offset:32
	ds_read_b64 v[46:47], v84 offset:64
	ds_read_b64 v[40:41], v84 offset:96
	ds_read_b64 v[34:35], v84 offset:128
	ds_read_b64 v[28:29], v84 offset:160
	ds_read_b64 v[24:25], v84 offset:192
	ds_read_b64 v[20:21], v84 offset:224
	s_waitcnt vmcnt(31)
	ds_write_b32 v83, v38
	s_waitcnt vmcnt(30)
	ds_write_b32 v83, v39 offset:264
	s_waitcnt vmcnt(29)
	ds_write_b32 v83, v56 offset:528
	s_waitcnt vmcnt(28)
	ds_write_b32 v83, v57 offset:792
	s_waitcnt vmcnt(27)
	ds_write_b32 v83, v58 offset:1056
	s_waitcnt vmcnt(26)
	ds_write_b32 v83, v59 offset:1320
	s_waitcnt vmcnt(25)
	ds_write_b32 v83, v60 offset:1584
	s_waitcnt vmcnt(24)
	ds_write_b32 v83, v61 offset:1848
	;; [unrolled: 40-line block ×3, first 2 shown]
	s_waitcnt vmcnt(7)
	ds_write_b32 v83, v88 offset:2112
	s_waitcnt vmcnt(6)
	ds_write_b32 v83, v89 offset:2376
	;; [unrolled: 2-line block ×8, first 2 shown]
	ds_read_b64 v[76:77], v84
	ds_read_b64 v[74:75], v84 offset:32
	ds_read_b64 v[72:73], v84 offset:64
	;; [unrolled: 1-line block ×7, first 2 shown]
	v_accvgpr_read_b32 v3, a15
	v_accvgpr_read_b32 v2, a14
	;; [unrolled: 1-line block ×12, first 2 shown]
	s_andn2_b64 vcc, exec, s[4:5]
	v_mov_b32_e32 v88, 0
	s_cbranch_vccnz .LBB81_9
; %bb.7:                                ;   in Loop: Header=BB81_6 Depth=1
	s_load_dword vcc_lo, s[34:35], 0x0
	v_mov_b32_e32 v88, 0
	s_waitcnt lgkmcnt(0)
	s_mul_hi_u32 vcc_hi, vcc_lo, s16
	s_add_i32 vcc_hi, vcc_lo, vcc_hi
	s_lshr_b32 s30, vcc_hi, s17
	s_cmp_ge_i32 s30, s13
	s_cbranch_scc1 .LBB81_9
; %bb.8:                                ;   in Loop: Header=BB81_6 Depth=1
	s_mul_i32 vcc_hi, s30, s18
	s_sub_i32 s31, vcc_lo, vcc_hi
	s_mul_i32 s31, s31, s1
	s_mul_i32 s30, s30, s20
	s_add_i32 s30, s30, s31
	v_add_u32_e32 v88, s30, v82
	v_ashrrev_i32_e32 v89, 31, v88
	v_lshlrev_b64 v[88:89], 2, v[88:89]
	v_mov_b32_e32 v90, s11
	v_add_co_u32_e32 v88, vcc, s10, v88
	v_addc_co_u32_e32 v89, vcc, v90, v89, vcc
	global_load_dword v88, v[88:89], off
.LBB81_9:                               ;   in Loop: Header=BB81_6 Depth=1
	s_andn2_b64 vcc, exec, s[36:37]
	v_mov_b32_e32 v89, 0
	v_mov_b32_e32 v90, 0
	s_cbranch_vccnz .LBB81_12
; %bb.10:                               ;   in Loop: Header=BB81_6 Depth=1
	s_load_dword vcc_lo, s[34:35], 0x4
	v_mov_b32_e32 v90, 0
	s_waitcnt lgkmcnt(0)
	s_mul_hi_u32 s30, vcc_lo, s16
	s_add_i32 s30, vcc_lo, s30
	s_lshr_b32 vcc_hi, s30, s17
	s_cmp_ge_i32 vcc_hi, s13
	s_cbranch_scc1 .LBB81_12
; %bb.11:                               ;   in Loop: Header=BB81_6 Depth=1
	s_mul_i32 s30, vcc_hi, s18
	s_sub_i32 s30, vcc_lo, s30
	s_mul_i32 s30, s30, s1
	s_mul_i32 s31, vcc_hi, s20
	s_add_i32 s31, s31, s30
	v_add_u32_e32 v90, s31, v82
	v_ashrrev_i32_e32 v91, 31, v90
	v_lshlrev_b64 v[90:91], 2, v[90:91]
	v_mov_b32_e32 v92, s11
	v_add_co_u32_e32 v90, vcc, s10, v90
	v_addc_co_u32_e32 v91, vcc, v92, v91, vcc
	global_load_dword v90, v[90:91], off
.LBB81_12:                              ;   in Loop: Header=BB81_6 Depth=1
	s_andn2_b64 vcc, exec, s[38:39]
	s_cbranch_vccnz .LBB81_15
; %bb.13:                               ;   in Loop: Header=BB81_6 Depth=1
	s_load_dword vcc_lo, s[34:35], 0x8
	v_mov_b32_e32 v89, 0
	s_waitcnt lgkmcnt(0)
	s_mul_hi_u32 s30, vcc_lo, s16
	s_add_i32 s30, vcc_lo, s30
	s_lshr_b32 vcc_hi, s30, s17
	s_cmp_ge_i32 vcc_hi, s13
	s_cbranch_scc1 .LBB81_15
; %bb.14:                               ;   in Loop: Header=BB81_6 Depth=1
	s_mul_i32 s30, vcc_hi, s18
	s_sub_i32 s30, vcc_lo, s30
	s_mul_i32 s30, s30, s1
	s_mul_i32 s31, vcc_hi, s20
	s_add_i32 s31, s31, s30
	v_add_u32_e32 v92, s31, v82
	v_ashrrev_i32_e32 v93, 31, v92
	v_lshlrev_b64 v[92:93], 2, v[92:93]
	v_mov_b32_e32 v89, s11
	v_add_co_u32_e32 v92, vcc, s10, v92
	v_addc_co_u32_e32 v93, vcc, v89, v93, vcc
	global_load_dword v89, v[92:93], off
.LBB81_15:                              ;   in Loop: Header=BB81_6 Depth=1
	s_andn2_b64 vcc, exec, s[40:41]
	v_mov_b32_e32 v91, 0
	s_cbranch_vccnz .LBB81_5
; %bb.16:                               ;   in Loop: Header=BB81_6 Depth=1
	s_load_dword vcc_lo, s[34:35], 0xc
	v_mov_b32_e32 v91, 0
	s_waitcnt lgkmcnt(0)
	s_mul_hi_u32 s30, vcc_lo, s16
	s_add_i32 s30, vcc_lo, s30
	s_lshr_b32 vcc_hi, s30, s17
	s_cmp_ge_i32 vcc_hi, s13
	s_cbranch_scc1 .LBB81_5
; %bb.17:                               ;   in Loop: Header=BB81_6 Depth=1
	s_mul_i32 s30, vcc_hi, s18
	s_sub_i32 s30, vcc_lo, s30
	s_mul_i32 s30, s30, s1
	s_mul_i32 s31, vcc_hi, s20
	s_add_i32 s31, s31, s30
	v_add_u32_e32 v92, s31, v82
	v_ashrrev_i32_e32 v93, 31, v92
	v_lshlrev_b64 v[92:93], 2, v[92:93]
	v_mov_b32_e32 v91, s11
	v_add_co_u32_e32 v92, vcc, s10, v92
	v_addc_co_u32_e32 v93, vcc, v91, v93, vcc
	global_load_dword v91, v[92:93], off
	s_branch .LBB81_5
.LBB81_18:
	s_or_b64 exec, exec, s[8:9]
	v_readlane_b32 s24, v96, 6
	v_readlane_b32 s25, v96, 7
	;; [unrolled: 1-line block ×3, first 2 shown]
.LBB81_19:
	v_readlane_b32 s0, v96, 4
	v_readlane_b32 s1, v96, 5
	s_or_b64 exec, exec, s[0:1]
	s_lshl_b64 s[0:1], s[26:27], 2
	v_readlane_b32 s4, v96, 0
	v_mul_u32_u24_e32 v0, 0x308, v81
	v_lshlrev_b32_e32 v1, 2, v80
	v_or_b32_e32 v2, 12, v79
	v_readlane_b32 s5, v96, 1
	s_add_u32 s3, s4, s0
	v_add3_u32 v0, 0, v0, v1
	v_and_b32_e32 v1, 0x3f0, v79
	v_and_b32_e32 v2, 0x3fc, v2
	s_addc_u32 s8, s5, s1
	v_add_u32_e32 v1, v0, v1
	v_add_u32_e32 v0, v0, v2
	s_barrier
	ds_write2_b32 v1, a0, a1 offset1:1
	ds_write_b32 v1, a2 offset:8
	ds_write_b32 v0, a3
	ds_write2_b32 v1, a4, a5 offset0:16 offset1:17
	ds_write_b32 v1, a6 offset:72
	ds_write_b32 v0, a7 offset:64
	ds_write2_b32 v1, a8, a9 offset0:32 offset1:33
	ds_write_b32 v1, a10 offset:136
	ds_write_b32 v0, a11 offset:128
	;; [unrolled: 3-line block ×3, first 2 shown]
	s_cmp_gt_i32 s14, 0
	v_add_u32_e32 v0, s6, v78
	s_cselect_b64 s[4:5], -1, 0
	v_cmp_gt_i32_e64 s[0:1], s33, v0
	v_cmp_gt_u32_e32 vcc, 4, v78
	s_and_b64 s[0:1], s[4:5], s[0:1]
	v_lshl_add_u32 v3, v79, 2, 0
	v_add_u32_e32 v2, s7, v79
	s_and_b64 s[10:11], vcc, s[0:1]
	s_waitcnt lgkmcnt(0)
	s_barrier
	s_and_saveexec_b64 s[0:1], s[10:11]
	s_cbranch_execz .LBB81_22
; %bb.20:
	v_ashrrev_i32_e32 v1, 31, v0
	v_lshlrev_b64 v[0:1], 2, v[0:1]
	v_mov_b32_e32 v4, s8
	v_add_co_u32_e32 v0, vcc, s3, v0
	v_addc_co_u32_e32 v1, vcc, v4, v1, vcc
	global_load_dword v1, v[0:1], off
	s_waitcnt vmcnt(0)
	v_mul_hi_u32 v0, v1, s19
	v_add_u32_e32 v0, v1, v0
	v_lshrrev_b32_e32 v0, s24, v0
	v_cmp_gt_i32_e32 vcc, s13, v0
	s_and_b64 exec, exec, vcc
	s_cbranch_execz .LBB81_22
; %bb.21:
	s_movk_i32 s7, 0x308
	v_mad_u32_u24 v6, v78, s7, v3
	ds_read2st64_b32 v[4:5], v6 offset1:1
	v_mul_lo_u32 v7, v0, s25
	ds_read_b32 v6, v6 offset:512
	v_sub_u32_e32 v1, v1, v7
	v_mul_lo_u32 v1, v1, s2
	v_mul_lo_u32 v0, v0, s21
	v_add3_u32 v0, v2, v0, v1
	v_mov_b32_e32 v1, 0
	v_readlane_b32 s10, v96, 2
	s_waitcnt lgkmcnt(1)
	v_add_f32_e32 v4, 0, v4
	v_lshlrev_b64 v[0:1], 2, v[0:1]
	v_readlane_b32 s11, v96, 3
	v_add_f32_e32 v4, v4, v5
	v_mov_b32_e32 v5, s11
	v_add_co_u32_e32 v0, vcc, s10, v0
	s_waitcnt lgkmcnt(0)
	v_add_f32_e32 v4, v4, v6
	v_addc_co_u32_e32 v1, vcc, v5, v1, vcc
	global_store_dword v[0:1], v4, off
.LBB81_22:
	s_or_b64 exec, exec, s[0:1]
	v_cmp_eq_u32_e32 vcc, 0, v78
	s_and_saveexec_b64 s[0:1], vcc
	s_cbranch_execz .LBB81_26
; %bb.23:
	s_or_b32 s0, s6, 3
	s_cmp_ge_i32 s0, s33
	s_cselect_b64 s[0:1], -1, 0
	s_xor_b64 s[4:5], s[4:5], -1
	s_or_b64 s[0:1], s[4:5], s[0:1]
	s_and_b64 vcc, exec, s[0:1]
	s_cbranch_vccnz .LBB81_26
; %bb.24:
	s_ashr_i32 s7, s6, 31
	s_lshl_b64 s[0:1], s[6:7], 2
	s_add_u32 s0, s3, s0
	s_addc_u32 s1, s8, s1
	s_load_dword s1, s[0:1], 0xc
	s_waitcnt lgkmcnt(0)
	s_mul_hi_u32 s0, s1, s19
	s_add_i32 s0, s1, s0
	s_lshr_b32 s0, s0, s24
	s_cmp_ge_i32 s0, s13
	s_cbranch_scc1 .LBB81_26
; %bb.25:
	v_add_u32_e32 v0, 24, v3
	ds_read2st64_b32 v[0:1], v0 offset0:9 offset1:10
	ds_read_b32 v3, v3 offset:2840
	s_mul_i32 s3, s0, s25
	s_sub_i32 s1, s1, s3
	s_mul_i32 s1, s1, s2
	s_waitcnt lgkmcnt(1)
	v_add_f32_e32 v0, 0, v0
	s_mul_i32 s0, s0, s21
	v_add_f32_e32 v0, v0, v1
	s_add_i32 s1, s1, s0
	s_waitcnt lgkmcnt(0)
	v_add_f32_e32 v3, v0, v3
	v_add_u32_e32 v0, s1, v2
	v_mov_b32_e32 v1, 0
	v_readlane_b32 s0, v96, 2
	v_lshlrev_b64 v[0:1], 2, v[0:1]
	v_readlane_b32 s1, v96, 3
	v_mov_b32_e32 v2, s1
	v_add_co_u32_e32 v0, vcc, s0, v0
	v_addc_co_u32_e32 v1, vcc, v2, v1, vcc
	global_store_dword v[0:1], v3, off
.LBB81_26:
	s_endpgm
	.section	.rodata,"a",@progbits
	.p2align	6, 0x0
	.amdhsa_kernel _ZL13mul_mat_f_idsIfLi64ELi4ELi3EEvPKT_PKfPKiS6_S6_Pfiiiiiiiiiiiiii15HIP_vector_typeIjLj3EES9_
		.amdhsa_group_segment_fixed_size 0
		.amdhsa_private_segment_fixed_size 0
		.amdhsa_kernarg_size 128
		.amdhsa_user_sgpr_count 6
		.amdhsa_user_sgpr_private_segment_buffer 1
		.amdhsa_user_sgpr_dispatch_ptr 0
		.amdhsa_user_sgpr_queue_ptr 0
		.amdhsa_user_sgpr_kernarg_segment_ptr 1
		.amdhsa_user_sgpr_dispatch_id 0
		.amdhsa_user_sgpr_flat_scratch_init 0
		.amdhsa_user_sgpr_kernarg_preload_length 0
		.amdhsa_user_sgpr_kernarg_preload_offset 0
		.amdhsa_user_sgpr_private_segment_size 0
		.amdhsa_uses_dynamic_stack 0
		.amdhsa_system_sgpr_private_segment_wavefront_offset 0
		.amdhsa_system_sgpr_workgroup_id_x 1
		.amdhsa_system_sgpr_workgroup_id_y 1
		.amdhsa_system_sgpr_workgroup_id_z 1
		.amdhsa_system_sgpr_workgroup_info 0
		.amdhsa_system_vgpr_workitem_id 1
		.amdhsa_next_free_vgpr 116
		.amdhsa_next_free_sgpr 96
		.amdhsa_accum_offset 100
		.amdhsa_reserve_vcc 1
		.amdhsa_reserve_flat_scratch 0
		.amdhsa_float_round_mode_32 0
		.amdhsa_float_round_mode_16_64 0
		.amdhsa_float_denorm_mode_32 3
		.amdhsa_float_denorm_mode_16_64 3
		.amdhsa_dx10_clamp 1
		.amdhsa_ieee_mode 1
		.amdhsa_fp16_overflow 0
		.amdhsa_tg_split 0
		.amdhsa_exception_fp_ieee_invalid_op 0
		.amdhsa_exception_fp_denorm_src 0
		.amdhsa_exception_fp_ieee_div_zero 0
		.amdhsa_exception_fp_ieee_overflow 0
		.amdhsa_exception_fp_ieee_underflow 0
		.amdhsa_exception_fp_ieee_inexact 0
		.amdhsa_exception_int_div_zero 0
	.end_amdhsa_kernel
	.section	.text._ZL13mul_mat_f_idsIfLi64ELi4ELi3EEvPKT_PKfPKiS6_S6_Pfiiiiiiiiiiiiii15HIP_vector_typeIjLj3EES9_,"axG",@progbits,_ZL13mul_mat_f_idsIfLi64ELi4ELi3EEvPKT_PKfPKiS6_S6_Pfiiiiiiiiiiiiii15HIP_vector_typeIjLj3EES9_,comdat
.Lfunc_end81:
	.size	_ZL13mul_mat_f_idsIfLi64ELi4ELi3EEvPKT_PKfPKiS6_S6_Pfiiiiiiiiiiiiii15HIP_vector_typeIjLj3EES9_, .Lfunc_end81-_ZL13mul_mat_f_idsIfLi64ELi4ELi3EEvPKT_PKfPKiS6_S6_Pfiiiiiiiiiiiiii15HIP_vector_typeIjLj3EES9_
                                        ; -- End function
	.section	.AMDGPU.csdata,"",@progbits
; Kernel info:
; codeLenInByte = 6104
; NumSgprs: 100
; NumVgprs: 97
; NumAgprs: 16
; TotalNumVgprs: 116
; ScratchSize: 0
; MemoryBound: 0
; FloatMode: 240
; IeeeMode: 1
; LDSByteSize: 0 bytes/workgroup (compile time only)
; SGPRBlocks: 12
; VGPRBlocks: 14
; NumSGPRsForWavesPerEU: 100
; NumVGPRsForWavesPerEU: 116
; AccumOffset: 100
; Occupancy: 4
; WaveLimiterHint : 1
; COMPUTE_PGM_RSRC2:SCRATCH_EN: 0
; COMPUTE_PGM_RSRC2:USER_SGPR: 6
; COMPUTE_PGM_RSRC2:TRAP_HANDLER: 0
; COMPUTE_PGM_RSRC2:TGID_X_EN: 1
; COMPUTE_PGM_RSRC2:TGID_Y_EN: 1
; COMPUTE_PGM_RSRC2:TGID_Z_EN: 1
; COMPUTE_PGM_RSRC2:TIDIG_COMP_CNT: 1
; COMPUTE_PGM_RSRC3_GFX90A:ACCUM_OFFSET: 24
; COMPUTE_PGM_RSRC3_GFX90A:TG_SPLIT: 0
	.section	.text._ZL9mul_mat_fIfLi64ELi4ELi3ELb1EEvPKT_PKfPKiPfiiiiiiiiiiiiiiii,"axG",@progbits,_ZL9mul_mat_fIfLi64ELi4ELi3ELb1EEvPKT_PKfPKiPfiiiiiiiiiiiiiiii,comdat
	.globl	_ZL9mul_mat_fIfLi64ELi4ELi3ELb1EEvPKT_PKfPKiPfiiiiiiiiiiiiiiii ; -- Begin function _ZL9mul_mat_fIfLi64ELi4ELi3ELb1EEvPKT_PKfPKiPfiiiiiiiiiiiiiiii
	.p2align	8
	.type	_ZL9mul_mat_fIfLi64ELi4ELi3ELb1EEvPKT_PKfPKiPfiiiiiiiiiiiiiiii,@function
_ZL9mul_mat_fIfLi64ELi4ELi3ELb1EEvPKT_PKfPKiPfiiiiiiiiiiiiiiii: ; @_ZL9mul_mat_fIfLi64ELi4ELi3ELb1EEvPKT_PKfPKiPfiiiiiiiiiiiiiiii
; %bb.0:
	s_load_dwordx8 s[16:23], s[4:5], 0x20
	v_and_b32_e32 v12, 0x3ff, v0
	v_bfe_u32 v13, v0, 10, 10
	v_cmp_eq_u32_e32 vcc, 0, v12
	s_waitcnt lgkmcnt(0)
	s_add_i32 s0, s17, 3
	s_ashr_i32 s1, s0, 31
	s_lshr_b32 s1, s1, 30
	s_add_i32 s0, s0, s1
	s_ashr_i32 s0, s0, 2
	v_cvt_f32_u32_e32 v1, s0
	s_load_dwordx4 s[24:27], s[4:5], 0x44
	s_load_dword s1, s[4:5], 0x64
	s_sub_i32 s2, 0, s0
	s_add_u32 s34, s4, 0x60
	v_rcp_iflag_f32_e32 v1, v1
	s_addc_u32 s35, s5, 0
	v_mul_f32_e32 v1, 0x4f7ffffe, v1
	v_cvt_u32_f32_e32 v1, v1
	v_readfirstlane_b32 s3, v1
	s_mul_i32 s2, s2, s3
	s_mul_hi_u32 s2, s3, s2
	s_add_i32 s3, s3, s2
	s_waitcnt lgkmcnt(0)
	s_mul_hi_u32 s2, s1, s3
	s_mul_i32 s3, s2, s0
	s_sub_i32 s1, s1, s3
	s_add_i32 s9, s2, 1
	s_sub_i32 s3, s1, s0
	s_cmp_ge_u32 s1, s0
	s_cselect_b32 s2, s9, s2
	s_cselect_b32 s1, s3, s1
	s_add_i32 s3, s2, 1
	s_cmp_ge_u32 s1, s0
	s_cselect_b32 s9, s3, s2
	v_cvt_f32_u32_e32 v1, s9
	s_abs_i32 s33, s27
	v_cvt_f32_u32_e32 v2, s33
	s_load_dwordx2 s[0:1], s[4:5], 0x10
	v_rcp_iflag_f32_e32 v1, v1
	s_sub_i32 s2, 0, s9
	v_rcp_iflag_f32_e32 v2, v2
	s_sub_i32 s38, 0, s33
	v_mul_f32_e32 v1, 0x4f7ffffe, v1
	v_cvt_u32_f32_e32 v1, v1
	v_mul_f32_e32 v2, 0x4f7ffffe, v2
	v_cvt_u32_f32_e32 v2, v2
	v_readfirstlane_b32 s3, v1
	s_mul_i32 s2, s2, s3
	s_mul_hi_u32 s2, s3, s2
	s_add_i32 s3, s3, s2
	v_readfirstlane_b32 s39, v2
	s_mul_hi_u32 s10, s7, s3
	s_and_saveexec_b64 s[2:3], vcc
	s_cbranch_execz .LBB82_2
; %bb.1:
	v_mov_b32_e32 v1, 0x100
	v_lshl_add_u32 v1, v13, 2, v1
	v_mov_b32_e32 v2, -1
	ds_write_b32 v1, v2
.LBB82_2:
	s_or_b64 exec, exec, s[2:3]
	s_mul_i32 s2, s10, s9
	s_sub_i32 s2, s7, s2
	s_add_i32 s3, s10, 1
	s_sub_i32 s11, s2, s9
	s_cmp_ge_u32 s2, s9
	s_cselect_b32 s3, s3, s10
	s_cselect_b32 s2, s11, s2
	s_add_i32 s10, s3, 1
	s_cmp_ge_u32 s2, s9
	s_cselect_b32 s2, s10, s3
	s_mul_i32 s3, s2, s9
	s_lshl_b32 s9, s2, 2
	s_sub_i32 s7, s7, s3
	s_mul_hi_i32 s3, s9, s23
	s_mul_i32 s2, s9, s23
	s_lshl_b64 s[2:3], s[2:3], 2
	s_waitcnt lgkmcnt(0)
	s_add_u32 s40, s0, s2
	v_add_u32_e32 v1, s9, v13
	s_mul_i32 s38, s38, s39
	s_addc_u32 s41, s1, s3
	v_cmp_gt_i32_e64 s[10:11], s18, v12
	v_cmp_gt_i32_e64 s[0:1], s17, v1
	v_mov_b32_e32 v1, 0
	s_and_saveexec_b64 s[14:15], s[0:1]
	s_cbranch_execz .LBB82_10
; %bb.3:
	v_mov_b32_e32 v1, 0
	s_and_saveexec_b64 s[28:29], s[10:11]
	s_cbranch_execz .LBB82_9
; %bb.4:
	v_mul_lo_u32 v2, v13, s23
	v_ashrrev_i32_e32 v3, 31, v2
	v_lshlrev_b64 v[2:3], 2, v[2:3]
	v_mov_b32_e32 v1, s41
	v_add_co_u32_e64 v4, s[2:3], s40, v2
	v_addc_co_u32_e64 v5, s[2:3], v1, v3, s[2:3]
	v_mov_b32_e32 v1, 0x100
	v_lshl_add_u32 v6, v13, 2, v1
	v_mul_lo_u32 v2, v12, s22
	s_lshl_b32 s42, s22, 6
	s_mov_b64 s[30:31], 0
	v_mov_b32_e32 v1, 0
	v_mov_b32_e32 v7, v12
	s_branch .LBB82_6
.LBB82_5:                               ;   in Loop: Header=BB82_6 Depth=1
	s_or_b64 exec, exec, s[36:37]
	v_add_u32_e32 v7, 64, v7
	v_cmp_le_i32_e64 s[12:13], s18, v7
	s_xor_b64 s[2:3], s[2:3], -1
	s_or_b64 s[2:3], s[2:3], s[12:13]
	s_and_b64 s[2:3], exec, s[2:3]
	s_or_b64 s[30:31], s[2:3], s[30:31]
	v_add_u32_e32 v2, s42, v2
	s_andn2_b64 exec, exec, s[30:31]
	s_cbranch_execz .LBB82_8
.LBB82_6:                               ; =>This Inner Loop Header: Depth=1
	v_ashrrev_i32_e32 v3, 31, v2
	v_lshlrev_b64 v[8:9], 2, v[2:3]
	v_add_co_u32_e64 v8, s[2:3], v4, v8
	v_addc_co_u32_e64 v9, s[2:3], v5, v9, s[2:3]
	global_load_dword v3, v[8:9], off
	s_waitcnt vmcnt(0)
	v_cmp_ne_u32_e64 s[2:3], s7, v3
	v_cmp_eq_u32_e64 s[12:13], s7, v3
	s_and_saveexec_b64 s[36:37], s[12:13]
	s_cbranch_execz .LBB82_5
; %bb.7:                                ;   in Loop: Header=BB82_6 Depth=1
	v_mov_b32_e32 v1, 1
	ds_write_b32 v6, v7
	s_branch .LBB82_5
.LBB82_8:
	s_or_b64 exec, exec, s[30:31]
.LBB82_9:
	s_or_b64 exec, exec, s[28:29]
.LBB82_10:
	s_or_b64 exec, exec, s[14:15]
	s_mul_hi_u32 s28, s39, s38
	s_and_saveexec_b64 s[2:3], vcc
	s_cbranch_execz .LBB82_12
; %bb.11:
	v_mov_b32_e32 v2, 0x100
	v_lshl_add_u32 v2, v13, 2, v2
	v_mov_b32_e32 v3, -1
	ds_write_b32 v2, v3 offset:12
.LBB82_12:
	s_or_b64 exec, exec, s[2:3]
	s_load_dwordx4 s[12:15], s[4:5], 0x54
	v_add_u32_e32 v80, 3, v13
	v_add_u32_e32 v2, s9, v80
	s_abs_i32 s38, s8
	s_add_i32 s39, s39, s28
	v_cmp_gt_i32_e64 s[2:3], s17, v2
	s_and_saveexec_b64 s[28:29], s[2:3]
	s_cbranch_execz .LBB82_20
; %bb.13:
	s_and_saveexec_b64 s[30:31], s[10:11]
	s_cbranch_execz .LBB82_19
; %bb.14:
	v_mul_lo_u32 v2, v80, s23
	v_ashrrev_i32_e32 v3, 31, v2
	v_lshlrev_b64 v[2:3], 2, v[2:3]
	v_mov_b32_e32 v5, s41
	v_add_co_u32_e32 v4, vcc, s40, v2
	v_mov_b32_e32 v2, 0x100
	v_addc_co_u32_e32 v5, vcc, v5, v3, vcc
	v_lshl_add_u32 v6, v13, 2, v2
	v_mul_lo_u32 v2, v12, s22
	s_waitcnt lgkmcnt(0)
	s_lshl_b32 s15, s22, 6
	s_mov_b64 s[22:23], 0
	v_mov_b32_e32 v7, v12
	s_branch .LBB82_16
.LBB82_15:                              ;   in Loop: Header=BB82_16 Depth=1
	s_or_b64 exec, exec, s[36:37]
	v_add_u32_e32 v7, 64, v7
	v_cmp_le_i32_e64 s[10:11], s18, v7
	s_xor_b64 s[36:37], vcc, -1
	s_or_b64 s[10:11], s[36:37], s[10:11]
	s_and_b64 s[10:11], exec, s[10:11]
	s_or_b64 s[22:23], s[10:11], s[22:23]
	v_add_u32_e32 v2, s15, v2
	s_andn2_b64 exec, exec, s[22:23]
	s_cbranch_execz .LBB82_18
.LBB82_16:                              ; =>This Inner Loop Header: Depth=1
	v_ashrrev_i32_e32 v3, 31, v2
	v_lshlrev_b64 v[8:9], 2, v[2:3]
	v_add_co_u32_e32 v8, vcc, v4, v8
	v_addc_co_u32_e32 v9, vcc, v5, v9, vcc
	global_load_dword v3, v[8:9], off
	s_waitcnt vmcnt(0)
	v_cmp_ne_u32_e32 vcc, s7, v3
	v_cmp_eq_u32_e64 s[10:11], s7, v3
	s_and_saveexec_b64 s[36:37], s[10:11]
	s_cbranch_execz .LBB82_15
; %bb.17:                               ;   in Loop: Header=BB82_16 Depth=1
	v_mov_b32_e32 v1, 1
	ds_write_b32 v6, v7 offset:12
	s_branch .LBB82_15
.LBB82_18:
	s_or_b64 exec, exec, s[22:23]
.LBB82_19:
	s_or_b64 exec, exec, s[30:31]
.LBB82_20:
	s_or_b64 exec, exec, s[28:29]
	s_load_dwordx2 s[22:23], s[34:35], 0xc
	s_load_dwordx4 s[28:31], s[4:5], 0x0
	s_load_dwordx2 s[10:11], s[4:5], 0x18
	v_cmp_ne_u32_e32 vcc, 0, v1
	v_cndmask_b32_e64 v1, 0, 1, vcc
	s_waitcnt lgkmcnt(0)
	s_lshr_b32 s5, s22, 16
	s_and_b32 s4, s22, 0xffff
	v_or_b32_dpp v1, v1, v1 row_shl:1 row_mask:0xf bank_mask:0xf bound_ctrl:1
	s_mul_i32 s22, s5, s4
	s_and_b32 s15, s23, 0xffff
	v_or_b32_dpp v1, v1, v1 row_shl:2 row_mask:0xf bank_mask:0xf bound_ctrl:1
	s_bfe_i32 s22, s22, 0x180000
	s_mul_i32 s15, s22, s15
	v_or_b32_dpp v1, v1, v1 row_shl:4 row_mask:0xf bank_mask:0xf bound_ctrl:1
	s_add_i32 s22, s15, 63
	s_bitcmp1_b32 exec_hi, 0
	v_or_b32_dpp v1, v1, v1 row_shl:8 row_mask:0xf bank_mask:0xf bound_ctrl:1
	s_mul_hi_u32 s18, s38, s39
	s_nop 0
	v_mov_b32_dpp v2, v1 wave_shl:1 row_mask:0xf bank_mask:0xf bound_ctrl:1
	s_nop 1
	v_or_b32_dpp v1, v2, v1 row_mirror row_mask:0xf bank_mask:0xf bound_ctrl:1
	v_readlane_b32 s15, v1, 32
	s_cselect_b32 s15, s15, 0
	v_readlane_b32 s23, v1, 0
	s_or_b32 s15, s15, s23
	s_andn2_b32 s22, s22, 63
	s_cmp_lg_u32 s22, 64
	v_mov_b32_e32 v1, s15
	s_cbranch_scc0 .LBB82_27
; %bb.21:
	v_bfe_u32 v0, v0, 20, 10
	v_mbcnt_lo_u32_b32 v1, -1, 0
	v_mad_u32_u24 v0, v0, s5, v13
	v_mbcnt_hi_u32_b32 v2, -1, v1
	v_mad_u64_u32 v[0:1], s[4:5], v0, s4, v[12:13]
	v_lshrrev_b32_e32 v1, 6, v0
	v_or_b32_e32 v1, v2, v1
	v_cmp_eq_u32_e32 vcc, 0, v1
	s_and_saveexec_b64 s[4:5], vcc
	s_cbranch_execz .LBB82_23
; %bb.22:
	v_mov_b32_e32 v1, 0
	v_mov_b32_e32 v3, s15
	ds_write_b32 v1, v3
.LBB82_23:
	s_or_b64 exec, exec, s[4:5]
	v_cmp_eq_u32_e32 vcc, 0, v2
	v_cmp_lt_u32_e64 s[4:5], 63, v0
	s_and_b64 s[22:23], s[4:5], vcc
	s_waitcnt lgkmcnt(0)
	s_barrier
	s_and_saveexec_b64 s[4:5], s[22:23]
	s_cbranch_execz .LBB82_26
; %bb.24:
	v_mbcnt_lo_u32_b32 v0, exec_lo, 0
	v_mbcnt_hi_u32_b32 v0, exec_hi, v0
	v_cmp_eq_u32_e32 vcc, 0, v0
	s_and_b64 exec, exec, vcc
	s_cbranch_execz .LBB82_26
; %bb.25:
	v_mov_b32_e32 v0, 0
	v_mov_b32_e32 v1, s15
	ds_or_b32 v0, v1
.LBB82_26:
	s_or_b64 exec, exec, s[4:5]
	v_mov_b32_e32 v0, 0
	s_waitcnt lgkmcnt(0)
	s_barrier
	ds_read_b32 v1, v0
	s_waitcnt lgkmcnt(0)
	s_barrier
.LBB82_27:
	v_cmp_ne_u32_e32 vcc, 0, v1
	s_ashr_i32 s22, s8, 31
	s_ashr_i32 s23, s27, 31
	s_cbranch_vccz .LBB82_57
; %bb.28:
	v_lshlrev_b32_e32 v81, 6, v13
	v_add_u32_e32 v83, v81, v12
	v_cmp_le_i32_e32 vcc, s16, v83
	v_and_b32_e32 v82, 15, v12
                                        ; implicit-def: $sgpr27
	s_and_saveexec_b64 s[4:5], vcc
	s_xor_b64 s[4:5], exec, s[4:5]
; %bb.29:
	v_and_b32_e32 v82, 15, v12
	s_mov_b32 s27, 0
                                        ; implicit-def: $vgpr83
; %bb.30:
	s_or_saveexec_b64 s[4:5], s[4:5]
	s_lshl_b32 s15, s6, 6
	v_accvgpr_write_b32 a0, s27
	v_accvgpr_write_b32 a1, s27
	;; [unrolled: 1-line block ×16, first 2 shown]
	s_xor_b64 exec, exec, s[4:5]
	s_cbranch_execz .LBB82_50
; %bb.31:
	s_xor_b32 s6, s22, s23
	s_mul_i32 s22, s18, s33
	s_sub_i32 s22, s38, s22
	s_add_i32 s23, s18, 1
	s_sub_i32 s27, s22, s33
	s_cmp_ge_u32 s22, s33
	s_cselect_b32 s18, s23, s18
	s_cselect_b32 s22, s27, s22
	s_add_i32 s23, s18, 1
	s_cmp_ge_u32 s22, s33
	s_cselect_b32 s18, s23, s18
	s_xor_b32 s18, s18, s6
	s_sub_i32 s6, s18, s6
	s_mul_hi_i32 s23, s6, s12
	s_mul_i32 s22, s6, s12
	s_mul_i32 s6, s7, s24
	s_ashr_i32 s7, s6, 31
	s_lshl_b64 s[38:39], s[22:23], 2
	s_add_u32 s12, s28, s38
	s_addc_u32 s18, s29, s39
	s_lshl_b64 s[40:41], s[6:7], 2
	s_mul_i32 s34, s15, s19
	s_add_u32 s6, s12, s40
	s_addc_u32 s7, s18, s41
	s_ashr_i32 s35, s34, 31
	s_lshl_b64 s[42:43], s[34:35], 2
	s_add_u32 s24, s6, s42
	s_movk_i32 s6, 0x1080
	v_mov_b32_e32 v84, 0x100
	s_addc_u32 s18, s7, s43
	v_mad_u32_u24 v0, v13, s6, v84
	s_mul_hi_i32 s7, s13, s8
	s_mul_i32 s6, s13, s8
	s_lshl_b64 s[6:7], s[6:7], 2
	s_mul_hi_i32 s13, s9, s20
	s_mul_i32 s12, s9, s20
	s_add_u32 s22, s30, s6
	s_addc_u32 s23, s31, s7
	s_lshl_b64 s[6:7], s[12:13], 2
	s_add_u32 s27, s22, s6
	s_addc_u32 s33, s23, s7
	s_cmp_lt_i32 s9, s17
	s_cselect_b64 s[6:7], -1, 0
	s_or_b32 s12, s9, 1
	s_cmp_lt_i32 s12, s17
	s_cselect_b64 s[12:13], -1, 0
	s_or_b32 s22, s9, 2
	s_cmp_lt_i32 s22, s17
	s_cselect_b64 s[22:23], -1, 0
	s_lshl_b32 s36, s20, 1
	s_or_b32 s30, s9, 3
	s_cmp_lt_i32 s30, s17
	s_cselect_b64 s[30:31], -1, 0
	s_ashr_i32 s35, s19, 31
	s_mov_b32 s34, s19
	s_lshl_b64 s[34:35], s[34:35], 2
	s_add_u32 s37, s38, s42
	s_addc_u32 s38, s39, s43
	s_add_u32 s37, s37, s40
	v_lshrrev_b32_e32 v2, 1, v12
	s_addc_u32 s38, s38, s41
	v_mul_u32_u24_e32 v1, 0x108, v82
	v_and_b32_e32 v2, 0x1f8, v2
	s_add_u32 s28, s28, s37
	v_lshl_add_u32 v85, v12, 2, v0
	v_add3_u32 v86, v0, v1, v2
	v_lshlrev_b32_e32 v0, 2, v83
	s_addc_u32 s29, s29, s38
	v_mov_b32_e32 v1, s29
	v_add_co_u32_e32 v14, vcc, s28, v0
	s_mul_i32 s17, s20, 3
	v_mov_b32_e32 v87, 0
	v_addc_co_u32_e32 v15, vcc, 0, v1, vcc
	s_lshl_b32 s28, s19, 1
	s_mul_i32 s29, s19, 3
	s_lshl_b32 s37, s19, 2
	s_mul_i32 s38, s19, 5
	s_mul_i32 s39, s19, 6
	;; [unrolled: 1-line block ×3, first 2 shown]
	s_lshl_b32 s41, s19, 3
	s_mul_i32 s42, s19, 9
	s_mul_i32 s43, s19, 10
	;; [unrolled: 1-line block ×7, first 2 shown]
	s_lshl_b32 s49, s19, 4
	s_mul_i32 s50, s19, 17
	s_mul_i32 s51, s19, 18
	;; [unrolled: 1-line block ×15, first 2 shown]
	s_lshl_b32 s65, s19, 5
	s_mul_i32 s66, s19, 33
	s_mul_i32 s67, s19, 34
	;; [unrolled: 1-line block ×12, first 2 shown]
	v_mov_b32_e32 v88, s18
	s_mul_i32 s78, s19, 45
	v_accvgpr_write_b32 a15, 0
	v_accvgpr_write_b32 a14, 0
	;; [unrolled: 1-line block ×16, first 2 shown]
	v_mov_b32_e32 v89, s35
	s_mul_i32 s35, s19, 46
	s_mul_i32 s79, s19, 47
	;; [unrolled: 1-line block ×18, first 2 shown]
	s_mov_b64 s[18:19], 0
	s_branch .LBB82_34
.LBB82_32:                              ;   in Loop: Header=BB82_34 Depth=1
	v_mul_lo_u32 v90, v90, s25
	v_add_u32_e32 v90, s17, v90
	v_add_u32_e32 v90, v90, v83
	v_ashrrev_i32_e32 v91, 31, v90
	v_lshlrev_b64 v[90:91], 2, v[90:91]
	v_mov_b32_e32 v92, s33
	v_add_co_u32_e32 v90, vcc, s27, v90
	v_addc_co_u32_e32 v91, vcc, v92, v91, vcc
	global_load_dword v90, v[90:91], off
.LBB82_33:                              ;   in Loop: Header=BB82_34 Depth=1
	v_add_u32_e32 v91, 0x200, v85
	s_waitcnt vmcnt(0)
	ds_write2_b32 v91, v90, v87 offset0:86 offset1:152
	v_add_u32_e32 v90, 0x400, v85
	ds_write2_b32 v90, v87, v87 offset0:90 offset1:156
	v_add_u32_e32 v90, 0x600, v85
	ds_write2_b32 v90, v87, v87 offset0:94 offset1:160
	v_add_u32_e32 v90, 0x800, v85
	ds_write2_b32 v90, v87, v87 offset0:98 offset1:164
	v_add_u32_e32 v90, 0xa00, v85
	ds_write2_b32 v90, v87, v87 offset0:102 offset1:168
	v_add_u32_e32 v90, 0xc00, v85
	ds_write2_b32 v90, v87, v87 offset0:106 offset1:172
	ds_write_b32 v85, v87 offset:4024
	ds_read2_b64 v[90:93], v86 offset0:8 offset1:12
	v_accvgpr_write_b32 a7, v3
	v_accvgpr_write_b32 a6, v2
	v_accvgpr_write_b32 a5, v1
	v_accvgpr_write_b32 a4, v0
	v_accvgpr_write_b32 a11, v7
	v_accvgpr_write_b32 a15, v11
	s_waitcnt lgkmcnt(0)
	v_mfma_f32_16x16x4f32 a[4:7], v44, v90, a[4:7]
	v_accvgpr_write_b32 a10, v6
	v_accvgpr_write_b32 a9, v5
	;; [unrolled: 1-line block ×6, first 2 shown]
	ds_read2_b64 v[0:3], v86 offset0:16 offset1:20
	v_mfma_f32_16x16x4f32 a[8:11], v56, v90, a[8:11]
	v_add_co_u32_e32 v14, vcc, 0x300, v14
	v_add_u32_e32 v83, 0xc0, v83
	v_addc_co_u32_e32 v15, vcc, 0, v15, vcc
	v_cmp_le_i32_e32 vcc, s16, v83
	s_or_b64 s[18:19], vcc, s[18:19]
	v_mfma_f32_16x16x4f32 a[12:15], v62, v90, a[12:15]
	v_mfma_f32_16x16x4f32 a[0:3], v78, v90, a[0:3]
	;; [unrolled: 1-line block ×14, first 2 shown]
	s_waitcnt lgkmcnt(0)
	v_mfma_f32_16x16x4f32 a[4:7], v32, v0, a[4:7]
	v_mfma_f32_16x16x4f32 a[8:11], v48, v0, a[8:11]
	v_mfma_f32_16x16x4f32 a[12:15], v58, v0, a[12:15]
	v_mfma_f32_16x16x4f32 a[0:3], v74, v0, a[0:3]
	v_mfma_f32_16x16x4f32 a[4:7], v33, v1, a[4:7]
	v_mfma_f32_16x16x4f32 a[8:11], v49, v1, a[8:11]
	v_mfma_f32_16x16x4f32 a[12:15], v59, v1, a[12:15]
	v_mfma_f32_16x16x4f32 a[0:3], v75, v1, a[0:3]
	v_mfma_f32_16x16x4f32 a[4:7], v28, v2, a[4:7]
	v_mfma_f32_16x16x4f32 a[8:11], v42, v2, a[8:11]
	v_mfma_f32_16x16x4f32 a[12:15], v54, v2, a[12:15]
	v_mfma_f32_16x16x4f32 a[0:3], v72, v2, a[0:3]
	v_mfma_f32_16x16x4f32 a[4:7], v29, v3, a[4:7]
	v_mfma_f32_16x16x4f32 a[8:11], v43, v3, a[8:11]
	v_mfma_f32_16x16x4f32 a[12:15], v55, v3, a[12:15]
	v_mfma_f32_16x16x4f32 a[0:3], v73, v3, a[0:3]
	ds_read2_b64 v[0:3], v86 offset0:24 offset1:28
	s_waitcnt lgkmcnt(0)
	v_mfma_f32_16x16x4f32 a[4:7], v24, v0, a[4:7]
	v_mfma_f32_16x16x4f32 a[8:11], v36, v0, a[8:11]
	;; [unrolled: 1-line block ×16, first 2 shown]
	ds_read2_b64 v[0:3], v86 offset0:32 offset1:36
	s_waitcnt lgkmcnt(0)
	v_mfma_f32_16x16x4f32 a[4:7], v18, v0, a[4:7]
	v_mfma_f32_16x16x4f32 a[4:7], v19, v1, a[4:7]
	;; [unrolled: 1-line block ×16, first 2 shown]
	s_andn2_b64 exec, exec, s[18:19]
	s_cbranch_execz .LBB82_49
.LBB82_34:                              ; =>This Inner Loop Header: Depth=1
	v_add_co_u32_e32 v0, vcc, s34, v14
	v_addc_co_u32_e32 v1, vcc, v15, v89, vcc
	global_load_dword v20, v[14:15], off
	global_load_dword v21, v[0:1], off
	v_add_u32_e32 v0, s28, v83
	v_ashrrev_i32_e32 v1, 31, v0
	v_lshlrev_b64 v[0:1], 2, v[0:1]
	v_add_u32_e32 v2, s29, v83
	v_add_co_u32_e32 v0, vcc, s24, v0
	v_ashrrev_i32_e32 v3, 31, v2
	v_addc_co_u32_e32 v1, vcc, v88, v1, vcc
	v_lshlrev_b64 v[2:3], 2, v[2:3]
	v_add_u32_e32 v4, s37, v83
	v_add_co_u32_e32 v2, vcc, s24, v2
	v_ashrrev_i32_e32 v5, 31, v4
	v_addc_co_u32_e32 v3, vcc, v88, v3, vcc
	;; [unrolled: 5-line block ×5, first 2 shown]
	v_lshlrev_b64 v[10:11], 2, v[10:11]
	v_add_co_u32_e32 v10, vcc, s24, v10
	v_addc_co_u32_e32 v11, vcc, v88, v11, vcc
	global_load_dword v22, v[0:1], off
	global_load_dword v23, v[2:3], off
	;; [unrolled: 1-line block ×6, first 2 shown]
	v_add_u32_e32 v16, s41, v83
	v_ashrrev_i32_e32 v17, 31, v16
	v_add_u32_e32 v18, s42, v83
	v_lshlrev_b64 v[16:17], 2, v[16:17]
	v_ashrrev_i32_e32 v19, 31, v18
	v_add_co_u32_e32 v16, vcc, s24, v16
	v_lshlrev_b64 v[18:19], 2, v[18:19]
	v_addc_co_u32_e32 v17, vcc, v88, v17, vcc
	v_add_co_u32_e32 v18, vcc, s24, v18
	v_addc_co_u32_e32 v19, vcc, v88, v19, vcc
	v_add_u32_e32 v28, s48, v83
	v_ashrrev_i32_e32 v29, 31, v28
	v_lshlrev_b64 v[28:29], 2, v[28:29]
	v_add_u32_e32 v30, s49, v83
	v_ashrrev_i32_e32 v31, 31, v30
	v_lshlrev_b64 v[30:31], 2, v[30:31]
	;; [unrolled: 3-line block ×6, first 2 shown]
	s_waitcnt vmcnt(7)
	ds_write_b32 v85, v20 offset:64
	s_waitcnt vmcnt(6)
	ds_write_b32 v85, v21 offset:328
	global_load_dword v16, v[16:17], off
	s_nop 0
	global_load_dword v17, v[18:19], off
	v_add_u32_e32 v18, s43, v83
	v_ashrrev_i32_e32 v19, 31, v18
	v_lshlrev_b64 v[18:19], 2, v[18:19]
	v_add_u32_e32 v20, s44, v83
	v_add_co_u32_e32 v18, vcc, s24, v18
	v_ashrrev_i32_e32 v21, 31, v20
	v_addc_co_u32_e32 v19, vcc, v88, v19, vcc
	v_lshlrev_b64 v[20:21], 2, v[20:21]
	s_waitcnt vmcnt(7)
	ds_write_b32 v85, v22 offset:592
	s_waitcnt vmcnt(6)
	ds_write_b32 v85, v23 offset:856
	s_waitcnt vmcnt(5)
	ds_write_b32 v85, v24 offset:1120
	s_waitcnt vmcnt(4)
	ds_write_b32 v85, v25 offset:1384
	s_waitcnt vmcnt(3)
	ds_write_b32 v85, v26 offset:1648
	s_waitcnt vmcnt(2)
	ds_write_b32 v85, v27 offset:1912
	v_add_u32_e32 v22, s45, v83
	v_add_co_u32_e32 v20, vcc, s24, v20
	v_ashrrev_i32_e32 v23, 31, v22
	v_addc_co_u32_e32 v21, vcc, v88, v21, vcc
	v_lshlrev_b64 v[22:23], 2, v[22:23]
	v_add_u32_e32 v24, s46, v83
	v_add_co_u32_e32 v22, vcc, s24, v22
	v_ashrrev_i32_e32 v25, 31, v24
	v_addc_co_u32_e32 v23, vcc, v88, v23, vcc
	v_lshlrev_b64 v[24:25], 2, v[24:25]
	;; [unrolled: 5-line block ×3, first 2 shown]
	v_add_co_u32_e32 v26, vcc, s24, v26
	v_addc_co_u32_e32 v27, vcc, v88, v27, vcc
	v_add_co_u32_e32 v28, vcc, s24, v28
	v_addc_co_u32_e32 v29, vcc, v88, v29, vcc
	;; [unrolled: 2-line block ×4, first 2 shown]
	global_load_dword v18, v[18:19], off
	s_nop 0
	global_load_dword v19, v[20:21], off
	s_nop 0
	global_load_dword v20, v[22:23], off
	global_load_dword v21, v[24:25], off
	s_nop 0
	global_load_dword v24, v[26:27], off
	global_load_dword v25, v[28:29], off
	;; [unrolled: 1-line block ×4, first 2 shown]
	v_add_u32_e32 v26, s51, v83
	v_ashrrev_i32_e32 v27, 31, v26
	v_lshlrev_b64 v[26:27], 2, v[26:27]
	v_add_u32_e32 v28, s52, v83
	v_add_co_u32_e32 v26, vcc, s24, v26
	v_ashrrev_i32_e32 v29, 31, v28
	v_addc_co_u32_e32 v27, vcc, v88, v27, vcc
	v_lshlrev_b64 v[28:29], 2, v[28:29]
	v_add_u32_e32 v30, s53, v83
	v_add_co_u32_e32 v28, vcc, s24, v28
	v_ashrrev_i32_e32 v31, 31, v30
	v_addc_co_u32_e32 v29, vcc, v88, v29, vcc
	;; [unrolled: 5-line block ×3, first 2 shown]
	v_lshlrev_b64 v[32:33], 2, v[32:33]
	v_add_co_u32_e32 v32, vcc, s24, v32
	v_addc_co_u32_e32 v33, vcc, v88, v33, vcc
	v_add_co_u32_e32 v34, vcc, s24, v34
	v_addc_co_u32_e32 v35, vcc, v88, v35, vcc
	;; [unrolled: 2-line block ×3, first 2 shown]
	v_add_u32_e32 v40, s58, v83
	v_add_co_u32_e32 v38, vcc, s24, v38
	v_ashrrev_i32_e32 v41, 31, v40
	v_addc_co_u32_e32 v39, vcc, v88, v39, vcc
	v_lshlrev_b64 v[40:41], 2, v[40:41]
	v_add_co_u32_e32 v40, vcc, s24, v40
	v_addc_co_u32_e32 v41, vcc, v88, v41, vcc
	global_load_dword v26, v[26:27], off
	s_nop 0
	global_load_dword v27, v[28:29], off
	s_nop 0
	;; [unrolled: 2-line block ×6, first 2 shown]
	global_load_dword v36, v[38:39], off
	global_load_dword v37, v[40:41], off
	v_add_u32_e32 v28, s59, v83
	v_ashrrev_i32_e32 v29, 31, v28
	v_lshlrev_b64 v[28:29], 2, v[28:29]
	v_add_u32_e32 v32, s60, v83
	v_add_co_u32_e32 v28, vcc, s24, v28
	v_ashrrev_i32_e32 v33, 31, v32
	v_addc_co_u32_e32 v29, vcc, v88, v29, vcc
	v_lshlrev_b64 v[32:33], 2, v[32:33]
	v_add_u32_e32 v38, s61, v83
	v_add_co_u32_e32 v32, vcc, s24, v32
	v_ashrrev_i32_e32 v39, 31, v38
	v_addc_co_u32_e32 v33, vcc, v88, v33, vcc
	;; [unrolled: 5-line block ×4, first 2 shown]
	v_lshlrev_b64 v[42:43], 2, v[42:43]
	v_add_co_u32_e32 v44, vcc, s24, v42
	v_add_u32_e32 v42, s64, v83
	v_addc_co_u32_e32 v45, vcc, v88, v43, vcc
	v_ashrrev_i32_e32 v43, 31, v42
	v_lshlrev_b64 v[42:43], 2, v[42:43]
	v_add_co_u32_e32 v50, vcc, s24, v42
	v_add_u32_e32 v42, s65, v83
	v_addc_co_u32_e32 v51, vcc, v88, v43, vcc
	v_ashrrev_i32_e32 v43, 31, v42
	;; [unrolled: 5-line block ×3, first 2 shown]
	v_lshlrev_b64 v[42:43], 2, v[42:43]
	v_add_co_u32_e32 v54, vcc, s24, v42
	v_addc_co_u32_e32 v55, vcc, v88, v43, vcc
	global_load_dword v42, v[28:29], off
	global_load_dword v43, v[32:33], off
	;; [unrolled: 1-line block ×6, first 2 shown]
	s_nop 0
	global_load_dword v40, v[52:53], off
	global_load_dword v41, v[54:55], off
	v_add_u32_e32 v28, s67, v83
	v_ashrrev_i32_e32 v29, 31, v28
	v_lshlrev_b64 v[28:29], 2, v[28:29]
	v_add_u32_e32 v32, s68, v83
	v_add_co_u32_e32 v28, vcc, s24, v28
	v_ashrrev_i32_e32 v33, 31, v32
	v_addc_co_u32_e32 v29, vcc, v88, v29, vcc
	v_lshlrev_b64 v[32:33], 2, v[32:33]
	v_add_u32_e32 v38, s69, v83
	v_add_co_u32_e32 v32, vcc, s24, v32
	v_ashrrev_i32_e32 v39, 31, v38
	v_addc_co_u32_e32 v33, vcc, v88, v33, vcc
	v_lshlrev_b64 v[38:39], 2, v[38:39]
	v_add_u32_e32 v44, s70, v83
	v_add_co_u32_e32 v38, vcc, s24, v38
	v_ashrrev_i32_e32 v45, 31, v44
	v_addc_co_u32_e32 v39, vcc, v88, v39, vcc
	v_lshlrev_b64 v[44:45], 2, v[44:45]
	v_add_u32_e32 v50, s71, v83
	v_add_co_u32_e32 v44, vcc, s24, v44
	v_ashrrev_i32_e32 v51, 31, v50
	v_addc_co_u32_e32 v45, vcc, v88, v45, vcc
	v_lshlrev_b64 v[50:51], 2, v[50:51]
	v_add_u32_e32 v52, s72, v83
	v_add_co_u32_e32 v50, vcc, s24, v50
	v_ashrrev_i32_e32 v53, 31, v52
	v_addc_co_u32_e32 v51, vcc, v88, v51, vcc
	v_lshlrev_b64 v[52:53], 2, v[52:53]
	v_add_u32_e32 v54, s73, v83
	v_add_co_u32_e32 v52, vcc, s24, v52
	v_ashrrev_i32_e32 v55, 31, v54
	v_addc_co_u32_e32 v53, vcc, v88, v53, vcc
	v_lshlrev_b64 v[54:55], 2, v[54:55]
	v_add_u32_e32 v56, s74, v83
	v_add_co_u32_e32 v54, vcc, s24, v54
	v_ashrrev_i32_e32 v57, 31, v56
	v_addc_co_u32_e32 v55, vcc, v88, v55, vcc
	v_lshlrev_b64 v[56:57], 2, v[56:57]
	v_add_co_u32_e32 v56, vcc, s24, v56
	v_addc_co_u32_e32 v57, vcc, v88, v57, vcc
	global_load_dword v58, v[28:29], off
	global_load_dword v59, v[32:33], off
	global_load_dword v60, v[38:39], off
	global_load_dword v61, v[44:45], off
	global_load_dword v62, v[50:51], off
	global_load_dword v63, v[52:53], off
	global_load_dword v64, v[54:55], off
	global_load_dword v65, v[56:57], off
	v_add_u32_e32 v28, s75, v83
	v_ashrrev_i32_e32 v29, 31, v28
	v_lshlrev_b64 v[28:29], 2, v[28:29]
	v_add_u32_e32 v32, s76, v83
	v_add_co_u32_e32 v28, vcc, s24, v28
	v_ashrrev_i32_e32 v33, 31, v32
	v_addc_co_u32_e32 v29, vcc, v88, v29, vcc
	v_lshlrev_b64 v[32:33], 2, v[32:33]
	v_add_u32_e32 v38, s77, v83
	v_add_co_u32_e32 v32, vcc, s24, v32
	v_ashrrev_i32_e32 v39, 31, v38
	v_addc_co_u32_e32 v33, vcc, v88, v33, vcc
	v_lshlrev_b64 v[38:39], 2, v[38:39]
	v_add_u32_e32 v44, s78, v83
	v_add_co_u32_e32 v38, vcc, s24, v38
	v_ashrrev_i32_e32 v45, 31, v44
	v_addc_co_u32_e32 v39, vcc, v88, v39, vcc
	v_lshlrev_b64 v[44:45], 2, v[44:45]
	v_add_u32_e32 v50, s35, v83
	v_add_co_u32_e32 v44, vcc, s24, v44
	v_ashrrev_i32_e32 v51, 31, v50
	v_addc_co_u32_e32 v45, vcc, v88, v45, vcc
	v_lshlrev_b64 v[50:51], 2, v[50:51]
	v_add_u32_e32 v52, s79, v83
	v_add_co_u32_e32 v50, vcc, s24, v50
	v_ashrrev_i32_e32 v53, 31, v52
	v_addc_co_u32_e32 v51, vcc, v88, v51, vcc
	v_lshlrev_b64 v[52:53], 2, v[52:53]
	v_add_u32_e32 v54, s80, v83
	v_add_co_u32_e32 v52, vcc, s24, v52
	v_ashrrev_i32_e32 v55, 31, v54
	v_addc_co_u32_e32 v53, vcc, v88, v53, vcc
	v_lshlrev_b64 v[54:55], 2, v[54:55]
	v_add_u32_e32 v56, s81, v83
	v_add_co_u32_e32 v54, vcc, s24, v54
	v_ashrrev_i32_e32 v57, 31, v56
	v_addc_co_u32_e32 v55, vcc, v88, v55, vcc
	v_lshlrev_b64 v[56:57], 2, v[56:57]
	v_add_co_u32_e32 v56, vcc, s24, v56
	v_addc_co_u32_e32 v57, vcc, v88, v57, vcc
	global_load_dword v66, v[28:29], off
	global_load_dword v67, v[32:33], off
	global_load_dword v68, v[38:39], off
	global_load_dword v69, v[44:45], off
	global_load_dword v70, v[50:51], off
	global_load_dword v71, v[52:53], off
	;; [unrolled: 48-line block ×3, first 2 shown]
	global_load_dword v90, v[54:55], off
	global_load_dword v91, v[56:57], off
	v_add_u32_e32 v28, s90, v83
	v_ashrrev_i32_e32 v29, 31, v28
	v_lshlrev_b64 v[28:29], 2, v[28:29]
	v_add_u32_e32 v32, s91, v83
	v_add_co_u32_e32 v28, vcc, s24, v28
	v_ashrrev_i32_e32 v33, 31, v32
	v_addc_co_u32_e32 v29, vcc, v88, v29, vcc
	v_lshlrev_b64 v[32:33], 2, v[32:33]
	v_add_u32_e32 v38, s92, v83
	v_add_co_u32_e32 v32, vcc, s24, v32
	v_ashrrev_i32_e32 v39, 31, v38
	v_addc_co_u32_e32 v33, vcc, v88, v33, vcc
	;; [unrolled: 5-line block ×5, first 2 shown]
	v_lshlrev_b64 v[52:53], 2, v[52:53]
	v_add_co_u32_e32 v52, vcc, s24, v52
	v_addc_co_u32_e32 v53, vcc, v88, v53, vcc
	global_load_dword v92, v[28:29], off
	global_load_dword v93, v[32:33], off
	;; [unrolled: 1-line block ×6, first 2 shown]
	s_waitcnt vmcnt(55)
	ds_write_b32 v85, v16 offset:2176
	s_waitcnt vmcnt(54)
	ds_write_b32 v85, v17 offset:2440
	s_waitcnt vmcnt(53)
	ds_write_b32 v85, v18 offset:2704
	s_waitcnt vmcnt(52)
	ds_write_b32 v85, v19 offset:2968
	s_waitcnt vmcnt(51)
	ds_write_b32 v85, v20 offset:3232
	s_waitcnt vmcnt(50)
	ds_write_b32 v85, v21 offset:3496
	s_waitcnt vmcnt(49)
	ds_write_b32 v85, v24 offset:3760
	s_waitcnt vmcnt(48)
	ds_write_b32 v85, v25 offset:4024
	ds_read_b64 v[44:45], v86 offset:64
	ds_read_b64 v[38:39], v86 offset:96
	ds_read_b64 v[32:33], v86 offset:128
	ds_read_b64 v[28:29], v86 offset:160
	ds_read_b64 v[24:25], v86 offset:192
	ds_read_b64 v[20:21], v86 offset:224
	ds_read_b64 v[18:19], v86 offset:256
	ds_read_b64 v[16:17], v86 offset:288
	s_waitcnt vmcnt(47)
	ds_write_b32 v85, v22 offset:64
	s_waitcnt vmcnt(46)
	ds_write_b32 v85, v23 offset:328
	s_waitcnt vmcnt(45)
	ds_write_b32 v85, v26 offset:592
	s_waitcnt vmcnt(44)
	ds_write_b32 v85, v27 offset:856
	s_waitcnt vmcnt(43)
	ds_write_b32 v85, v30 offset:1120
	s_waitcnt vmcnt(42)
	ds_write_b32 v85, v31 offset:1384
	s_waitcnt vmcnt(41)
	ds_write_b32 v85, v34 offset:1648
	s_waitcnt vmcnt(40)
	ds_write_b32 v85, v35 offset:1912
	s_waitcnt vmcnt(39)
	ds_write_b32 v85, v36 offset:2176
	s_waitcnt vmcnt(38)
	ds_write_b32 v85, v37 offset:2440
	s_waitcnt vmcnt(37)
	ds_write_b32 v85, v42 offset:2704
	s_waitcnt vmcnt(36)
	ds_write_b32 v85, v43 offset:2968
	s_waitcnt vmcnt(35)
	ds_write_b32 v85, v46 offset:3232
	s_waitcnt vmcnt(34)
	ds_write_b32 v85, v47 offset:3496
	s_waitcnt vmcnt(33)
	ds_write_b32 v85, v48 offset:3760
	s_waitcnt vmcnt(32)
	ds_write_b32 v85, v49 offset:4024
	ds_read_b64 v[56:57], v86 offset:64
	ds_read_b64 v[52:53], v86 offset:96
	ds_read_b64 v[48:49], v86 offset:128
	ds_read_b64 v[42:43], v86 offset:160
	ds_read_b64 v[36:37], v86 offset:192
	ds_read_b64 v[30:31], v86 offset:224
	ds_read_b64 v[26:27], v86 offset:256
	ds_read_b64 v[22:23], v86 offset:288
	s_waitcnt vmcnt(31)
	ds_write_b32 v85, v40 offset:64
	s_waitcnt vmcnt(30)
	ds_write_b32 v85, v41 offset:328
	s_waitcnt vmcnt(29)
	ds_write_b32 v85, v58 offset:592
	s_waitcnt vmcnt(28)
	ds_write_b32 v85, v59 offset:856
	s_waitcnt vmcnt(27)
	ds_write_b32 v85, v60 offset:1120
	s_waitcnt vmcnt(26)
	ds_write_b32 v85, v61 offset:1384
	s_waitcnt vmcnt(25)
	ds_write_b32 v85, v62 offset:1648
	s_waitcnt vmcnt(24)
	ds_write_b32 v85, v63 offset:1912
	;; [unrolled: 40-line block ×3, first 2 shown]
	s_waitcnt vmcnt(7)
	ds_write_b32 v85, v90 offset:2176
	s_waitcnt vmcnt(6)
	ds_write_b32 v85, v91 offset:2440
	;; [unrolled: 2-line block ×8, first 2 shown]
	ds_read_b64 v[78:79], v86 offset:64
	ds_read_b64 v[76:77], v86 offset:96
	;; [unrolled: 1-line block ×8, first 2 shown]
	v_accvgpr_read_b32 v3, a15
	v_accvgpr_read_b32 v2, a14
	;; [unrolled: 1-line block ×12, first 2 shown]
	s_andn2_b64 vcc, exec, s[6:7]
	v_mov_b32_e32 v90, 0
	s_cbranch_vccnz .LBB82_38
; %bb.35:                               ;   in Loop: Header=BB82_34 Depth=1
	ds_read_b32 v90, v84
	s_waitcnt lgkmcnt(0)
	v_cmp_gt_i32_e32 vcc, 0, v90
	s_cbranch_vccnz .LBB82_37
; %bb.36:                               ;   in Loop: Header=BB82_34 Depth=1
	v_mul_lo_u32 v90, v90, s25
	v_add_u32_e32 v90, v83, v90
	v_ashrrev_i32_e32 v91, 31, v90
	v_lshlrev_b64 v[90:91], 2, v[90:91]
	v_mov_b32_e32 v92, s33
	v_add_co_u32_e32 v90, vcc, s27, v90
	v_addc_co_u32_e32 v91, vcc, v92, v91, vcc
	global_load_dword v90, v[90:91], off
	s_branch .LBB82_38
.LBB82_37:                              ;   in Loop: Header=BB82_34 Depth=1
	v_mov_b32_e32 v90, 0
.LBB82_38:                              ;   in Loop: Header=BB82_34 Depth=1
	s_waitcnt vmcnt(0)
	ds_write_b32 v85, v90 offset:64
	s_andn2_b64 vcc, exec, s[12:13]
	v_mov_b32_e32 v90, 0
	v_mov_b32_e32 v91, 0
	s_cbranch_vccz .LBB82_41
; %bb.39:                               ;   in Loop: Header=BB82_34 Depth=1
	s_andn2_b64 vcc, exec, s[22:23]
	ds_write_b32 v85, v91 offset:328
	s_cbranch_vccz .LBB82_44
.LBB82_40:                              ;   in Loop: Header=BB82_34 Depth=1
	ds_write_b32 v85, v90 offset:592
	s_andn2_b64 vcc, exec, s[30:31]
	v_mov_b32_e32 v90, 0
	s_cbranch_vccnz .LBB82_33
	s_branch .LBB82_47
.LBB82_41:                              ;   in Loop: Header=BB82_34 Depth=1
	ds_read_b32 v91, v84 offset:4
	s_waitcnt lgkmcnt(0)
	v_cmp_gt_i32_e32 vcc, 0, v91
	s_cbranch_vccnz .LBB82_43
; %bb.42:                               ;   in Loop: Header=BB82_34 Depth=1
	v_mul_lo_u32 v91, v91, s25
	v_add_u32_e32 v91, s20, v91
	v_add_u32_e32 v92, v91, v83
	v_ashrrev_i32_e32 v93, 31, v92
	v_lshlrev_b64 v[92:93], 2, v[92:93]
	v_mov_b32_e32 v91, s33
	v_add_co_u32_e32 v92, vcc, s27, v92
	v_addc_co_u32_e32 v93, vcc, v91, v93, vcc
	global_load_dword v91, v[92:93], off
	s_andn2_b64 vcc, exec, s[22:23]
	s_waitcnt vmcnt(0)
	ds_write_b32 v85, v91 offset:328
	s_cbranch_vccnz .LBB82_40
	s_branch .LBB82_44
.LBB82_43:                              ;   in Loop: Header=BB82_34 Depth=1
	v_mov_b32_e32 v91, 0
	s_andn2_b64 vcc, exec, s[22:23]
	ds_write_b32 v85, v91 offset:328
	s_cbranch_vccnz .LBB82_40
.LBB82_44:                              ;   in Loop: Header=BB82_34 Depth=1
	ds_read_b32 v90, v84 offset:8
	s_waitcnt lgkmcnt(0)
	v_cmp_gt_i32_e32 vcc, 0, v90
	s_cbranch_vccnz .LBB82_46
; %bb.45:                               ;   in Loop: Header=BB82_34 Depth=1
	v_mul_lo_u32 v90, v90, s25
	v_add_u32_e32 v90, s36, v90
	v_add_u32_e32 v90, v90, v83
	v_ashrrev_i32_e32 v91, 31, v90
	v_lshlrev_b64 v[90:91], 2, v[90:91]
	v_mov_b32_e32 v92, s33
	v_add_co_u32_e32 v90, vcc, s27, v90
	v_addc_co_u32_e32 v91, vcc, v92, v91, vcc
	global_load_dword v90, v[90:91], off
	s_waitcnt vmcnt(0)
	ds_write_b32 v85, v90 offset:592
	s_andn2_b64 vcc, exec, s[30:31]
	v_mov_b32_e32 v90, 0
	s_cbranch_vccnz .LBB82_33
	s_branch .LBB82_47
.LBB82_46:                              ;   in Loop: Header=BB82_34 Depth=1
	v_mov_b32_e32 v90, 0
	ds_write_b32 v85, v90 offset:592
	s_andn2_b64 vcc, exec, s[30:31]
	v_mov_b32_e32 v90, 0
	s_cbranch_vccnz .LBB82_33
.LBB82_47:                              ;   in Loop: Header=BB82_34 Depth=1
	ds_read_b32 v90, v84 offset:12
	s_waitcnt lgkmcnt(0)
	v_cmp_gt_i32_e32 vcc, 0, v90
	s_cbranch_vccz .LBB82_32
; %bb.48:                               ;   in Loop: Header=BB82_34 Depth=1
	v_mov_b32_e32 v90, 0
	s_branch .LBB82_33
.LBB82_49:
	s_or_b64 exec, exec, s[18:19]
.LBB82_50:
	s_or_b64 exec, exec, s[4:5]
	v_mul_u32_u24_e32 v0, 0x308, v82
	s_movk_i32 s5, 0x100
	v_lshlrev_b32_e32 v1, 2, v81
	v_add3_u32 v0, s5, v0, v1
	v_and_b32_e32 v2, 0x3f0, v12
	v_add_u32_e32 v3, v0, v2
	s_barrier
	ds_write2_b32 v3, a12, a13 offset0:16 offset1:17
	v_or_b32_e32 v3, 12, v12
	v_add_u32_e32 v1, 64, v0
	v_and_b32_e32 v3, 0x3fc, v3
	v_add_u32_e32 v2, v1, v2
	v_add_u32_e32 v0, v0, v3
	ds_write_b32 v2, a14 offset:8
	ds_write_b32 v0, a15 offset:64
	ds_write2_b32 v2, a8, a9 offset0:16 offset1:17
	ds_write_b32 v2, a10 offset:72
	v_add_u32_e32 v0, v1, v3
	v_mov_b32_e32 v3, 0x100
	s_movk_i32 s4, 0x308
	ds_write_b32 v0, a11 offset:64
	ds_write2_b32 v2, a4, a5 offset0:32 offset1:33
	ds_write_b32 v2, a6 offset:136
	ds_write_b32 v0, a7 offset:128
	ds_write2_b32 v2, a0, a1 offset0:48 offset1:49
	ds_write_b32 v2, a2 offset:200
	ds_write_b32 v0, a3 offset:192
	v_lshl_add_u32 v2, v12, 2, v3
	v_mad_u32_u24 v4, v13, s4, v2
	s_waitcnt lgkmcnt(0)
	s_barrier
	ds_read2_b32 v[0:1], v4 offset0:16 offset1:80
	ds_read_b32 v4, v4 offset:576
	v_cmp_gt_u32_e32 vcc, 4, v13
	v_mov_b32_e32 v5, -1
	s_and_saveexec_b64 s[4:5], vcc
	s_cbranch_execz .LBB82_52
; %bb.51:
	v_lshl_add_u32 v3, v13, 2, v3
	ds_read_b32 v5, v3
.LBB82_52:
	s_or_b64 exec, exec, s[4:5]
	s_mul_hi_i32 s5, s14, s8
	s_mul_i32 s4, s14, s8
	s_lshl_b64 s[4:5], s[4:5], 2
	s_mul_hi_i32 s7, s9, s21
	s_mul_i32 s6, s9, s21
	s_add_u32 s8, s10, s4
	s_addc_u32 s9, s11, s5
	s_lshl_b64 s[4:5], s[6:7], 2
	s_add_u32 s4, s8, s4
	s_waitcnt lgkmcnt(0)
	v_cmp_lt_i32_e32 vcc, -1, v5
	v_add_u32_e32 v3, s15, v12
	s_addc_u32 s5, s9, s5
	s_and_b64 s[6:7], vcc, s[0:1]
	s_and_saveexec_b64 s[0:1], s[6:7]
	s_cbranch_execz .LBB82_54
; %bb.53:
	v_add_f32_e32 v0, 0, v0
	v_add_f32_e32 v0, v0, v1
	;; [unrolled: 1-line block ×3, first 2 shown]
	v_mul_lo_u32 v0, v5, s26
	v_mul_lo_u32 v1, v13, s21
	v_add3_u32 v0, v3, v1, v0
	v_mov_b32_e32 v1, 0
	v_lshlrev_b64 v[0:1], 2, v[0:1]
	v_mov_b32_e32 v5, s5
	v_add_co_u32_e32 v0, vcc, s4, v0
	v_addc_co_u32_e32 v1, vcc, v5, v1, vcc
	global_store_dword v[0:1], v4, off
.LBB82_54:
	s_or_b64 exec, exec, s[0:1]
	v_cmp_eq_u32_e32 vcc, 0, v13
	s_and_saveexec_b64 s[0:1], vcc
	s_cbranch_execz .LBB82_57
; %bb.55:
	v_mov_b32_e32 v0, 0x100
	ds_read_b32 v0, v0 offset:12
	s_waitcnt lgkmcnt(0)
	v_readfirstlane_b32 s0, v0
	s_cmp_gt_i32 s0, -1
	s_cselect_b64 s[0:1], -1, 0
	s_and_b64 s[0:1], s[0:1], s[2:3]
	s_and_b64 exec, exec, s[0:1]
	s_cbranch_execz .LBB82_57
; %bb.56:
	v_mul_u32_u24_e32 v1, 0x308, v13
	v_add_u32_e32 v1, v1, v2
	v_add_u32_e32 v2, 0x58, v1
	ds_read2st64_b32 v[4:5], v2 offset0:9 offset1:10
	ds_read_b32 v1, v1 offset:2904
	v_mul_lo_u32 v0, v0, s26
	v_mul_lo_u32 v2, v80, s21
	v_add3_u32 v0, v3, v2, v0
	s_waitcnt lgkmcnt(1)
	v_add_f32_e32 v2, 0, v4
	v_add_f32_e32 v2, v2, v5
	s_waitcnt lgkmcnt(0)
	v_add_f32_e32 v2, v2, v1
	v_mov_b32_e32 v1, 0
	v_lshlrev_b64 v[0:1], 2, v[0:1]
	v_mov_b32_e32 v3, s5
	v_add_co_u32_e32 v0, vcc, s4, v0
	v_addc_co_u32_e32 v1, vcc, v3, v1, vcc
	global_store_dword v[0:1], v2, off
.LBB82_57:
	s_endpgm
	.section	.rodata,"a",@progbits
	.p2align	6, 0x0
	.amdhsa_kernel _ZL9mul_mat_fIfLi64ELi4ELi3ELb1EEvPKT_PKfPKiPfiiiiiiiiiiiiiiii
		.amdhsa_group_segment_fixed_size 256
		.amdhsa_private_segment_fixed_size 0
		.amdhsa_kernarg_size 352
		.amdhsa_user_sgpr_count 6
		.amdhsa_user_sgpr_private_segment_buffer 1
		.amdhsa_user_sgpr_dispatch_ptr 0
		.amdhsa_user_sgpr_queue_ptr 0
		.amdhsa_user_sgpr_kernarg_segment_ptr 1
		.amdhsa_user_sgpr_dispatch_id 0
		.amdhsa_user_sgpr_flat_scratch_init 0
		.amdhsa_user_sgpr_kernarg_preload_length 0
		.amdhsa_user_sgpr_kernarg_preload_offset 0
		.amdhsa_user_sgpr_private_segment_size 0
		.amdhsa_uses_dynamic_stack 0
		.amdhsa_system_sgpr_private_segment_wavefront_offset 0
		.amdhsa_system_sgpr_workgroup_id_x 1
		.amdhsa_system_sgpr_workgroup_id_y 1
		.amdhsa_system_sgpr_workgroup_id_z 1
		.amdhsa_system_sgpr_workgroup_info 0
		.amdhsa_system_vgpr_workitem_id 2
		.amdhsa_next_free_vgpr 120
		.amdhsa_next_free_sgpr 96
		.amdhsa_accum_offset 100
		.amdhsa_reserve_vcc 1
		.amdhsa_reserve_flat_scratch 0
		.amdhsa_float_round_mode_32 0
		.amdhsa_float_round_mode_16_64 0
		.amdhsa_float_denorm_mode_32 3
		.amdhsa_float_denorm_mode_16_64 3
		.amdhsa_dx10_clamp 1
		.amdhsa_ieee_mode 1
		.amdhsa_fp16_overflow 0
		.amdhsa_tg_split 0
		.amdhsa_exception_fp_ieee_invalid_op 0
		.amdhsa_exception_fp_denorm_src 0
		.amdhsa_exception_fp_ieee_div_zero 0
		.amdhsa_exception_fp_ieee_overflow 0
		.amdhsa_exception_fp_ieee_underflow 0
		.amdhsa_exception_fp_ieee_inexact 0
		.amdhsa_exception_int_div_zero 0
	.end_amdhsa_kernel
	.section	.text._ZL9mul_mat_fIfLi64ELi4ELi3ELb1EEvPKT_PKfPKiPfiiiiiiiiiiiiiiii,"axG",@progbits,_ZL9mul_mat_fIfLi64ELi4ELi3ELb1EEvPKT_PKfPKiPfiiiiiiiiiiiiiiii,comdat
.Lfunc_end82:
	.size	_ZL9mul_mat_fIfLi64ELi4ELi3ELb1EEvPKT_PKfPKiPfiiiiiiiiiiiiiiii, .Lfunc_end82-_ZL9mul_mat_fIfLi64ELi4ELi3ELb1EEvPKT_PKfPKiPfiiiiiiiiiiiiiiii
                                        ; -- End function
	.section	.AMDGPU.csdata,"",@progbits
; Kernel info:
; codeLenInByte = 7200
; NumSgprs: 100
; NumVgprs: 98
; NumAgprs: 20
; TotalNumVgprs: 120
; ScratchSize: 0
; MemoryBound: 0
; FloatMode: 240
; IeeeMode: 1
; LDSByteSize: 256 bytes/workgroup (compile time only)
; SGPRBlocks: 12
; VGPRBlocks: 14
; NumSGPRsForWavesPerEU: 100
; NumVGPRsForWavesPerEU: 120
; AccumOffset: 100
; Occupancy: 4
; WaveLimiterHint : 0
; COMPUTE_PGM_RSRC2:SCRATCH_EN: 0
; COMPUTE_PGM_RSRC2:USER_SGPR: 6
; COMPUTE_PGM_RSRC2:TRAP_HANDLER: 0
; COMPUTE_PGM_RSRC2:TGID_X_EN: 1
; COMPUTE_PGM_RSRC2:TGID_Y_EN: 1
; COMPUTE_PGM_RSRC2:TGID_Z_EN: 1
; COMPUTE_PGM_RSRC2:TIDIG_COMP_CNT: 2
; COMPUTE_PGM_RSRC3_GFX90A:ACCUM_OFFSET: 24
; COMPUTE_PGM_RSRC3_GFX90A:TG_SPLIT: 0
	.section	.text._ZL9mul_mat_fIfLi64ELi4ELi3ELb0EEvPKT_PKfPKiPfiiiiiiiiiiiiiiii,"axG",@progbits,_ZL9mul_mat_fIfLi64ELi4ELi3ELb0EEvPKT_PKfPKiPfiiiiiiiiiiiiiiii,comdat
	.globl	_ZL9mul_mat_fIfLi64ELi4ELi3ELb0EEvPKT_PKfPKiPfiiiiiiiiiiiiiiii ; -- Begin function _ZL9mul_mat_fIfLi64ELi4ELi3ELb0EEvPKT_PKfPKiPfiiiiiiiiiiiiiiii
	.p2align	8
	.type	_ZL9mul_mat_fIfLi64ELi4ELi3ELb0EEvPKT_PKfPKiPfiiiiiiiiiiiiiiii,@function
_ZL9mul_mat_fIfLi64ELi4ELi3ELb0EEvPKT_PKfPKiPfiiiiiiiiiiiiiiii: ; @_ZL9mul_mat_fIfLi64ELi4ELi3ELb0EEvPKT_PKfPKiPfiiiiiiiiiiiiiiii
; %bb.0:
	s_load_dwordx8 s[12:19], s[4:5], 0x40
	s_load_dword s9, s[4:5], 0x20
	s_load_dwordx4 s[0:3], s[4:5], 0x2c
	v_bfe_u32 v25, v0, 10, 10
	v_lshlrev_b32_e32 v95, 6, v25
	v_and_b32_e32 v94, 0x3ff, v0
	s_waitcnt lgkmcnt(0)
	s_abs_i32 s27, s12
	s_abs_i32 s26, s16
	v_cvt_f32_u32_e32 v1, s27
	v_cvt_f32_u32_e32 v2, s26
	v_add_u32_e32 v97, v95, v94
	s_mov_b32 s22, 0
	v_rcp_iflag_f32_e32 v1, v1
	v_rcp_iflag_f32_e32 v2, v2
	s_ashr_i32 s28, s8, 31
	v_cmp_le_i32_e32 vcc, s9, v97
	v_mul_f32_e32 v1, 0x4f7ffffe, v1
	v_mul_f32_e32 v2, 0x4f7ffffe, v2
	v_cvt_u32_f32_e32 v1, v1
	v_cvt_u32_f32_e32 v2, v2
	v_and_b32_e32 v96, 15, v94
	v_readfirstlane_b32 s21, v1
	v_readfirstlane_b32 s20, v2
	s_and_saveexec_b64 s[10:11], vcc
	s_xor_b64 s[10:11], exec, s[10:11]
; %bb.1:
	v_and_b32_e32 v96, 15, v94
                                        ; implicit-def: $vgpr97
; %bb.2:
	s_or_saveexec_b64 s[24:25], s[10:11]
	s_load_dwordx2 s[10:11], s[4:5], 0x18
	s_lshl_b32 s3, s6, 6
	v_accvgpr_write_b32 a0, s22
	v_accvgpr_write_b32 a1, s22
	;; [unrolled: 1-line block ×16, first 2 shown]
	s_xor_b64 exec, exec, s[24:25]
	s_cbranch_execz .LBB83_6
; %bb.3:
	s_sub_i32 s6, 0, s27
	s_sub_i32 s22, 0, s26
	s_mul_i32 s6, s6, s21
	s_mul_i32 s22, s22, s20
	s_mul_hi_u32 s6, s21, s6
	s_mul_hi_u32 s22, s20, s22
	s_abs_i32 s29, s7
	s_add_i32 s6, s21, s6
	s_add_i32 s31, s20, s22
	s_load_dwordx4 s[20:23], s[4:5], 0x0
	s_mul_hi_u32 s4, s29, s6
	s_ashr_i32 s6, s7, 31
	s_ashr_i32 s12, s12, 31
	s_xor_b32 s6, s6, s12
	s_mul_i32 s12, s4, s27
	s_abs_i32 s30, s8
	s_sub_i32 s12, s29, s12
	s_mul_hi_u32 s5, s30, s31
	s_ashr_i32 s16, s16, 31
	s_add_i32 s29, s4, 1
	s_sub_i32 s31, s12, s27
	s_cmp_ge_u32 s12, s27
	s_cselect_b32 s4, s29, s4
	s_cselect_b32 s12, s31, s12
	s_add_i32 s29, s4, 1
	s_cmp_ge_u32 s12, s27
	s_cselect_b32 s4, s29, s4
	s_mul_i32 s12, s5, s26
	s_xor_b32 s4, s4, s6
	s_sub_i32 s12, s30, s12
	s_sub_i32 s6, s4, s6
	s_xor_b32 s4, s28, s16
	s_add_i32 s16, s5, 1
	s_sub_i32 s27, s12, s26
	s_cmp_ge_u32 s12, s26
	s_cselect_b32 s5, s16, s5
	s_cselect_b32 s12, s27, s12
	s_add_i32 s16, s5, 1
	s_cmp_ge_u32 s12, s26
	s_cselect_b32 s5, s16, s5
	s_xor_b32 s5, s5, s4
	s_sub_i32 s4, s5, s4
	s_mul_i32 s12, s6, s13
	s_mul_i32 s16, s3, s0
	s_mul_hi_i32 s5, s4, s17
	s_mul_i32 s4, s4, s17
	s_ashr_i32 s13, s12, 31
	s_ashr_i32 s17, s16, 31
	s_lshl_b64 s[30:31], s[4:5], 2
	s_lshl_b64 s[4:5], s[16:17], 2
	;; [unrolled: 1-line block ×3, first 2 shown]
	s_waitcnt lgkmcnt(0)
	s_add_u32 s6, s20, s12
	s_addc_u32 s12, s21, s13
	s_add_u32 s6, s6, s4
	s_mul_i32 s28, s7, s14
	s_addc_u32 s14, s12, s5
	s_add_u32 s4, s6, s30
	s_mul_hi_i32 s27, s18, s8
	s_mul_i32 s26, s18, s8
	s_addc_u32 s73, s14, s31
	s_ashr_i32 s29, s28, 31
	s_lshl_b64 s[12:13], s[26:27], 2
	s_lshl_b64 s[16:17], s[28:29], 2
	s_add_u32 s18, s22, s16
	s_addc_u32 s22, s23, s17
	s_add_u32 s5, s18, s12
	s_movk_i32 s16, 0x1080
	v_lshrrev_b32_e32 v2, 1, v94
	s_addc_u32 s74, s22, s13
	v_mad_u32_u24 v0, v25, s16, 0
	v_lshlrev_b32_e32 v16, 2, v94
	v_mul_u32_u24_e32 v1, 0x108, v96
	v_and_b32_e32 v2, 0x1f8, v2
	s_ashr_i32 s17, s0, 31
	s_mov_b32 s16, s0
	v_add_u32_e32 v98, v0, v16
	v_add3_u32 v99, v0, v1, v2
	s_ashr_i32 s21, s1, 31
	v_lshlrev_b32_e32 v0, 8, v25
	s_lshl_b64 s[16:17], s[16:17], 2
	v_mov_b32_e32 v1, s31
	v_add_co_u32_e32 v2, vcc, s30, v0
	s_add_u32 s16, s6, s16
	v_addc_co_u32_e32 v1, vcc, 0, v1, vcc
	s_addc_u32 s17, s14, s17
	v_mov_b32_e32 v3, s17
	v_add_co_u32_e32 v18, vcc, s16, v2
	v_addc_co_u32_e32 v17, vcc, v3, v1, vcc
	v_mov_b32_e32 v3, s14
	v_add_co_u32_e32 v20, vcc, s6, v2
	s_mov_b32 s20, s1
	v_addc_co_u32_e32 v19, vcc, v3, v1, vcc
	v_mov_b32_e32 v1, s13
	v_add_co_u32_e32 v0, vcc, s12, v0
	s_lshl_b64 s[12:13], s[20:21], 2
	s_add_u32 s6, s18, s12
	v_addc_co_u32_e32 v1, vcc, 0, v1, vcc
	s_addc_u32 s12, s22, s13
	v_mov_b32_e32 v2, s12
	v_add_co_u32_e32 v22, vcc, s6, v0
	v_addc_co_u32_e32 v21, vcc, v2, v1, vcc
	v_mov_b32_e32 v2, s22
	v_add_co_u32_e32 v24, vcc, s18, v0
	v_addc_co_u32_e32 v23, vcc, v2, v1, vcc
	s_lshl_b32 s6, s1, 1
	s_mul_i32 s12, s1, 3
	s_lshl_b32 s13, s0, 1
	s_mul_i32 s14, s0, 3
	s_lshl_b32 s16, s0, 2
	s_mul_i32 s17, s0, 5
	s_mul_i32 s18, s0, 6
	s_mul_i32 s20, s0, 7
	s_lshl_b32 s21, s0, 3
	s_mul_i32 s22, s0, 9
	s_mul_i32 s23, s0, 10
	;; [unrolled: 1-line block ×7, first 2 shown]
	s_lshl_b32 s31, s0, 4
	s_mul_i32 s33, s0, 17
	s_mul_i32 s34, s0, 18
	;; [unrolled: 1-line block ×15, first 2 shown]
	s_lshl_b32 s48, s0, 5
	s_mul_i32 s49, s0, 33
	s_mul_i32 s50, s0, 34
	;; [unrolled: 1-line block ×24, first 2 shown]
	v_mov_b32_e32 v100, s73
	s_mul_i32 s73, s0, 57
	v_mov_b32_e32 v101, s74
	s_mul_i32 s74, s0, 58
	v_mov_b32_e32 v102, 0
	v_accvgpr_write_b32 a15, 0
	v_accvgpr_write_b32 a14, 0
	;; [unrolled: 1-line block ×16, first 2 shown]
	s_mul_i32 s75, s0, 59
	s_mul_i32 s76, s0, 60
	;; [unrolled: 1-line block ×5, first 2 shown]
	s_movk_i32 s80, 0x300
	s_mov_b64 s[0:1], 0
.LBB83_4:                               ; =>This Inner Loop Header: Depth=1
	v_add_co_u32_e32 v26, vcc, v20, v16
	v_addc_co_u32_e32 v27, vcc, 0, v19, vcc
	global_load_dword v26, v[26:27], off
	v_add_u32_e32 v42, s31, v97
	v_ashrrev_i32_e32 v43, 31, v42
	v_lshlrev_b64 v[42:43], 2, v[42:43]
	v_add_u32_e32 v54, s48, v97
	v_ashrrev_i32_e32 v55, 31, v54
	v_lshlrev_b64 v[54:55], 2, v[54:55]
	;; [unrolled: 3-line block ×3, first 2 shown]
	v_accvgpr_read_b32 v8, a4
	v_accvgpr_read_b32 v7, a11
	;; [unrolled: 1-line block ×8, first 2 shown]
	v_accvgpr_write_b32 a8, v8
	v_accvgpr_write_b32 a9, v9
	;; [unrolled: 1-line block ×4, first 2 shown]
	v_accvgpr_read_b32 v0, a12
	v_accvgpr_read_b32 v12, a0
	;; [unrolled: 1-line block ×8, first 2 shown]
	v_accvgpr_write_b32 a0, v0
	v_accvgpr_write_b32 a4, v4
	v_accvgpr_write_b32 a12, v12
	v_accvgpr_write_b32 a1, v1
	v_accvgpr_write_b32 a2, v2
	v_accvgpr_write_b32 a3, v3
	v_accvgpr_write_b32 a5, v5
	v_accvgpr_write_b32 a6, v6
	v_accvgpr_write_b32 a7, v7
	v_accvgpr_write_b32 a13, v13
	v_accvgpr_write_b32 a14, v14
	v_accvgpr_write_b32 a15, v15
	s_waitcnt vmcnt(0)
	ds_write_b32 v98, v26
	v_add_co_u32_e32 v26, vcc, v18, v16
	v_addc_co_u32_e32 v27, vcc, 0, v17, vcc
	global_load_dword v26, v[26:27], off
	s_waitcnt vmcnt(0)
	ds_write_b32 v98, v26 offset:264
	v_add_u32_e32 v26, s13, v97
	v_ashrrev_i32_e32 v27, 31, v26
	v_lshlrev_b64 v[26:27], 2, v[26:27]
	v_add_co_u32_e32 v26, vcc, s4, v26
	v_addc_co_u32_e32 v27, vcc, v100, v27, vcc
	global_load_dword v26, v[26:27], off
	s_waitcnt vmcnt(0)
	ds_write_b32 v98, v26 offset:528
	v_add_u32_e32 v26, s14, v97
	v_ashrrev_i32_e32 v27, 31, v26
	v_lshlrev_b64 v[26:27], 2, v[26:27]
	;; [unrolled: 8-line block ×14, first 2 shown]
	v_add_co_u32_e32 v26, vcc, s4, v26
	v_addc_co_u32_e32 v27, vcc, v100, v27, vcc
	global_load_dword v26, v[26:27], off
	v_add_co_u32_e32 v42, vcc, s4, v42
	v_addc_co_u32_e32 v43, vcc, v100, v43, vcc
	s_waitcnt vmcnt(0)
	ds_write_b32 v98, v26 offset:3960
	ds_read_b64 v[40:41], v99
	ds_read_b64 v[38:39], v99 offset:32
	ds_read_b64 v[36:37], v99 offset:64
	;; [unrolled: 1-line block ×7, first 2 shown]
	global_load_dword v42, v[42:43], off
	s_waitcnt vmcnt(0)
	ds_write_b32 v98, v42
	v_add_u32_e32 v42, s33, v97
	v_ashrrev_i32_e32 v43, 31, v42
	v_lshlrev_b64 v[42:43], 2, v[42:43]
	v_add_co_u32_e32 v42, vcc, s4, v42
	v_addc_co_u32_e32 v43, vcc, v100, v43, vcc
	global_load_dword v42, v[42:43], off
	s_waitcnt vmcnt(0)
	ds_write_b32 v98, v42 offset:264
	v_add_u32_e32 v42, s34, v97
	v_ashrrev_i32_e32 v43, 31, v42
	v_lshlrev_b64 v[42:43], 2, v[42:43]
	v_add_co_u32_e32 v42, vcc, s4, v42
	v_addc_co_u32_e32 v43, vcc, v100, v43, vcc
	global_load_dword v42, v[42:43], off
	s_waitcnt vmcnt(0)
	ds_write_b32 v98, v42 offset:528
	;; [unrolled: 8-line block ×14, first 2 shown]
	v_add_u32_e32 v42, s47, v97
	v_ashrrev_i32_e32 v43, 31, v42
	v_lshlrev_b64 v[42:43], 2, v[42:43]
	v_add_co_u32_e32 v42, vcc, s4, v42
	v_addc_co_u32_e32 v43, vcc, v100, v43, vcc
	global_load_dword v42, v[42:43], off
	v_add_co_u32_e32 v54, vcc, s4, v54
	v_addc_co_u32_e32 v55, vcc, v100, v55, vcc
	s_waitcnt vmcnt(0)
	ds_write_b32 v98, v42 offset:3960
	ds_read_b64 v[64:65], v99
	ds_read_b64 v[60:61], v99 offset:32
	ds_read_b64 v[52:53], v99 offset:64
	;; [unrolled: 1-line block ×7, first 2 shown]
	global_load_dword v54, v[54:55], off
	s_waitcnt vmcnt(0)
	ds_write_b32 v98, v54
	v_add_u32_e32 v54, s49, v97
	v_ashrrev_i32_e32 v55, 31, v54
	v_lshlrev_b64 v[54:55], 2, v[54:55]
	v_add_co_u32_e32 v54, vcc, s4, v54
	v_addc_co_u32_e32 v55, vcc, v100, v55, vcc
	global_load_dword v54, v[54:55], off
	s_waitcnt vmcnt(0)
	ds_write_b32 v98, v54 offset:264
	v_add_u32_e32 v54, s50, v97
	v_ashrrev_i32_e32 v55, 31, v54
	v_lshlrev_b64 v[54:55], 2, v[54:55]
	v_add_co_u32_e32 v54, vcc, s4, v54
	v_addc_co_u32_e32 v55, vcc, v100, v55, vcc
	global_load_dword v54, v[54:55], off
	s_waitcnt vmcnt(0)
	ds_write_b32 v98, v54 offset:528
	;; [unrolled: 8-line block ×14, first 2 shown]
	v_add_u32_e32 v54, s63, v97
	v_ashrrev_i32_e32 v55, 31, v54
	v_lshlrev_b64 v[54:55], 2, v[54:55]
	v_add_co_u32_e32 v54, vcc, s4, v54
	v_addc_co_u32_e32 v55, vcc, v100, v55, vcc
	global_load_dword v54, v[54:55], off
	v_add_co_u32_e32 v70, vcc, s4, v70
	v_addc_co_u32_e32 v71, vcc, v100, v71, vcc
	s_waitcnt vmcnt(0)
	ds_write_b32 v98, v54 offset:3960
	ds_read_b64 v[74:75], v99
	ds_read_b64 v[72:73], v99 offset:32
	ds_read_b64 v[68:69], v99 offset:64
	;; [unrolled: 1-line block ×7, first 2 shown]
	global_load_dword v70, v[70:71], off
	s_waitcnt vmcnt(0)
	ds_write_b32 v98, v70
	v_add_u32_e32 v70, s65, v97
	v_ashrrev_i32_e32 v71, 31, v70
	v_lshlrev_b64 v[70:71], 2, v[70:71]
	v_add_co_u32_e32 v70, vcc, s4, v70
	v_addc_co_u32_e32 v71, vcc, v100, v71, vcc
	global_load_dword v70, v[70:71], off
	s_waitcnt vmcnt(0)
	ds_write_b32 v98, v70 offset:264
	v_add_u32_e32 v70, s66, v97
	v_ashrrev_i32_e32 v71, 31, v70
	v_lshlrev_b64 v[70:71], 2, v[70:71]
	v_add_co_u32_e32 v70, vcc, s4, v70
	v_addc_co_u32_e32 v71, vcc, v100, v71, vcc
	global_load_dword v70, v[70:71], off
	s_waitcnt vmcnt(0)
	ds_write_b32 v98, v70 offset:528
	;; [unrolled: 8-line block ×14, first 2 shown]
	v_add_u32_e32 v70, s79, v97
	v_ashrrev_i32_e32 v71, 31, v70
	v_lshlrev_b64 v[70:71], 2, v[70:71]
	v_add_co_u32_e32 v70, vcc, s4, v70
	v_addc_co_u32_e32 v71, vcc, v100, v71, vcc
	global_load_dword v70, v[70:71], off
	v_add_co_u32_e32 v90, vcc, v24, v16
	v_addc_co_u32_e32 v91, vcc, 0, v23, vcc
	s_waitcnt vmcnt(0)
	ds_write_b32 v98, v70 offset:3960
	ds_read_b64 v[88:89], v99
	ds_read_b64 v[86:87], v99 offset:32
	ds_read_b64 v[84:85], v99 offset:64
	;; [unrolled: 1-line block ×7, first 2 shown]
	global_load_dword v90, v[90:91], off
	s_waitcnt vmcnt(0)
	ds_write_b32 v98, v90
	v_add_co_u32_e32 v90, vcc, v22, v16
	v_addc_co_u32_e32 v91, vcc, 0, v21, vcc
	global_load_dword v90, v[90:91], off
	s_waitcnt vmcnt(0)
	ds_write_b32 v98, v90 offset:264
	v_add_u32_e32 v90, s6, v97
	v_ashrrev_i32_e32 v91, 31, v90
	v_lshlrev_b64 v[90:91], 2, v[90:91]
	v_add_co_u32_e32 v90, vcc, s5, v90
	v_addc_co_u32_e32 v91, vcc, v101, v91, vcc
	global_load_dword v90, v[90:91], off
	s_waitcnt vmcnt(0)
	ds_write_b32 v98, v90 offset:528
	v_add_u32_e32 v90, s12, v97
	v_ashrrev_i32_e32 v91, 31, v90
	v_lshlrev_b64 v[90:91], 2, v[90:91]
	v_add_co_u32_e32 v90, vcc, s5, v90
	v_addc_co_u32_e32 v91, vcc, v101, v91, vcc
	global_load_dword v90, v[90:91], off
	s_waitcnt vmcnt(0)
	ds_write_b32 v98, v90 offset:792
	ds_write_b32 v98, v102 offset:1056
	;; [unrolled: 1-line block ×13, first 2 shown]
	ds_read_b64 v[92:93], v99
	ds_read_b64 v[90:91], v99 offset:32
	s_waitcnt lgkmcnt(1)
	v_mfma_f32_16x16x4f32 a[8:11], v74, v92, a[8:11]
	ds_read_b64 v[0:1], v99 offset:64
	v_add_co_u32_e32 v18, vcc, s80, v18
	v_addc_co_u32_e32 v17, vcc, 0, v17, vcc
	v_add_co_u32_e32 v20, vcc, 0x300, v20
	v_mfma_f32_16x16x4f32 a[0:3], v40, v92, a[0:3]
	v_addc_co_u32_e32 v19, vcc, 0, v19, vcc
	v_add_co_u32_e32 v22, vcc, 0x300, v22
	v_addc_co_u32_e32 v21, vcc, 0, v21, vcc
	v_add_co_u32_e32 v24, vcc, 0x300, v24
	v_mfma_f32_16x16x4f32 a[4:7], v64, v92, a[4:7]
	v_add_u32_e32 v97, 0xc0, v97
	v_addc_co_u32_e32 v23, vcc, 0, v23, vcc
	v_cmp_le_i32_e32 vcc, s9, v97
	s_or_b64 s[0:1], vcc, s[0:1]
	v_mfma_f32_16x16x4f32 a[12:15], v88, v92, a[12:15]
	v_mfma_f32_16x16x4f32 a[8:11], v75, v93, a[8:11]
	;; [unrolled: 1-line block ×5, first 2 shown]
	s_waitcnt lgkmcnt(1)
	v_mfma_f32_16x16x4f32 a[8:11], v72, v90, a[8:11]
	v_mfma_f32_16x16x4f32 a[0:3], v38, v90, a[0:3]
	;; [unrolled: 1-line block ×8, first 2 shown]
	s_waitcnt lgkmcnt(0)
	v_mfma_f32_16x16x4f32 a[8:11], v68, v0, a[8:11]
	v_mfma_f32_16x16x4f32 a[0:3], v36, v0, a[0:3]
	v_mfma_f32_16x16x4f32 a[4:7], v52, v0, a[4:7]
	v_mfma_f32_16x16x4f32 a[12:15], v84, v0, a[12:15]
	v_mfma_f32_16x16x4f32 a[8:11], v69, v1, a[8:11]
	v_mfma_f32_16x16x4f32 a[0:3], v37, v1, a[0:3]
	v_mfma_f32_16x16x4f32 a[4:7], v53, v1, a[4:7]
	v_mfma_f32_16x16x4f32 a[12:15], v85, v1, a[12:15]
	ds_read_b64 v[0:1], v99 offset:96
	s_waitcnt lgkmcnt(0)
	v_mfma_f32_16x16x4f32 a[8:11], v66, v0, a[8:11]
	v_mfma_f32_16x16x4f32 a[0:3], v34, v0, a[0:3]
	v_mfma_f32_16x16x4f32 a[4:7], v50, v0, a[4:7]
	v_mfma_f32_16x16x4f32 a[12:15], v82, v0, a[12:15]
	v_mfma_f32_16x16x4f32 a[8:11], v67, v1, a[8:11]
	v_mfma_f32_16x16x4f32 a[0:3], v35, v1, a[0:3]
	v_mfma_f32_16x16x4f32 a[4:7], v51, v1, a[4:7]
	v_mfma_f32_16x16x4f32 a[12:15], v83, v1, a[12:15]
	ds_read_b64 v[0:1], v99 offset:128
	;; [unrolled: 10-line block ×5, first 2 shown]
	s_waitcnt lgkmcnt(0)
	v_mfma_f32_16x16x4f32 a[0:3], v26, v0, a[0:3]
	v_mfma_f32_16x16x4f32 a[12:15], v27, v1, a[0:3]
	;; [unrolled: 1-line block ×8, first 2 shown]
	s_andn2_b64 exec, exec, s[0:1]
	s_cbranch_execnz .LBB83_4
; %bb.5:
	s_or_b64 exec, exec, s[0:1]
.LBB83_6:
	s_or_b64 exec, exec, s[24:25]
	s_mul_hi_i32 s1, s19, s8
	s_mul_i32 s0, s19, s8
	s_lshl_b64 s[0:1], s[0:1], 2
	v_mul_u32_u24_e32 v0, 0x308, v96
	v_lshlrev_b32_e32 v1, 2, v95
	v_or_b32_e32 v2, 12, v94
	s_mul_i32 s4, s7, s15
	s_waitcnt lgkmcnt(0)
	s_add_u32 s6, s10, s0
	v_add3_u32 v0, 0, v0, v1
	v_and_b32_e32 v1, 0x3f0, v94
	v_and_b32_e32 v2, 0x3fc, v2
	s_addc_u32 s7, s11, s1
	s_ashr_i32 s5, s4, 31
	v_add_u32_e32 v1, v0, v1
	v_add_u32_e32 v0, v0, v2
	s_lshl_b64 s[0:1], s[4:5], 2
	s_barrier
	s_movk_i32 s4, 0x308
	ds_write2_b32 v1, a12, a13 offset1:1
	ds_write_b32 v1, a14 offset:8
	ds_write_b32 v0, a15
	ds_write2_b32 v1, a8, a9 offset0:16 offset1:17
	ds_write_b32 v1, a10 offset:72
	ds_write_b32 v0, a11 offset:64
	ds_write2_b32 v1, a4, a5 offset0:32 offset1:33
	ds_write_b32 v1, a6 offset:136
	ds_write_b32 v0, a7 offset:128
	;; [unrolled: 3-line block ×3, first 2 shown]
	v_lshl_add_u32 v1, v94, 2, 0
	v_mad_u32_u24 v0, v25, s4, v1
	s_waitcnt lgkmcnt(0)
	s_barrier
	ds_read2st64_b32 v[2:3], v0 offset1:1
	ds_read_b32 v4, v0 offset:512
	v_add_u32_e32 v0, s3, v94
	s_add_u32 s0, s6, s0
	s_addc_u32 s1, s7, s1
	s_waitcnt lgkmcnt(1)
	v_add_f32_e32 v2, 0, v2
	v_add_f32_e32 v2, v2, v3
	s_waitcnt lgkmcnt(0)
	v_add_f32_e32 v6, v2, v4
	v_mad_u64_u32 v[2:3], s[4:5], v25, s2, v[0:1]
	v_mov_b32_e32 v3, 0
	v_lshlrev_b64 v[4:5], 2, v[2:3]
	v_mov_b32_e32 v2, s1
	v_add_co_u32_e32 v4, vcc, s0, v4
	v_addc_co_u32_e32 v5, vcc, v2, v5, vcc
	v_cmp_eq_u32_e32 vcc, 0, v25
	global_store_dword v[4:5], v6, off
	s_and_saveexec_b64 s[4:5], vcc
	s_cbranch_execz .LBB83_8
; %bb.7:
	v_add_u32_e32 v2, 24, v1
	ds_read2st64_b32 v[4:5], v2 offset0:9 offset1:10
	ds_read_b32 v2, v1 offset:2840
	v_mad_u64_u32 v[0:1], s[2:3], s2, 3, v[0:1]
	v_mov_b32_e32 v1, v3
	s_waitcnt lgkmcnt(1)
	v_add_f32_e32 v3, 0, v4
	v_add_f32_e32 v3, v3, v5
	v_lshlrev_b64 v[0:1], 2, v[0:1]
	s_waitcnt lgkmcnt(0)
	v_add_f32_e32 v2, v3, v2
	v_mov_b32_e32 v3, s1
	v_add_co_u32_e32 v0, vcc, s0, v0
	v_addc_co_u32_e32 v1, vcc, v3, v1, vcc
	global_store_dword v[0:1], v2, off
.LBB83_8:
	s_endpgm
	.section	.rodata,"a",@progbits
	.p2align	6, 0x0
	.amdhsa_kernel _ZL9mul_mat_fIfLi64ELi4ELi3ELb0EEvPKT_PKfPKiPfiiiiiiiiiiiiiiii
		.amdhsa_group_segment_fixed_size 0
		.amdhsa_private_segment_fixed_size 0
		.amdhsa_kernarg_size 96
		.amdhsa_user_sgpr_count 6
		.amdhsa_user_sgpr_private_segment_buffer 1
		.amdhsa_user_sgpr_dispatch_ptr 0
		.amdhsa_user_sgpr_queue_ptr 0
		.amdhsa_user_sgpr_kernarg_segment_ptr 1
		.amdhsa_user_sgpr_dispatch_id 0
		.amdhsa_user_sgpr_flat_scratch_init 0
		.amdhsa_user_sgpr_kernarg_preload_length 0
		.amdhsa_user_sgpr_kernarg_preload_offset 0
		.amdhsa_user_sgpr_private_segment_size 0
		.amdhsa_uses_dynamic_stack 0
		.amdhsa_system_sgpr_private_segment_wavefront_offset 0
		.amdhsa_system_sgpr_workgroup_id_x 1
		.amdhsa_system_sgpr_workgroup_id_y 1
		.amdhsa_system_sgpr_workgroup_id_z 1
		.amdhsa_system_sgpr_workgroup_info 0
		.amdhsa_system_vgpr_workitem_id 1
		.amdhsa_next_free_vgpr 128
		.amdhsa_next_free_sgpr 81
		.amdhsa_accum_offset 104
		.amdhsa_reserve_vcc 1
		.amdhsa_reserve_flat_scratch 0
		.amdhsa_float_round_mode_32 0
		.amdhsa_float_round_mode_16_64 0
		.amdhsa_float_denorm_mode_32 3
		.amdhsa_float_denorm_mode_16_64 3
		.amdhsa_dx10_clamp 1
		.amdhsa_ieee_mode 1
		.amdhsa_fp16_overflow 0
		.amdhsa_tg_split 0
		.amdhsa_exception_fp_ieee_invalid_op 0
		.amdhsa_exception_fp_denorm_src 0
		.amdhsa_exception_fp_ieee_div_zero 0
		.amdhsa_exception_fp_ieee_overflow 0
		.amdhsa_exception_fp_ieee_underflow 0
		.amdhsa_exception_fp_ieee_inexact 0
		.amdhsa_exception_int_div_zero 0
	.end_amdhsa_kernel
	.section	.text._ZL9mul_mat_fIfLi64ELi4ELi3ELb0EEvPKT_PKfPKiPfiiiiiiiiiiiiiiii,"axG",@progbits,_ZL9mul_mat_fIfLi64ELi4ELi3ELb0EEvPKT_PKfPKiPfiiiiiiiiiiiiiiii,comdat
.Lfunc_end83:
	.size	_ZL9mul_mat_fIfLi64ELi4ELi3ELb0EEvPKT_PKfPKiPfiiiiiiiiiiiiiiii, .Lfunc_end83-_ZL9mul_mat_fIfLi64ELi4ELi3ELb0EEvPKT_PKfPKiPfiiiiiiiiiiiiiiii
                                        ; -- End function
	.section	.AMDGPU.csdata,"",@progbits
; Kernel info:
; codeLenInByte = 5748
; NumSgprs: 85
; NumVgprs: 103
; NumAgprs: 24
; TotalNumVgprs: 128
; ScratchSize: 0
; MemoryBound: 0
; FloatMode: 240
; IeeeMode: 1
; LDSByteSize: 0 bytes/workgroup (compile time only)
; SGPRBlocks: 10
; VGPRBlocks: 15
; NumSGPRsForWavesPerEU: 85
; NumVGPRsForWavesPerEU: 128
; AccumOffset: 104
; Occupancy: 4
; WaveLimiterHint : 0
; COMPUTE_PGM_RSRC2:SCRATCH_EN: 0
; COMPUTE_PGM_RSRC2:USER_SGPR: 6
; COMPUTE_PGM_RSRC2:TRAP_HANDLER: 0
; COMPUTE_PGM_RSRC2:TGID_X_EN: 1
; COMPUTE_PGM_RSRC2:TGID_Y_EN: 1
; COMPUTE_PGM_RSRC2:TGID_Z_EN: 1
; COMPUTE_PGM_RSRC2:TIDIG_COMP_CNT: 1
; COMPUTE_PGM_RSRC3_GFX90A:ACCUM_OFFSET: 25
; COMPUTE_PGM_RSRC3_GFX90A:TG_SPLIT: 0
	.section	.text._ZL13mul_mat_f_idsIfLi64ELi4ELi4EEvPKT_PKfPKiS6_S6_Pfiiiiiiiiiiiiii15HIP_vector_typeIjLj3EES9_,"axG",@progbits,_ZL13mul_mat_f_idsIfLi64ELi4ELi4EEvPKT_PKfPKiS6_S6_Pfiiiiiiiiiiiiii15HIP_vector_typeIjLj3EES9_,comdat
	.globl	_ZL13mul_mat_f_idsIfLi64ELi4ELi4EEvPKT_PKfPKiS6_S6_Pfiiiiiiiiiiiiii15HIP_vector_typeIjLj3EES9_ ; -- Begin function _ZL13mul_mat_f_idsIfLi64ELi4ELi4EEvPKT_PKfPKiS6_S6_Pfiiiiiiiiiiiiii15HIP_vector_typeIjLj3EES9_
	.p2align	8
	.type	_ZL13mul_mat_f_idsIfLi64ELi4ELi4EEvPKT_PKfPKiS6_S6_Pfiiiiiiiiiiiiii15HIP_vector_typeIjLj3EES9_,@function
_ZL13mul_mat_f_idsIfLi64ELi4ELi4EEvPKT_PKfPKiS6_S6_Pfiiiiiiiiiiiiii15HIP_vector_typeIjLj3EES9_: ; @_ZL13mul_mat_f_idsIfLi64ELi4ELi4EEvPKT_PKfPKiS6_S6_Pfiiiiiiiiiiiiii15HIP_vector_typeIjLj3EES9_
; %bb.0:
	s_load_dwordx2 s[0:1], s[4:5], 0x20
	s_mov_b32 s34, s7
	s_ashr_i32 s35, s7, 31
	s_lshl_b64 s[2:3], s[34:35], 2
	s_waitcnt lgkmcnt(0)
	s_add_u32 s0, s0, s2
	s_addc_u32 s1, s1, s3
	s_load_dwordx2 s[26:27], s[0:1], 0x0
	s_waitcnt lgkmcnt(0)
	s_sub_i32 s33, s27, s26
	s_add_i32 s0, s33, 3
	s_ashr_i32 s1, s0, 31
	s_lshr_b32 s1, s1, 30
	s_add_i32 s0, s0, s1
	s_ashr_i32 s0, s0, 2
	s_cmp_ge_i32 s8, s0
	s_cbranch_scc1 .LBB84_23
; %bb.1:
	v_bfe_u32 v79, v0, 10, 10
	v_lshlrev_b32_e32 v80, 6, v79
	v_and_b32_e32 v78, 0x3ff, v0
	s_load_dwordx4 s[12:15], s[4:5], 0x30
	s_load_dwordx2 s[20:21], s[4:5], 0x40
	s_load_dwordx4 s[0:3], s[4:5], 0x4c
	s_load_dwordx4 s[16:19], s[4:5], 0x68
	s_load_dwordx2 s[24:25], s[4:5], 0x78
	v_add_u32_e32 v82, v80, v78
	s_ashr_i32 s27, s26, 31
	s_waitcnt lgkmcnt(0)
	v_cmp_le_i32_e32 vcc, s12, v82
	v_and_b32_e32 v81, 15, v78
                                        ; implicit-def: $sgpr3
	s_and_saveexec_b64 s[10:11], vcc
	s_xor_b64 s[10:11], exec, s[10:11]
; %bb.2:
	v_and_b32_e32 v81, 15, v78
	s_mov_b32 s3, 0
                                        ; implicit-def: $vgpr82
; %bb.3:
	s_or_saveexec_b64 s[22:23], s[10:11]
	s_load_dwordx2 s[10:11], s[4:5], 0x18
                                        ; implicit-def: $vgpr96 : SGPR spill to VGPR lane
	s_lshl_b32 s7, s6, 6
	s_lshl_b32 s6, s8, 2
	v_accvgpr_write_b32 a0, s3
	v_accvgpr_write_b32 a1, s3
	s_waitcnt lgkmcnt(0)
	v_writelane_b32 v96, s10, 0
	v_writelane_b32 v96, s11, 1
	s_load_dwordx2 s[10:11], s[4:5], 0x28
	v_accvgpr_write_b32 a2, s3
	v_accvgpr_write_b32 a3, s3
	;; [unrolled: 1-line block ×4, first 2 shown]
	s_waitcnt lgkmcnt(0)
	v_writelane_b32 v96, s10, 2
	v_writelane_b32 v96, s11, 3
	v_accvgpr_write_b32 a6, s3
	v_accvgpr_write_b32 a7, s3
	;; [unrolled: 1-line block ×10, first 2 shown]
	v_writelane_b32 v96, s22, 4
	v_writelane_b32 v96, s23, 5
	s_xor_b64 exec, exec, s[22:23]
	s_cbranch_execz .LBB84_19
; %bb.4:
	v_writelane_b32 v96, s24, 6
	v_writelane_b32 v96, s25, 7
	s_load_dwordx4 s[8:11], s[4:5], 0x0
	s_load_dwordx2 s[22:23], s[4:5], 0x10
	s_mul_i32 s4, s34, s0
	s_mul_i32 s24, s7, s15
	s_ashr_i32 s5, s4, 31
	s_ashr_i32 s25, s24, 31
	s_lshl_b64 s[24:25], s[24:25], 2
	s_lshl_b64 s[4:5], s[4:5], 2
	s_add_u32 s3, s4, s24
	s_addc_u32 s24, s5, s25
	s_waitcnt lgkmcnt(0)
	s_add_u32 s0, s3, s8
	s_addc_u32 s25, s24, s9
	s_lshl_b64 s[4:5], s[26:27], 2
	s_add_u32 s28, s22, s4
	s_addc_u32 s29, s23, s5
	s_movk_i32 s4, 0x1080
	s_cmp_lt_i32 s6, s33
	v_writelane_b32 v96, s7, 8
	v_mad_u32_u24 v0, v79, s4, 0
	s_cselect_b64 s[4:5], -1, 0
	s_ashr_i32 s7, s6, 31
	s_lshl_b64 s[22:23], s[6:7], 2
	s_add_u32 s34, s28, s22
	v_lshrrev_b32_e32 v3, 1, v78
	s_addc_u32 s35, s29, s23
	s_or_b32 s7, s6, 1
	v_lshlrev_b32_e32 v1, 2, v78
	v_mul_u32_u24_e32 v2, 0x108, v81
	v_and_b32_e32 v3, 0x1f8, v3
	s_cmp_lt_i32 s7, s33
	v_add_u32_e32 v83, v0, v1
	v_add3_u32 v84, v0, v2, v3
	s_cselect_b64 s[36:37], -1, 0
	s_or_b32 s7, s6, 2
	v_lshlrev_b32_e32 v0, 8, v79
	s_cmp_lt_i32 s7, s33
	v_mov_b32_e32 v2, s24
	v_add_co_u32_e32 v0, vcc, s3, v0
	s_cselect_b64 s[38:39], -1, 0
	s_or_b32 s7, s6, 3
	v_addc_co_u32_e32 v2, vcc, 0, v2, vcc
	s_cmp_lt_i32 s7, s33
	v_add_co_u32_e32 v0, vcc, v0, v1
	s_cselect_b64 s[40:41], -1, 0
	s_ashr_i32 s23, s15, 31
	s_mov_b32 s22, s15
	v_addc_co_u32_e32 v1, vcc, 0, v2, vcc
	s_lshl_b64 s[42:43], s[22:23], 2
	v_mov_b32_e32 v2, s9
	v_add_co_u32_e32 v12, vcc, s8, v0
	v_addc_co_u32_e32 v13, vcc, v2, v1, vcc
	s_lshl_b32 s7, s15, 1
	s_mul_i32 s44, s15, 3
	s_lshl_b32 s45, s15, 2
	s_mul_i32 s46, s15, 5
	s_mul_i32 s47, s15, 6
	;; [unrolled: 1-line block ×3, first 2 shown]
	s_lshl_b32 s49, s15, 3
	s_mul_i32 s50, s15, 9
	s_mul_i32 s51, s15, 10
	;; [unrolled: 1-line block ×7, first 2 shown]
	s_lshl_b32 s57, s15, 4
	s_mul_i32 s58, s15, 17
	s_mul_i32 s59, s15, 18
	;; [unrolled: 1-line block ×15, first 2 shown]
	s_lshl_b32 s73, s15, 5
	s_mul_i32 s74, s15, 33
	s_mul_i32 s75, s15, 34
	;; [unrolled: 1-line block ×15, first 2 shown]
	v_mov_b32_e32 v85, s25
	s_mul_i32 s89, s15, 48
	v_mov_b32_e32 v86, 0
	v_accvgpr_write_b32 a15, 0
	v_accvgpr_write_b32 a14, 0
	;; [unrolled: 1-line block ×16, first 2 shown]
	v_mov_b32_e32 v87, s43
	s_mul_i32 s43, s15, 49
	s_mul_i32 s90, s15, 50
	s_mul_i32 s91, s15, 51
	s_mul_i32 s92, s15, 52
	s_mul_i32 s93, s15, 53
	s_mul_i32 s94, s15, 54
	s_mul_i32 s95, s15, 55
	s_mul_i32 s24, s15, 56
	s_mul_i32 s25, s15, 57
	s_mul_i32 s22, s15, 58
	s_mul_i32 s23, s15, 59
	s_mul_i32 s28, s15, 60
	s_mul_i32 s29, s15, 61
	s_mul_i32 s3, s15, 62
	s_mul_i32 s15, s15, 63
	s_mov_b64 s[8:9], 0
	s_branch .LBB84_6
.LBB84_5:                               ;   in Loop: Header=BB84_6 Depth=1
	s_waitcnt vmcnt(0)
	ds_write2_b32 v83, v88, v90 offset1:66
	ds_write2_b32 v83, v89, v91 offset0:132 offset1:198
	v_add_u32_e32 v88, 0x400, v83
	ds_write2_b32 v88, v86, v86 offset0:8 offset1:74
	ds_write2_b32 v88, v86, v86 offset0:140 offset1:206
	v_add_u32_e32 v88, 0x800, v83
	ds_write2_b32 v88, v86, v86 offset0:16 offset1:82
	ds_write2_b32 v88, v86, v86 offset0:148 offset1:214
	v_add_u32_e32 v88, 0xc00, v83
	ds_write2_b32 v88, v86, v86 offset0:24 offset1:90
	ds_write2_b32 v88, v86, v86 offset0:156 offset1:222
	ds_read2_b64 v[88:91], v84 offset1:4
	v_accvgpr_write_b32 a4, v8
	v_accvgpr_write_b32 a11, v7
	;; [unrolled: 1-line block ×12, first 2 shown]
	s_waitcnt lgkmcnt(0)
	v_mfma_f32_16x16x4f32 a[0:3], v42, v88, a[0:3]
	ds_read2_b64 v[0:3], v84 offset0:8 offset1:12
	v_add_co_u32_e32 v12, vcc, 0x400, v12
	v_add_u32_e32 v82, 0x100, v82
	v_addc_co_u32_e32 v13, vcc, 0, v13, vcc
	v_cmp_le_i32_e32 vcc, s12, v82
	v_mfma_f32_16x16x4f32 a[4:7], v54, v88, a[4:7]
	s_or_b64 s[8:9], vcc, s[8:9]
	v_mfma_f32_16x16x4f32 a[8:11], v60, v88, a[8:11]
	v_mfma_f32_16x16x4f32 a[12:15], v76, v88, a[12:15]
	v_mfma_f32_16x16x4f32 a[0:3], v43, v89, a[0:3]
	v_mfma_f32_16x16x4f32 a[4:7], v55, v89, a[4:7]
	v_mfma_f32_16x16x4f32 a[8:11], v61, v89, a[8:11]
	v_mfma_f32_16x16x4f32 a[12:15], v77, v89, a[12:15]
	v_mfma_f32_16x16x4f32 a[0:3], v36, v90, a[0:3]
	v_mfma_f32_16x16x4f32 a[4:7], v50, v90, a[4:7]
	v_mfma_f32_16x16x4f32 a[8:11], v58, v90, a[8:11]
	v_mfma_f32_16x16x4f32 a[12:15], v74, v90, a[12:15]
	v_mfma_f32_16x16x4f32 a[0:3], v37, v91, a[0:3]
	v_mfma_f32_16x16x4f32 a[4:7], v51, v91, a[4:7]
	v_mfma_f32_16x16x4f32 a[8:11], v59, v91, a[8:11]
	v_mfma_f32_16x16x4f32 a[12:15], v75, v91, a[12:15]
	s_waitcnt lgkmcnt(0)
	v_mfma_f32_16x16x4f32 a[0:3], v30, v0, a[0:3]
	v_mfma_f32_16x16x4f32 a[4:7], v46, v0, a[4:7]
	;; [unrolled: 1-line block ×16, first 2 shown]
	ds_read2_b64 v[0:3], v84 offset0:16 offset1:20
	s_waitcnt lgkmcnt(0)
	v_mfma_f32_16x16x4f32 a[0:3], v22, v0, a[0:3]
	v_mfma_f32_16x16x4f32 a[4:7], v34, v0, a[4:7]
	v_mfma_f32_16x16x4f32 a[8:11], v48, v0, a[8:11]
	v_mfma_f32_16x16x4f32 a[12:15], v68, v0, a[12:15]
	v_mfma_f32_16x16x4f32 a[0:3], v23, v1, a[0:3]
	v_mfma_f32_16x16x4f32 a[4:7], v35, v1, a[4:7]
	v_mfma_f32_16x16x4f32 a[8:11], v49, v1, a[8:11]
	v_mfma_f32_16x16x4f32 a[12:15], v69, v1, a[12:15]
	v_mfma_f32_16x16x4f32 a[0:3], v18, v2, a[0:3]
	v_mfma_f32_16x16x4f32 a[4:7], v28, v2, a[4:7]
	v_mfma_f32_16x16x4f32 a[8:11], v44, v2, a[8:11]
	v_mfma_f32_16x16x4f32 a[12:15], v66, v2, a[12:15]
	v_mfma_f32_16x16x4f32 a[0:3], v19, v3, a[0:3]
	v_mfma_f32_16x16x4f32 a[4:7], v29, v3, a[4:7]
	v_mfma_f32_16x16x4f32 a[8:11], v45, v3, a[8:11]
	v_mfma_f32_16x16x4f32 a[12:15], v67, v3, a[12:15]
	ds_read2_b64 v[0:3], v84 offset0:24 offset1:28
	s_waitcnt lgkmcnt(0)
	v_mfma_f32_16x16x4f32 a[0:3], v16, v0, a[0:3]
	v_mfma_f32_16x16x4f32 a[4:7], v24, v0, a[4:7]
	;; [unrolled: 1-line block ×16, first 2 shown]
	s_andn2_b64 exec, exec, s[8:9]
	s_cbranch_execz .LBB84_18
.LBB84_6:                               ; =>This Inner Loop Header: Depth=1
	v_add_co_u32_e32 v0, vcc, s42, v12
	v_addc_co_u32_e32 v1, vcc, v13, v87, vcc
	global_load_dword v18, v[12:13], off
	global_load_dword v19, v[0:1], off
	v_add_u32_e32 v0, s7, v82
	v_ashrrev_i32_e32 v1, 31, v0
	v_lshlrev_b64 v[0:1], 2, v[0:1]
	v_add_u32_e32 v2, s44, v82
	v_add_co_u32_e32 v0, vcc, s0, v0
	v_ashrrev_i32_e32 v3, 31, v2
	v_addc_co_u32_e32 v1, vcc, v85, v1, vcc
	v_lshlrev_b64 v[2:3], 2, v[2:3]
	v_add_u32_e32 v4, s45, v82
	v_add_co_u32_e32 v2, vcc, s0, v2
	v_ashrrev_i32_e32 v5, 31, v4
	v_addc_co_u32_e32 v3, vcc, v85, v3, vcc
	;; [unrolled: 5-line block ×5, first 2 shown]
	v_lshlrev_b64 v[10:11], 2, v[10:11]
	v_add_co_u32_e32 v10, vcc, s0, v10
	v_addc_co_u32_e32 v11, vcc, v85, v11, vcc
	global_load_dword v20, v[0:1], off
	global_load_dword v21, v[2:3], off
	;; [unrolled: 1-line block ×6, first 2 shown]
	v_add_u32_e32 v14, s49, v82
	v_ashrrev_i32_e32 v15, 31, v14
	v_add_u32_e32 v16, s50, v82
	v_lshlrev_b64 v[14:15], 2, v[14:15]
	v_ashrrev_i32_e32 v17, 31, v16
	v_add_co_u32_e32 v14, vcc, s0, v14
	v_lshlrev_b64 v[16:17], 2, v[16:17]
	v_addc_co_u32_e32 v15, vcc, v85, v15, vcc
	v_add_co_u32_e32 v16, vcc, s0, v16
	v_addc_co_u32_e32 v17, vcc, v85, v17, vcc
	v_add_u32_e32 v26, s56, v82
	v_ashrrev_i32_e32 v27, 31, v26
	v_lshlrev_b64 v[26:27], 2, v[26:27]
	v_add_u32_e32 v28, s57, v82
	v_ashrrev_i32_e32 v29, 31, v28
	v_lshlrev_b64 v[28:29], 2, v[28:29]
	;; [unrolled: 3-line block ×6, first 2 shown]
	s_waitcnt vmcnt(7)
	ds_write_b32 v83, v18
	s_waitcnt vmcnt(6)
	ds_write_b32 v83, v19 offset:264
	global_load_dword v14, v[14:15], off
	s_nop 0
	global_load_dword v15, v[16:17], off
	v_add_u32_e32 v16, s51, v82
	v_ashrrev_i32_e32 v17, 31, v16
	v_lshlrev_b64 v[16:17], 2, v[16:17]
	v_add_u32_e32 v18, s52, v82
	v_add_co_u32_e32 v16, vcc, s0, v16
	v_ashrrev_i32_e32 v19, 31, v18
	v_addc_co_u32_e32 v17, vcc, v85, v17, vcc
	v_lshlrev_b64 v[18:19], 2, v[18:19]
	s_waitcnt vmcnt(7)
	ds_write_b32 v83, v20 offset:528
	s_waitcnt vmcnt(6)
	ds_write_b32 v83, v21 offset:792
	;; [unrolled: 2-line block ×6, first 2 shown]
	v_add_u32_e32 v20, s53, v82
	v_add_co_u32_e32 v18, vcc, s0, v18
	v_ashrrev_i32_e32 v21, 31, v20
	v_addc_co_u32_e32 v19, vcc, v85, v19, vcc
	v_lshlrev_b64 v[20:21], 2, v[20:21]
	v_add_u32_e32 v22, s54, v82
	v_add_co_u32_e32 v20, vcc, s0, v20
	v_ashrrev_i32_e32 v23, 31, v22
	v_addc_co_u32_e32 v21, vcc, v85, v21, vcc
	v_lshlrev_b64 v[22:23], 2, v[22:23]
	;; [unrolled: 5-line block ×3, first 2 shown]
	v_add_co_u32_e32 v24, vcc, s0, v24
	v_addc_co_u32_e32 v25, vcc, v85, v25, vcc
	v_add_co_u32_e32 v26, vcc, s0, v26
	v_addc_co_u32_e32 v27, vcc, v85, v27, vcc
	;; [unrolled: 2-line block ×4, first 2 shown]
	global_load_dword v16, v[16:17], off
	s_nop 0
	global_load_dword v17, v[18:19], off
	s_nop 0
	global_load_dword v18, v[20:21], off
	global_load_dword v19, v[22:23], off
	s_nop 0
	global_load_dword v22, v[24:25], off
	global_load_dword v23, v[26:27], off
	;; [unrolled: 1-line block ×4, first 2 shown]
	v_add_u32_e32 v24, s59, v82
	v_ashrrev_i32_e32 v25, 31, v24
	v_lshlrev_b64 v[24:25], 2, v[24:25]
	v_add_u32_e32 v26, s60, v82
	v_add_co_u32_e32 v24, vcc, s0, v24
	v_ashrrev_i32_e32 v27, 31, v26
	v_addc_co_u32_e32 v25, vcc, v85, v25, vcc
	v_lshlrev_b64 v[26:27], 2, v[26:27]
	v_add_u32_e32 v28, s61, v82
	v_add_co_u32_e32 v26, vcc, s0, v26
	v_ashrrev_i32_e32 v29, 31, v28
	v_addc_co_u32_e32 v27, vcc, v85, v27, vcc
	;; [unrolled: 5-line block ×3, first 2 shown]
	v_lshlrev_b64 v[30:31], 2, v[30:31]
	v_add_co_u32_e32 v30, vcc, s0, v30
	v_addc_co_u32_e32 v31, vcc, v85, v31, vcc
	v_add_co_u32_e32 v32, vcc, s0, v32
	v_addc_co_u32_e32 v33, vcc, v85, v33, vcc
	;; [unrolled: 2-line block ×3, first 2 shown]
	v_add_u32_e32 v38, s66, v82
	v_add_co_u32_e32 v36, vcc, s0, v36
	v_ashrrev_i32_e32 v39, 31, v38
	v_addc_co_u32_e32 v37, vcc, v85, v37, vcc
	v_lshlrev_b64 v[38:39], 2, v[38:39]
	v_add_co_u32_e32 v38, vcc, s0, v38
	v_addc_co_u32_e32 v39, vcc, v85, v39, vcc
	global_load_dword v24, v[24:25], off
	s_nop 0
	global_load_dword v25, v[26:27], off
	s_nop 0
	;; [unrolled: 2-line block ×6, first 2 shown]
	global_load_dword v34, v[36:37], off
	global_load_dword v35, v[38:39], off
	v_add_u32_e32 v26, s67, v82
	v_ashrrev_i32_e32 v27, 31, v26
	v_lshlrev_b64 v[26:27], 2, v[26:27]
	v_add_u32_e32 v30, s68, v82
	v_add_co_u32_e32 v26, vcc, s0, v26
	v_ashrrev_i32_e32 v31, 31, v30
	v_addc_co_u32_e32 v27, vcc, v85, v27, vcc
	v_lshlrev_b64 v[30:31], 2, v[30:31]
	v_add_u32_e32 v36, s69, v82
	v_add_co_u32_e32 v30, vcc, s0, v30
	v_ashrrev_i32_e32 v37, 31, v36
	v_addc_co_u32_e32 v31, vcc, v85, v31, vcc
	;; [unrolled: 5-line block ×4, first 2 shown]
	v_lshlrev_b64 v[40:41], 2, v[40:41]
	v_add_co_u32_e32 v42, vcc, s0, v40
	v_add_u32_e32 v40, s72, v82
	v_addc_co_u32_e32 v43, vcc, v85, v41, vcc
	v_ashrrev_i32_e32 v41, 31, v40
	v_lshlrev_b64 v[40:41], 2, v[40:41]
	v_add_co_u32_e32 v48, vcc, s0, v40
	v_add_u32_e32 v40, s73, v82
	v_addc_co_u32_e32 v49, vcc, v85, v41, vcc
	v_ashrrev_i32_e32 v41, 31, v40
	;; [unrolled: 5-line block ×3, first 2 shown]
	v_lshlrev_b64 v[40:41], 2, v[40:41]
	v_add_co_u32_e32 v52, vcc, s0, v40
	v_addc_co_u32_e32 v53, vcc, v85, v41, vcc
	global_load_dword v40, v[26:27], off
	global_load_dword v41, v[30:31], off
	global_load_dword v44, v[36:37], off
	global_load_dword v45, v[38:39], off
	global_load_dword v46, v[42:43], off
	global_load_dword v47, v[48:49], off
	s_nop 0
	global_load_dword v38, v[50:51], off
	global_load_dword v39, v[52:53], off
	v_add_u32_e32 v26, s75, v82
	v_ashrrev_i32_e32 v27, 31, v26
	v_lshlrev_b64 v[26:27], 2, v[26:27]
	v_add_u32_e32 v30, s76, v82
	v_add_co_u32_e32 v26, vcc, s0, v26
	v_ashrrev_i32_e32 v31, 31, v30
	v_addc_co_u32_e32 v27, vcc, v85, v27, vcc
	v_lshlrev_b64 v[30:31], 2, v[30:31]
	v_add_u32_e32 v36, s77, v82
	v_add_co_u32_e32 v30, vcc, s0, v30
	v_ashrrev_i32_e32 v37, 31, v36
	v_addc_co_u32_e32 v31, vcc, v85, v31, vcc
	v_lshlrev_b64 v[36:37], 2, v[36:37]
	v_add_u32_e32 v42, s78, v82
	v_add_co_u32_e32 v36, vcc, s0, v36
	v_ashrrev_i32_e32 v43, 31, v42
	v_addc_co_u32_e32 v37, vcc, v85, v37, vcc
	v_lshlrev_b64 v[42:43], 2, v[42:43]
	v_add_u32_e32 v48, s79, v82
	v_add_co_u32_e32 v42, vcc, s0, v42
	v_ashrrev_i32_e32 v49, 31, v48
	v_addc_co_u32_e32 v43, vcc, v85, v43, vcc
	v_lshlrev_b64 v[48:49], 2, v[48:49]
	v_add_u32_e32 v50, s80, v82
	v_add_co_u32_e32 v48, vcc, s0, v48
	v_ashrrev_i32_e32 v51, 31, v50
	v_addc_co_u32_e32 v49, vcc, v85, v49, vcc
	v_lshlrev_b64 v[50:51], 2, v[50:51]
	v_add_u32_e32 v52, s81, v82
	v_add_co_u32_e32 v50, vcc, s0, v50
	v_ashrrev_i32_e32 v53, 31, v52
	v_addc_co_u32_e32 v51, vcc, v85, v51, vcc
	v_lshlrev_b64 v[52:53], 2, v[52:53]
	v_add_u32_e32 v54, s82, v82
	v_add_co_u32_e32 v52, vcc, s0, v52
	v_ashrrev_i32_e32 v55, 31, v54
	v_addc_co_u32_e32 v53, vcc, v85, v53, vcc
	v_lshlrev_b64 v[54:55], 2, v[54:55]
	v_add_co_u32_e32 v54, vcc, s0, v54
	v_addc_co_u32_e32 v55, vcc, v85, v55, vcc
	global_load_dword v56, v[26:27], off
	global_load_dword v57, v[30:31], off
	global_load_dword v58, v[36:37], off
	global_load_dword v59, v[42:43], off
	global_load_dword v60, v[48:49], off
	global_load_dword v61, v[50:51], off
	global_load_dword v62, v[52:53], off
	global_load_dword v63, v[54:55], off
	v_add_u32_e32 v26, s83, v82
	v_ashrrev_i32_e32 v27, 31, v26
	v_lshlrev_b64 v[26:27], 2, v[26:27]
	v_add_u32_e32 v30, s84, v82
	v_add_co_u32_e32 v26, vcc, s0, v26
	v_ashrrev_i32_e32 v31, 31, v30
	v_addc_co_u32_e32 v27, vcc, v85, v27, vcc
	v_lshlrev_b64 v[30:31], 2, v[30:31]
	v_add_u32_e32 v36, s85, v82
	v_add_co_u32_e32 v30, vcc, s0, v30
	v_ashrrev_i32_e32 v37, 31, v36
	v_addc_co_u32_e32 v31, vcc, v85, v31, vcc
	v_lshlrev_b64 v[36:37], 2, v[36:37]
	v_add_u32_e32 v42, s86, v82
	v_add_co_u32_e32 v36, vcc, s0, v36
	v_ashrrev_i32_e32 v43, 31, v42
	v_addc_co_u32_e32 v37, vcc, v85, v37, vcc
	v_lshlrev_b64 v[42:43], 2, v[42:43]
	v_add_u32_e32 v48, s87, v82
	v_add_co_u32_e32 v42, vcc, s0, v42
	v_ashrrev_i32_e32 v49, 31, v48
	v_addc_co_u32_e32 v43, vcc, v85, v43, vcc
	v_lshlrev_b64 v[48:49], 2, v[48:49]
	v_add_u32_e32 v50, s88, v82
	v_add_co_u32_e32 v48, vcc, s0, v48
	v_ashrrev_i32_e32 v51, 31, v50
	v_addc_co_u32_e32 v49, vcc, v85, v49, vcc
	v_lshlrev_b64 v[50:51], 2, v[50:51]
	v_add_u32_e32 v52, s89, v82
	v_add_co_u32_e32 v50, vcc, s0, v50
	v_ashrrev_i32_e32 v53, 31, v52
	v_addc_co_u32_e32 v51, vcc, v85, v51, vcc
	v_lshlrev_b64 v[52:53], 2, v[52:53]
	v_add_u32_e32 v54, s43, v82
	v_add_co_u32_e32 v52, vcc, s0, v52
	v_ashrrev_i32_e32 v55, 31, v54
	v_addc_co_u32_e32 v53, vcc, v85, v53, vcc
	v_lshlrev_b64 v[54:55], 2, v[54:55]
	v_add_co_u32_e32 v54, vcc, s0, v54
	v_addc_co_u32_e32 v55, vcc, v85, v55, vcc
	global_load_dword v64, v[26:27], off
	global_load_dword v65, v[30:31], off
	global_load_dword v66, v[36:37], off
	global_load_dword v67, v[42:43], off
	global_load_dword v68, v[48:49], off
	global_load_dword v69, v[50:51], off
	;; [unrolled: 48-line block ×3, first 2 shown]
	global_load_dword v88, v[52:53], off
	global_load_dword v89, v[54:55], off
	v_add_u32_e32 v26, s22, v82
	v_ashrrev_i32_e32 v27, 31, v26
	v_lshlrev_b64 v[26:27], 2, v[26:27]
	v_add_u32_e32 v30, s23, v82
	v_add_co_u32_e32 v26, vcc, s0, v26
	v_ashrrev_i32_e32 v31, 31, v30
	v_addc_co_u32_e32 v27, vcc, v85, v27, vcc
	v_lshlrev_b64 v[30:31], 2, v[30:31]
	v_add_u32_e32 v36, s28, v82
	v_add_co_u32_e32 v30, vcc, s0, v30
	v_ashrrev_i32_e32 v37, 31, v36
	v_addc_co_u32_e32 v31, vcc, v85, v31, vcc
	;; [unrolled: 5-line block ×5, first 2 shown]
	v_lshlrev_b64 v[50:51], 2, v[50:51]
	v_add_co_u32_e32 v50, vcc, s0, v50
	v_addc_co_u32_e32 v51, vcc, v85, v51, vcc
	global_load_dword v90, v[26:27], off
	global_load_dword v91, v[30:31], off
	global_load_dword v92, v[36:37], off
	global_load_dword v93, v[42:43], off
	global_load_dword v94, v[48:49], off
	global_load_dword v95, v[50:51], off
	s_waitcnt vmcnt(55)
	ds_write_b32 v83, v14 offset:2112
	s_waitcnt vmcnt(54)
	ds_write_b32 v83, v15 offset:2376
	s_waitcnt vmcnt(53)
	ds_write_b32 v83, v16 offset:2640
	s_waitcnt vmcnt(52)
	ds_write_b32 v83, v17 offset:2904
	s_waitcnt vmcnt(51)
	ds_write_b32 v83, v18 offset:3168
	s_waitcnt vmcnt(50)
	ds_write_b32 v83, v19 offset:3432
	s_waitcnt vmcnt(49)
	ds_write_b32 v83, v22 offset:3696
	s_waitcnt vmcnt(48)
	ds_write_b32 v83, v23 offset:3960
	ds_read_b64 v[42:43], v84
	ds_read_b64 v[36:37], v84 offset:32
	ds_read_b64 v[30:31], v84 offset:64
	ds_read_b64 v[26:27], v84 offset:96
	ds_read_b64 v[22:23], v84 offset:128
	ds_read_b64 v[18:19], v84 offset:160
	ds_read_b64 v[16:17], v84 offset:192
	ds_read_b64 v[14:15], v84 offset:224
	s_waitcnt vmcnt(47)
	ds_write_b32 v83, v20
	s_waitcnt vmcnt(46)
	ds_write_b32 v83, v21 offset:264
	s_waitcnt vmcnt(45)
	ds_write_b32 v83, v24 offset:528
	s_waitcnt vmcnt(44)
	ds_write_b32 v83, v25 offset:792
	s_waitcnt vmcnt(43)
	ds_write_b32 v83, v28 offset:1056
	s_waitcnt vmcnt(42)
	ds_write_b32 v83, v29 offset:1320
	s_waitcnt vmcnt(41)
	ds_write_b32 v83, v32 offset:1584
	s_waitcnt vmcnt(40)
	ds_write_b32 v83, v33 offset:1848
	s_waitcnt vmcnt(39)
	ds_write_b32 v83, v34 offset:2112
	s_waitcnt vmcnt(38)
	ds_write_b32 v83, v35 offset:2376
	s_waitcnt vmcnt(37)
	ds_write_b32 v83, v40 offset:2640
	s_waitcnt vmcnt(36)
	ds_write_b32 v83, v41 offset:2904
	s_waitcnt vmcnt(35)
	ds_write_b32 v83, v44 offset:3168
	s_waitcnt vmcnt(34)
	ds_write_b32 v83, v45 offset:3432
	s_waitcnt vmcnt(33)
	ds_write_b32 v83, v46 offset:3696
	s_waitcnt vmcnt(32)
	ds_write_b32 v83, v47 offset:3960
	ds_read_b64 v[54:55], v84
	ds_read_b64 v[50:51], v84 offset:32
	ds_read_b64 v[46:47], v84 offset:64
	ds_read_b64 v[40:41], v84 offset:96
	ds_read_b64 v[34:35], v84 offset:128
	ds_read_b64 v[28:29], v84 offset:160
	ds_read_b64 v[24:25], v84 offset:192
	ds_read_b64 v[20:21], v84 offset:224
	s_waitcnt vmcnt(31)
	ds_write_b32 v83, v38
	s_waitcnt vmcnt(30)
	ds_write_b32 v83, v39 offset:264
	s_waitcnt vmcnt(29)
	ds_write_b32 v83, v56 offset:528
	s_waitcnt vmcnt(28)
	ds_write_b32 v83, v57 offset:792
	s_waitcnt vmcnt(27)
	ds_write_b32 v83, v58 offset:1056
	s_waitcnt vmcnt(26)
	ds_write_b32 v83, v59 offset:1320
	s_waitcnt vmcnt(25)
	ds_write_b32 v83, v60 offset:1584
	s_waitcnt vmcnt(24)
	ds_write_b32 v83, v61 offset:1848
	;; [unrolled: 40-line block ×3, first 2 shown]
	s_waitcnt vmcnt(7)
	ds_write_b32 v83, v88 offset:2112
	s_waitcnt vmcnt(6)
	ds_write_b32 v83, v89 offset:2376
	;; [unrolled: 2-line block ×8, first 2 shown]
	ds_read_b64 v[76:77], v84
	ds_read_b64 v[74:75], v84 offset:32
	ds_read_b64 v[72:73], v84 offset:64
	;; [unrolled: 1-line block ×7, first 2 shown]
	v_accvgpr_read_b32 v3, a15
	v_accvgpr_read_b32 v2, a14
	;; [unrolled: 1-line block ×12, first 2 shown]
	s_andn2_b64 vcc, exec, s[4:5]
	v_mov_b32_e32 v88, 0
	s_cbranch_vccnz .LBB84_9
; %bb.7:                                ;   in Loop: Header=BB84_6 Depth=1
	s_load_dword vcc_lo, s[34:35], 0x0
	v_mov_b32_e32 v88, 0
	s_waitcnt lgkmcnt(0)
	s_mul_hi_u32 vcc_hi, vcc_lo, s16
	s_add_i32 vcc_hi, vcc_lo, vcc_hi
	s_lshr_b32 s30, vcc_hi, s17
	s_cmp_ge_i32 s30, s13
	s_cbranch_scc1 .LBB84_9
; %bb.8:                                ;   in Loop: Header=BB84_6 Depth=1
	s_mul_i32 vcc_hi, s30, s18
	s_sub_i32 s31, vcc_lo, vcc_hi
	s_mul_i32 s31, s31, s1
	s_mul_i32 s30, s30, s20
	s_add_i32 s30, s30, s31
	v_add_u32_e32 v88, s30, v82
	v_ashrrev_i32_e32 v89, 31, v88
	v_lshlrev_b64 v[88:89], 2, v[88:89]
	v_mov_b32_e32 v90, s11
	v_add_co_u32_e32 v88, vcc, s10, v88
	v_addc_co_u32_e32 v89, vcc, v90, v89, vcc
	global_load_dword v88, v[88:89], off
.LBB84_9:                               ;   in Loop: Header=BB84_6 Depth=1
	s_andn2_b64 vcc, exec, s[36:37]
	v_mov_b32_e32 v89, 0
	v_mov_b32_e32 v90, 0
	s_cbranch_vccnz .LBB84_12
; %bb.10:                               ;   in Loop: Header=BB84_6 Depth=1
	s_load_dword vcc_lo, s[34:35], 0x4
	v_mov_b32_e32 v90, 0
	s_waitcnt lgkmcnt(0)
	s_mul_hi_u32 s30, vcc_lo, s16
	s_add_i32 s30, vcc_lo, s30
	s_lshr_b32 vcc_hi, s30, s17
	s_cmp_ge_i32 vcc_hi, s13
	s_cbranch_scc1 .LBB84_12
; %bb.11:                               ;   in Loop: Header=BB84_6 Depth=1
	s_mul_i32 s30, vcc_hi, s18
	s_sub_i32 s30, vcc_lo, s30
	s_mul_i32 s30, s30, s1
	s_mul_i32 s31, vcc_hi, s20
	s_add_i32 s31, s31, s30
	v_add_u32_e32 v90, s31, v82
	v_ashrrev_i32_e32 v91, 31, v90
	v_lshlrev_b64 v[90:91], 2, v[90:91]
	v_mov_b32_e32 v92, s11
	v_add_co_u32_e32 v90, vcc, s10, v90
	v_addc_co_u32_e32 v91, vcc, v92, v91, vcc
	global_load_dword v90, v[90:91], off
.LBB84_12:                              ;   in Loop: Header=BB84_6 Depth=1
	s_andn2_b64 vcc, exec, s[38:39]
	s_cbranch_vccnz .LBB84_15
; %bb.13:                               ;   in Loop: Header=BB84_6 Depth=1
	s_load_dword vcc_lo, s[34:35], 0x8
	v_mov_b32_e32 v89, 0
	s_waitcnt lgkmcnt(0)
	s_mul_hi_u32 s30, vcc_lo, s16
	s_add_i32 s30, vcc_lo, s30
	s_lshr_b32 vcc_hi, s30, s17
	s_cmp_ge_i32 vcc_hi, s13
	s_cbranch_scc1 .LBB84_15
; %bb.14:                               ;   in Loop: Header=BB84_6 Depth=1
	s_mul_i32 s30, vcc_hi, s18
	s_sub_i32 s30, vcc_lo, s30
	s_mul_i32 s30, s30, s1
	s_mul_i32 s31, vcc_hi, s20
	s_add_i32 s31, s31, s30
	v_add_u32_e32 v92, s31, v82
	v_ashrrev_i32_e32 v93, 31, v92
	v_lshlrev_b64 v[92:93], 2, v[92:93]
	v_mov_b32_e32 v89, s11
	v_add_co_u32_e32 v92, vcc, s10, v92
	v_addc_co_u32_e32 v93, vcc, v89, v93, vcc
	global_load_dword v89, v[92:93], off
.LBB84_15:                              ;   in Loop: Header=BB84_6 Depth=1
	s_andn2_b64 vcc, exec, s[40:41]
	v_mov_b32_e32 v91, 0
	s_cbranch_vccnz .LBB84_5
; %bb.16:                               ;   in Loop: Header=BB84_6 Depth=1
	s_load_dword vcc_lo, s[34:35], 0xc
	v_mov_b32_e32 v91, 0
	s_waitcnt lgkmcnt(0)
	s_mul_hi_u32 s30, vcc_lo, s16
	s_add_i32 s30, vcc_lo, s30
	s_lshr_b32 vcc_hi, s30, s17
	s_cmp_ge_i32 vcc_hi, s13
	s_cbranch_scc1 .LBB84_5
; %bb.17:                               ;   in Loop: Header=BB84_6 Depth=1
	s_mul_i32 s30, vcc_hi, s18
	s_sub_i32 s30, vcc_lo, s30
	s_mul_i32 s30, s30, s1
	s_mul_i32 s31, vcc_hi, s20
	s_add_i32 s31, s31, s30
	v_add_u32_e32 v92, s31, v82
	v_ashrrev_i32_e32 v93, 31, v92
	v_lshlrev_b64 v[92:93], 2, v[92:93]
	v_mov_b32_e32 v91, s11
	v_add_co_u32_e32 v92, vcc, s10, v92
	v_addc_co_u32_e32 v93, vcc, v91, v93, vcc
	global_load_dword v91, v[92:93], off
	s_branch .LBB84_5
.LBB84_18:
	s_or_b64 exec, exec, s[8:9]
	v_readlane_b32 s24, v96, 6
	v_readlane_b32 s25, v96, 7
	;; [unrolled: 1-line block ×3, first 2 shown]
.LBB84_19:
	v_readlane_b32 s0, v96, 4
	v_readlane_b32 s1, v96, 5
	s_or_b64 exec, exec, s[0:1]
	v_mul_u32_u24_e32 v0, 0x408, v81
	v_lshlrev_b32_e32 v1, 2, v80
	v_or_b32_e32 v2, 12, v78
	v_add3_u32 v0, 0, v0, v1
	v_and_b32_e32 v1, 0x3f0, v78
	v_and_b32_e32 v2, 0x3fc, v2
	v_add_u32_e32 v1, v0, v1
	v_add_u32_e32 v0, v0, v2
	v_cmp_gt_u32_e32 vcc, 4, v79
	s_barrier
	ds_write2_b32 v1, a0, a1 offset1:1
	ds_write_b32 v1, a2 offset:8
	ds_write_b32 v0, a3
	ds_write2_b32 v1, a4, a5 offset0:16 offset1:17
	ds_write_b32 v1, a6 offset:72
	ds_write_b32 v0, a7 offset:64
	ds_write2_b32 v1, a8, a9 offset0:32 offset1:33
	ds_write_b32 v1, a10 offset:136
	ds_write_b32 v0, a11 offset:128
	;; [unrolled: 3-line block ×3, first 2 shown]
	s_waitcnt lgkmcnt(0)
	s_barrier
	s_and_saveexec_b64 s[0:1], vcc
	s_cbranch_execz .LBB84_23
; %bb.20:
	v_add_u32_e32 v0, s6, v79
	s_cmp_gt_i32 s14, 0
	v_cmp_gt_i32_e32 vcc, s33, v0
	s_cselect_b64 s[0:1], -1, 0
	s_and_b64 s[0:1], s[0:1], vcc
	s_and_b64 exec, exec, s[0:1]
	s_cbranch_execz .LBB84_23
; %bb.21:
	s_lshl_b64 s[0:1], s[26:27], 2
	v_readlane_b32 s4, v96, 0
	v_readlane_b32 s5, v96, 1
	s_add_u32 s0, s4, s0
	v_ashrrev_i32_e32 v1, 31, v0
	s_addc_u32 s1, s5, s1
	v_lshlrev_b64 v[0:1], 2, v[0:1]
	v_mov_b32_e32 v2, s1
	v_add_co_u32_e32 v0, vcc, s0, v0
	v_addc_co_u32_e32 v1, vcc, v2, v1, vcc
	global_load_dword v1, v[0:1], off
	s_waitcnt vmcnt(0)
	v_mul_hi_u32 v0, v1, s19
	v_add_u32_e32 v0, v1, v0
	v_lshrrev_b32_e32 v0, s24, v0
	v_cmp_gt_i32_e32 vcc, s13, v0
	s_and_b64 exec, exec, vcc
	s_cbranch_execz .LBB84_23
; %bb.22:
	v_mul_u32_u24_e32 v2, 0x408, v79
	v_lshlrev_b32_e32 v3, 2, v78
	v_add3_u32 v4, 0, v2, v3
	ds_read2st64_b32 v[2:3], v4 offset1:1
	ds_read2st64_b32 v[4:5], v4 offset0:2 offset1:3
	v_mul_lo_u32 v6, v0, s25
	v_sub_u32_e32 v1, v1, v6
	v_mul_lo_u32 v1, v1, s2
	s_waitcnt lgkmcnt(1)
	v_add_f32_e32 v2, 0, v2
	v_add_f32_e32 v2, v2, v3
	v_mul_lo_u32 v0, v0, s21
	v_add_u32_e32 v3, s7, v78
	v_add3_u32 v0, v3, v0, v1
	v_mov_b32_e32 v1, 0
	v_readlane_b32 s0, v96, 2
	v_lshlrev_b64 v[0:1], 2, v[0:1]
	v_readlane_b32 s1, v96, 3
	s_waitcnt lgkmcnt(0)
	v_add_f32_e32 v2, v2, v4
	v_mov_b32_e32 v3, s1
	v_add_co_u32_e32 v0, vcc, s0, v0
	v_add_f32_e32 v2, v2, v5
	v_addc_co_u32_e32 v1, vcc, v3, v1, vcc
	global_store_dword v[0:1], v2, off
.LBB84_23:
	s_endpgm
	.section	.rodata,"a",@progbits
	.p2align	6, 0x0
	.amdhsa_kernel _ZL13mul_mat_f_idsIfLi64ELi4ELi4EEvPKT_PKfPKiS6_S6_Pfiiiiiiiiiiiiii15HIP_vector_typeIjLj3EES9_
		.amdhsa_group_segment_fixed_size 0
		.amdhsa_private_segment_fixed_size 0
		.amdhsa_kernarg_size 128
		.amdhsa_user_sgpr_count 6
		.amdhsa_user_sgpr_private_segment_buffer 1
		.amdhsa_user_sgpr_dispatch_ptr 0
		.amdhsa_user_sgpr_queue_ptr 0
		.amdhsa_user_sgpr_kernarg_segment_ptr 1
		.amdhsa_user_sgpr_dispatch_id 0
		.amdhsa_user_sgpr_flat_scratch_init 0
		.amdhsa_user_sgpr_kernarg_preload_length 0
		.amdhsa_user_sgpr_kernarg_preload_offset 0
		.amdhsa_user_sgpr_private_segment_size 0
		.amdhsa_uses_dynamic_stack 0
		.amdhsa_system_sgpr_private_segment_wavefront_offset 0
		.amdhsa_system_sgpr_workgroup_id_x 1
		.amdhsa_system_sgpr_workgroup_id_y 1
		.amdhsa_system_sgpr_workgroup_id_z 1
		.amdhsa_system_sgpr_workgroup_info 0
		.amdhsa_system_vgpr_workitem_id 1
		.amdhsa_next_free_vgpr 116
		.amdhsa_next_free_sgpr 96
		.amdhsa_accum_offset 100
		.amdhsa_reserve_vcc 1
		.amdhsa_reserve_flat_scratch 0
		.amdhsa_float_round_mode_32 0
		.amdhsa_float_round_mode_16_64 0
		.amdhsa_float_denorm_mode_32 3
		.amdhsa_float_denorm_mode_16_64 3
		.amdhsa_dx10_clamp 1
		.amdhsa_ieee_mode 1
		.amdhsa_fp16_overflow 0
		.amdhsa_tg_split 0
		.amdhsa_exception_fp_ieee_invalid_op 0
		.amdhsa_exception_fp_denorm_src 0
		.amdhsa_exception_fp_ieee_div_zero 0
		.amdhsa_exception_fp_ieee_overflow 0
		.amdhsa_exception_fp_ieee_underflow 0
		.amdhsa_exception_fp_ieee_inexact 0
		.amdhsa_exception_int_div_zero 0
	.end_amdhsa_kernel
	.section	.text._ZL13mul_mat_f_idsIfLi64ELi4ELi4EEvPKT_PKfPKiS6_S6_Pfiiiiiiiiiiiiii15HIP_vector_typeIjLj3EES9_,"axG",@progbits,_ZL13mul_mat_f_idsIfLi64ELi4ELi4EEvPKT_PKfPKiS6_S6_Pfiiiiiiiiiiiiii15HIP_vector_typeIjLj3EES9_,comdat
.Lfunc_end84:
	.size	_ZL13mul_mat_f_idsIfLi64ELi4ELi4EEvPKT_PKfPKiS6_S6_Pfiiiiiiiiiiiiii15HIP_vector_typeIjLj3EES9_, .Lfunc_end84-_ZL13mul_mat_f_idsIfLi64ELi4ELi4EEvPKT_PKfPKiS6_S6_Pfiiiiiiiiiiiiii15HIP_vector_typeIjLj3EES9_
                                        ; -- End function
	.section	.AMDGPU.csdata,"",@progbits
; Kernel info:
; codeLenInByte = 5904
; NumSgprs: 100
; NumVgprs: 97
; NumAgprs: 16
; TotalNumVgprs: 116
; ScratchSize: 0
; MemoryBound: 0
; FloatMode: 240
; IeeeMode: 1
; LDSByteSize: 0 bytes/workgroup (compile time only)
; SGPRBlocks: 12
; VGPRBlocks: 14
; NumSGPRsForWavesPerEU: 100
; NumVGPRsForWavesPerEU: 116
; AccumOffset: 100
; Occupancy: 4
; WaveLimiterHint : 1
; COMPUTE_PGM_RSRC2:SCRATCH_EN: 0
; COMPUTE_PGM_RSRC2:USER_SGPR: 6
; COMPUTE_PGM_RSRC2:TRAP_HANDLER: 0
; COMPUTE_PGM_RSRC2:TGID_X_EN: 1
; COMPUTE_PGM_RSRC2:TGID_Y_EN: 1
; COMPUTE_PGM_RSRC2:TGID_Z_EN: 1
; COMPUTE_PGM_RSRC2:TIDIG_COMP_CNT: 1
; COMPUTE_PGM_RSRC3_GFX90A:ACCUM_OFFSET: 24
; COMPUTE_PGM_RSRC3_GFX90A:TG_SPLIT: 0
	.section	.text._ZL9mul_mat_fIfLi64ELi4ELi4ELb1EEvPKT_PKfPKiPfiiiiiiiiiiiiiiii,"axG",@progbits,_ZL9mul_mat_fIfLi64ELi4ELi4ELb1EEvPKT_PKfPKiPfiiiiiiiiiiiiiiii,comdat
	.globl	_ZL9mul_mat_fIfLi64ELi4ELi4ELb1EEvPKT_PKfPKiPfiiiiiiiiiiiiiiii ; -- Begin function _ZL9mul_mat_fIfLi64ELi4ELi4ELb1EEvPKT_PKfPKiPfiiiiiiiiiiiiiiii
	.p2align	8
	.type	_ZL9mul_mat_fIfLi64ELi4ELi4ELb1EEvPKT_PKfPKiPfiiiiiiiiiiiiiiii,@function
_ZL9mul_mat_fIfLi64ELi4ELi4ELb1EEvPKT_PKfPKiPfiiiiiiiiiiiiiiii: ; @_ZL9mul_mat_fIfLi64ELi4ELi4ELb1EEvPKT_PKfPKiPfiiiiiiiiiiiiiiii
; %bb.0:
	s_load_dwordx8 s[12:19], s[4:5], 0x20
	v_bfe_u32 v13, v0, 10, 10
	v_and_b32_e32 v12, 0x3ff, v0
	v_cmp_eq_u32_e32 vcc, 0, v12
	v_mul_i32_i24_e32 v81, 0xffffef84, v13
	s_waitcnt lgkmcnt(0)
	s_add_i32 s0, s13, 3
	s_ashr_i32 s1, s0, 31
	s_lshr_b32 s1, s1, 30
	s_add_i32 s0, s0, s1
	s_ashr_i32 s0, s0, 2
	v_cvt_f32_u32_e32 v1, s0
	s_load_dwordx8 s[20:27], s[4:5], 0x44
	s_load_dword s1, s[4:5], 0x64
	s_sub_i32 s2, 0, s0
	s_add_u32 s10, s4, 0x60
	v_rcp_iflag_f32_e32 v1, v1
	s_addc_u32 s11, s5, 0
	v_mul_f32_e32 v1, 0x4f7ffffe, v1
	v_cvt_u32_f32_e32 v1, v1
	v_readfirstlane_b32 s3, v1
	s_mul_i32 s2, s2, s3
	s_mul_hi_u32 s2, s3, s2
	s_add_i32 s3, s3, s2
	s_waitcnt lgkmcnt(0)
	s_mul_hi_u32 s2, s1, s3
	s_mul_i32 s3, s2, s0
	s_sub_i32 s1, s1, s3
	s_add_i32 s9, s2, 1
	s_sub_i32 s3, s1, s0
	s_cmp_ge_u32 s1, s0
	s_cselect_b32 s2, s9, s2
	s_cselect_b32 s1, s3, s1
	s_add_i32 s3, s2, 1
	s_cmp_ge_u32 s1, s0
	s_cselect_b32 s9, s3, s2
	s_abs_i32 s27, s23
	v_cvt_f32_u32_e32 v1, s9
	v_cvt_f32_u32_e32 v2, s27
	s_sub_i32 s0, 0, s9
	s_sub_i32 s1, 0, s27
	v_rcp_iflag_f32_e32 v1, v1
	v_rcp_iflag_f32_e32 v2, v2
	s_abs_i32 s33, s8
	v_mul_f32_e32 v1, 0x4f7ffffe, v1
	v_mul_f32_e32 v2, 0x4f7ffffe, v2
	v_cvt_u32_f32_e32 v1, v1
	v_cvt_u32_f32_e32 v2, v2
	v_readfirstlane_b32 s2, v1
	v_readfirstlane_b32 s35, v2
	s_mul_i32 s0, s0, s2
	s_mul_i32 s1, s1, s35
	s_mul_hi_u32 s0, s2, s0
	s_mul_hi_u32 s1, s35, s1
	s_add_i32 s2, s2, s0
	s_movk_i32 s0, 0x1080
	v_mov_b32_e32 v1, 0x100
	s_mul_hi_u32 s34, s7, s2
	s_add_i32 s35, s35, s1
	v_mad_u32_u24 v80, v13, s0, v1
	s_and_saveexec_b64 s[0:1], vcc
	s_cbranch_execz .LBB85_2
; %bb.1:
	v_add_u32_e32 v1, v80, v81
	v_mov_b32_e32 v2, -1
	ds_write_b32 v1, v2
.LBB85_2:
	s_or_b64 exec, exec, s[0:1]
	s_mul_i32 s0, s34, s9
	s_sub_i32 s0, s7, s0
	s_mul_hi_u32 s36, s33, s35
	s_add_i32 s1, s34, 1
	s_sub_i32 s35, s0, s9
	s_cmp_ge_u32 s0, s9
	s_cselect_b32 s1, s1, s34
	s_cselect_b32 s0, s35, s0
	s_add_i32 s34, s1, 1
	s_cmp_ge_u32 s0, s9
	s_load_dwordx4 s[28:31], s[4:5], 0x0
	s_load_dwordx2 s[2:3], s[4:5], 0x18
	s_cselect_b32 s0, s34, s1
	s_mul_i32 s1, s0, s9
	s_lshl_b32 s9, s0, 2
	v_add_u32_e32 v82, s9, v13
	s_sub_i32 s7, s7, s1
	v_cmp_gt_i32_e32 vcc, s13, v82
	v_cmp_gt_i32_e64 s[0:1], s14, v12
	s_and_b64 s[0:1], vcc, s[0:1]
	v_mov_b32_e32 v1, 0
	s_and_saveexec_b64 s[34:35], s[0:1]
	s_cbranch_execz .LBB85_8
; %bb.3:
	s_load_dwordx2 s[0:1], s[4:5], 0x10
	s_mul_hi_i32 s5, s9, s19
	s_mul_i32 s4, s9, s19
	v_mul_lo_u32 v2, v13, s19
	s_lshl_b64 s[4:5], s[4:5], 2
	s_waitcnt lgkmcnt(0)
	s_add_u32 s0, s0, s4
	v_ashrrev_i32_e32 v3, 31, v2
	s_addc_u32 s1, s1, s5
	v_lshlrev_b64 v[2:3], 2, v[2:3]
	v_mov_b32_e32 v4, s1
	v_add_co_u32_e32 v1, vcc, s0, v2
	v_addc_co_u32_e32 v4, vcc, v4, v3, vcc
	v_mul_lo_u32 v2, v12, s18
	s_lshl_b32 s37, s18, 6
	s_mov_b64 s[4:5], 0
	v_mov_b32_e32 v5, 0
	v_add_u32_e32 v6, v80, v81
	v_mov_b32_e32 v7, v12
	s_branch .LBB85_5
.LBB85_4:                               ;   in Loop: Header=BB85_5 Depth=1
	s_or_b64 exec, exec, s[18:19]
	v_add_u32_e32 v7, 64, v7
	v_cmp_le_i32_e64 s[0:1], s14, v7
	s_xor_b64 s[18:19], vcc, -1
	s_or_b64 s[0:1], s[18:19], s[0:1]
	s_and_b64 s[0:1], exec, s[0:1]
	s_or_b64 s[4:5], s[0:1], s[4:5]
	v_add_u32_e32 v2, s37, v2
	s_andn2_b64 exec, exec, s[4:5]
	s_cbranch_execz .LBB85_7
.LBB85_5:                               ; =>This Inner Loop Header: Depth=1
	v_ashrrev_i32_e32 v3, 31, v2
	v_lshlrev_b64 v[8:9], 2, v[2:3]
	v_add_co_u32_e32 v8, vcc, v1, v8
	v_addc_co_u32_e32 v9, vcc, v4, v9, vcc
	global_load_dword v3, v[8:9], off
	s_waitcnt vmcnt(0)
	v_cmp_ne_u32_e32 vcc, s7, v3
	v_cmp_eq_u32_e64 s[0:1], s7, v3
	s_and_saveexec_b64 s[18:19], s[0:1]
	s_cbranch_execz .LBB85_4
; %bb.6:                                ;   in Loop: Header=BB85_5 Depth=1
	v_mov_b32_e32 v5, 1
	ds_write_b32 v6, v7
	s_branch .LBB85_4
.LBB85_7:
	s_or_b64 exec, exec, s[4:5]
	v_cmp_ne_u32_e32 vcc, 0, v5
	v_cndmask_b32_e64 v1, 0, 1, vcc
.LBB85_8:
	s_or_b64 exec, exec, s[34:35]
	s_load_dwordx2 s[0:1], s[10:11], 0xc
	v_or_b32_dpp v1, v1, v1 row_shl:1 row_mask:0xf bank_mask:0xf bound_ctrl:1
	s_ashr_i32 s4, s8, 31
	s_ashr_i32 s5, s23, 31
	v_or_b32_dpp v1, v1, v1 row_shl:2 row_mask:0xf bank_mask:0xf bound_ctrl:1
	s_waitcnt lgkmcnt(0)
	s_and_b32 s10, s1, 0xffff
	s_lshr_b32 s1, s0, 16
	s_and_b32 s0, s0, 0xffff
	s_mul_i32 s11, s1, s0
	v_or_b32_dpp v1, v1, v1 row_shl:4 row_mask:0xf bank_mask:0xf bound_ctrl:1
	s_bfe_i32 s11, s11, 0x180000
	s_mul_i32 s10, s11, s10
	v_or_b32_dpp v1, v1, v1 row_shl:8 row_mask:0xf bank_mask:0xf bound_ctrl:1
	s_add_i32 s11, s10, 63
	s_bitcmp1_b32 exec_hi, 0
	v_mov_b32_dpp v2, v1 wave_shl:1 row_mask:0xf bank_mask:0xf bound_ctrl:1
	s_nop 1
	v_or_b32_dpp v1, v2, v1 row_mirror row_mask:0xf bank_mask:0xf bound_ctrl:1
	v_readlane_b32 s10, v1, 32
	s_cselect_b32 s10, s10, 0
	v_readlane_b32 s14, v1, 0
	s_or_b32 s10, s10, s14
	s_andn2_b32 s11, s11, 63
	s_cmp_lg_u32 s11, 64
	v_mov_b32_e32 v1, s10
	s_cbranch_scc0 .LBB85_15
; %bb.9:
	v_bfe_u32 v0, v0, 20, 10
	v_mbcnt_lo_u32_b32 v1, -1, 0
	v_mad_u32_u24 v0, v0, s1, v13
	v_mbcnt_hi_u32_b32 v2, -1, v1
	v_mad_u64_u32 v[0:1], s[0:1], v0, s0, v[12:13]
	v_lshrrev_b32_e32 v1, 6, v0
	v_or_b32_e32 v1, v2, v1
	v_cmp_eq_u32_e32 vcc, 0, v1
	s_and_saveexec_b64 s[0:1], vcc
	s_cbranch_execz .LBB85_11
; %bb.10:
	v_mov_b32_e32 v1, 0
	v_mov_b32_e32 v3, s10
	ds_write_b32 v1, v3
.LBB85_11:
	s_or_b64 exec, exec, s[0:1]
	v_cmp_eq_u32_e32 vcc, 0, v2
	v_cmp_lt_u32_e64 s[0:1], 63, v0
	s_and_b64 s[18:19], s[0:1], vcc
	s_waitcnt lgkmcnt(0)
	s_barrier
	s_and_saveexec_b64 s[0:1], s[18:19]
	s_cbranch_execz .LBB85_14
; %bb.12:
	v_mbcnt_lo_u32_b32 v0, exec_lo, 0
	v_mbcnt_hi_u32_b32 v0, exec_hi, v0
	v_cmp_eq_u32_e32 vcc, 0, v0
	s_and_b64 exec, exec, vcc
	s_cbranch_execz .LBB85_14
; %bb.13:
	v_mov_b32_e32 v0, 0
	v_mov_b32_e32 v1, s10
	ds_or_b32 v0, v1
.LBB85_14:
	s_or_b64 exec, exec, s[0:1]
	v_mov_b32_e32 v0, 0
	s_waitcnt lgkmcnt(0)
	s_barrier
	ds_read_b32 v1, v0
	s_waitcnt lgkmcnt(0)
	s_barrier
.LBB85_15:
	v_cmp_ne_u32_e32 vcc, 0, v1
	s_cbranch_vccz .LBB85_42
; %bb.16:
	v_lshlrev_b32_e32 v83, 6, v13
	v_add_u32_e32 v85, v83, v12
	v_cmp_le_i32_e32 vcc, s12, v85
	v_and_b32_e32 v84, 15, v12
                                        ; implicit-def: $sgpr10
	s_and_saveexec_b64 s[0:1], vcc
	s_xor_b64 s[0:1], exec, s[0:1]
; %bb.17:
	v_and_b32_e32 v84, 15, v12
	s_mov_b32 s10, 0
                                        ; implicit-def: $vgpr85
; %bb.18:
	s_or_saveexec_b64 s[0:1], s[0:1]
	s_lshl_b32 s23, s6, 6
	v_accvgpr_write_b32 a0, s10
	v_accvgpr_write_b32 a1, s10
	;; [unrolled: 1-line block ×16, first 2 shown]
	s_xor_b64 exec, exec, s[0:1]
	s_cbranch_execz .LBB85_38
; %bb.19:
	s_xor_b32 s4, s4, s5
	s_mul_i32 s5, s36, s27
	s_sub_i32 s5, s33, s5
	s_add_i32 s6, s36, 1
	s_sub_i32 s10, s5, s27
	s_cmp_ge_u32 s5, s27
	s_cselect_b32 s6, s6, s36
	s_cselect_b32 s5, s10, s5
	s_add_i32 s10, s6, 1
	s_cmp_ge_u32 s5, s27
	s_cselect_b32 s5, s10, s6
	s_xor_b32 s5, s5, s4
	s_sub_i32 s4, s5, s4
	s_mul_hi_i32 s5, s4, s24
	s_mul_i32 s4, s4, s24
	s_mul_i32 s6, s7, s20
	s_ashr_i32 s7, s6, 31
	s_lshl_b64 s[34:35], s[4:5], 2
	s_add_u32 s4, s28, s34
	s_addc_u32 s5, s29, s35
	s_lshl_b64 s[36:37], s[6:7], 2
	s_mul_i32 s10, s23, s15
	s_add_u32 s14, s4, s36
	s_addc_u32 s18, s5, s37
	s_ashr_i32 s11, s10, 31
	s_lshl_b64 s[38:39], s[10:11], 2
	s_mul_hi_i32 s5, s25, s8
	s_mul_i32 s4, s25, s8
	s_add_u32 s20, s14, s38
	s_addc_u32 s14, s18, s39
	s_lshl_b64 s[4:5], s[4:5], 2
	s_mul_hi_i32 s7, s9, s16
	s_mul_i32 s6, s9, s16
	s_add_u32 s10, s30, s4
	s_addc_u32 s11, s31, s5
	s_lshl_b64 s[4:5], s[6:7], 2
	s_add_u32 s27, s10, s4
	s_addc_u32 s30, s11, s5
	s_cmp_lt_i32 s9, s13
	s_cselect_b64 s[4:5], -1, 0
	s_or_b32 s6, s9, 1
	s_cmp_lt_i32 s6, s13
	s_cselect_b64 s[6:7], -1, 0
	s_or_b32 s10, s9, 2
	s_cmp_lt_i32 s10, s13
	s_cselect_b64 s[10:11], -1, 0
	s_lshl_b32 s31, s16, 1
	s_or_b32 s18, s9, 3
	s_cmp_lt_i32 s18, s13
	s_cselect_b64 s[18:19], -1, 0
	s_ashr_i32 s25, s15, 31
	s_mov_b32 s24, s15
	s_lshl_b64 s[24:25], s[24:25], 2
	s_add_u32 s34, s34, s38
	s_addc_u32 s35, s35, s39
	s_add_u32 s34, s34, s36
	v_lshrrev_b32_e32 v1, 1, v12
	s_addc_u32 s35, s35, s37
	v_mul_u32_u24_e32 v0, 0x108, v84
	v_and_b32_e32 v1, 0x1f8, v1
	s_add_u32 s28, s28, s34
	v_add3_u32 v87, v80, v0, v1
	v_lshlrev_b32_e32 v0, 2, v85
	s_addc_u32 s29, s29, s35
	v_mov_b32_e32 v1, s29
	v_add_co_u32_e32 v14, vcc, s28, v0
	v_lshl_add_u32 v86, v12, 2, v80
	s_mul_i32 s33, s16, 3
	v_mov_b32_e32 v88, 0
	v_addc_co_u32_e32 v15, vcc, 0, v1, vcc
	s_lshl_b32 s28, s15, 1
	s_mul_i32 s29, s15, 3
	s_lshl_b32 s34, s15, 2
	s_mul_i32 s35, s15, 5
	s_mul_i32 s36, s15, 6
	;; [unrolled: 1-line block ×3, first 2 shown]
	s_lshl_b32 s38, s15, 3
	s_mul_i32 s39, s15, 9
	s_mul_i32 s40, s15, 10
	;; [unrolled: 1-line block ×7, first 2 shown]
	s_lshl_b32 s46, s15, 4
	s_mul_i32 s47, s15, 17
	s_mul_i32 s48, s15, 18
	;; [unrolled: 1-line block ×15, first 2 shown]
	s_lshl_b32 s62, s15, 5
	s_mul_i32 s63, s15, 33
	s_mul_i32 s64, s15, 34
	;; [unrolled: 1-line block ×12, first 2 shown]
	v_mov_b32_e32 v89, s14
	s_mul_i32 s75, s15, 45
	v_accvgpr_write_b32 a15, 0
	v_accvgpr_write_b32 a14, 0
	;; [unrolled: 1-line block ×16, first 2 shown]
	v_mov_b32_e32 v90, s25
	v_mov_b32_e32 v91, 0x100
	s_mul_i32 s25, s15, 46
	s_mul_i32 s76, s15, 47
	;; [unrolled: 1-line block ×18, first 2 shown]
	s_mov_b64 s[14:15], 0
	s_branch .LBB85_22
.LBB85_20:                              ;   in Loop: Header=BB85_22 Depth=1
	v_mul_lo_u32 v92, v92, s21
	v_add_u32_e32 v92, s33, v92
	v_add_u32_e32 v92, v92, v85
	v_ashrrev_i32_e32 v93, 31, v92
	v_lshlrev_b64 v[92:93], 2, v[92:93]
	v_mov_b32_e32 v94, s30
	v_add_co_u32_e32 v92, vcc, s27, v92
	v_addc_co_u32_e32 v93, vcc, v94, v93, vcc
	global_load_dword v92, v[92:93], off
.LBB85_21:                              ;   in Loop: Header=BB85_22 Depth=1
	v_add_u32_e32 v93, 0x200, v86
	s_waitcnt vmcnt(0)
	ds_write2_b32 v93, v92, v88 offset0:86 offset1:152
	v_add_u32_e32 v92, 0x400, v86
	ds_write2_b32 v92, v88, v88 offset0:90 offset1:156
	v_add_u32_e32 v92, 0x600, v86
	;; [unrolled: 2-line block ×5, first 2 shown]
	ds_write2_b32 v92, v88, v88 offset0:106 offset1:172
	ds_write_b32 v86, v88 offset:4024
	ds_read2_b64 v[92:95], v87 offset0:8 offset1:12
	v_accvgpr_write_b32 a7, v3
	v_accvgpr_write_b32 a6, v2
	;; [unrolled: 1-line block ×6, first 2 shown]
	s_waitcnt lgkmcnt(0)
	v_mfma_f32_16x16x4f32 a[4:7], v44, v92, a[4:7]
	v_accvgpr_write_b32 a10, v6
	v_accvgpr_write_b32 a9, v5
	;; [unrolled: 1-line block ×6, first 2 shown]
	ds_read2_b64 v[0:3], v87 offset0:16 offset1:20
	v_mfma_f32_16x16x4f32 a[8:11], v56, v92, a[8:11]
	v_add_co_u32_e32 v14, vcc, 0x400, v14
	v_add_u32_e32 v85, 0x100, v85
	v_addc_co_u32_e32 v15, vcc, 0, v15, vcc
	v_cmp_le_i32_e32 vcc, s12, v85
	s_or_b64 s[14:15], vcc, s[14:15]
	v_mfma_f32_16x16x4f32 a[12:15], v62, v92, a[12:15]
	v_mfma_f32_16x16x4f32 a[0:3], v78, v92, a[0:3]
	;; [unrolled: 1-line block ×14, first 2 shown]
	s_waitcnt lgkmcnt(0)
	v_mfma_f32_16x16x4f32 a[4:7], v32, v0, a[4:7]
	v_mfma_f32_16x16x4f32 a[8:11], v48, v0, a[8:11]
	;; [unrolled: 1-line block ×16, first 2 shown]
	ds_read2_b64 v[0:3], v87 offset0:24 offset1:28
	s_waitcnt lgkmcnt(0)
	v_mfma_f32_16x16x4f32 a[4:7], v24, v0, a[4:7]
	v_mfma_f32_16x16x4f32 a[8:11], v36, v0, a[8:11]
	;; [unrolled: 1-line block ×16, first 2 shown]
	ds_read2_b64 v[0:3], v87 offset0:32 offset1:36
	s_waitcnt lgkmcnt(0)
	v_mfma_f32_16x16x4f32 a[4:7], v18, v0, a[4:7]
	v_mfma_f32_16x16x4f32 a[4:7], v19, v1, a[4:7]
	;; [unrolled: 1-line block ×16, first 2 shown]
	s_andn2_b64 exec, exec, s[14:15]
	s_cbranch_execz .LBB85_37
.LBB85_22:                              ; =>This Inner Loop Header: Depth=1
	v_add_co_u32_e32 v0, vcc, s24, v14
	v_addc_co_u32_e32 v1, vcc, v15, v90, vcc
	global_load_dword v20, v[14:15], off
	global_load_dword v21, v[0:1], off
	v_add_u32_e32 v0, s28, v85
	v_ashrrev_i32_e32 v1, 31, v0
	v_lshlrev_b64 v[0:1], 2, v[0:1]
	v_add_u32_e32 v2, s29, v85
	v_add_co_u32_e32 v0, vcc, s20, v0
	v_ashrrev_i32_e32 v3, 31, v2
	v_addc_co_u32_e32 v1, vcc, v89, v1, vcc
	v_lshlrev_b64 v[2:3], 2, v[2:3]
	v_add_u32_e32 v4, s34, v85
	v_add_co_u32_e32 v2, vcc, s20, v2
	v_ashrrev_i32_e32 v5, 31, v4
	v_addc_co_u32_e32 v3, vcc, v89, v3, vcc
	;; [unrolled: 5-line block ×5, first 2 shown]
	v_lshlrev_b64 v[10:11], 2, v[10:11]
	v_add_co_u32_e32 v10, vcc, s20, v10
	v_addc_co_u32_e32 v11, vcc, v89, v11, vcc
	global_load_dword v22, v[0:1], off
	global_load_dword v23, v[2:3], off
	;; [unrolled: 1-line block ×6, first 2 shown]
	v_add_u32_e32 v16, s38, v85
	v_ashrrev_i32_e32 v17, 31, v16
	v_add_u32_e32 v18, s39, v85
	v_lshlrev_b64 v[16:17], 2, v[16:17]
	v_ashrrev_i32_e32 v19, 31, v18
	v_add_co_u32_e32 v16, vcc, s20, v16
	v_lshlrev_b64 v[18:19], 2, v[18:19]
	v_addc_co_u32_e32 v17, vcc, v89, v17, vcc
	v_add_co_u32_e32 v18, vcc, s20, v18
	v_addc_co_u32_e32 v19, vcc, v89, v19, vcc
	v_add_u32_e32 v28, s45, v85
	v_ashrrev_i32_e32 v29, 31, v28
	v_lshlrev_b64 v[28:29], 2, v[28:29]
	v_add_u32_e32 v30, s46, v85
	v_ashrrev_i32_e32 v31, 31, v30
	v_lshlrev_b64 v[30:31], 2, v[30:31]
	v_add_u32_e32 v32, s47, v85
	v_ashrrev_i32_e32 v33, 31, v32
	v_lshlrev_b64 v[32:33], 2, v[32:33]
	v_add_u32_e32 v34, s52, v85
	v_ashrrev_i32_e32 v35, 31, v34
	v_lshlrev_b64 v[34:35], 2, v[34:35]
	v_add_u32_e32 v36, s53, v85
	v_ashrrev_i32_e32 v37, 31, v36
	v_lshlrev_b64 v[36:37], 2, v[36:37]
	v_add_u32_e32 v38, s54, v85
	v_ashrrev_i32_e32 v39, 31, v38
	v_lshlrev_b64 v[38:39], 2, v[38:39]
	s_waitcnt vmcnt(7)
	ds_write_b32 v86, v20 offset:64
	s_waitcnt vmcnt(6)
	ds_write_b32 v86, v21 offset:328
	global_load_dword v16, v[16:17], off
	s_nop 0
	global_load_dword v17, v[18:19], off
	v_add_u32_e32 v18, s40, v85
	v_ashrrev_i32_e32 v19, 31, v18
	v_lshlrev_b64 v[18:19], 2, v[18:19]
	v_add_u32_e32 v20, s41, v85
	v_add_co_u32_e32 v18, vcc, s20, v18
	v_ashrrev_i32_e32 v21, 31, v20
	v_addc_co_u32_e32 v19, vcc, v89, v19, vcc
	v_lshlrev_b64 v[20:21], 2, v[20:21]
	s_waitcnt vmcnt(7)
	ds_write_b32 v86, v22 offset:592
	s_waitcnt vmcnt(6)
	ds_write_b32 v86, v23 offset:856
	;; [unrolled: 2-line block ×6, first 2 shown]
	v_add_u32_e32 v22, s42, v85
	v_add_co_u32_e32 v20, vcc, s20, v20
	v_ashrrev_i32_e32 v23, 31, v22
	v_addc_co_u32_e32 v21, vcc, v89, v21, vcc
	v_lshlrev_b64 v[22:23], 2, v[22:23]
	v_add_u32_e32 v24, s43, v85
	v_add_co_u32_e32 v22, vcc, s20, v22
	v_ashrrev_i32_e32 v25, 31, v24
	v_addc_co_u32_e32 v23, vcc, v89, v23, vcc
	v_lshlrev_b64 v[24:25], 2, v[24:25]
	v_add_u32_e32 v26, s44, v85
	v_add_co_u32_e32 v24, vcc, s20, v24
	v_ashrrev_i32_e32 v27, 31, v26
	v_addc_co_u32_e32 v25, vcc, v89, v25, vcc
	v_lshlrev_b64 v[26:27], 2, v[26:27]
	v_add_co_u32_e32 v26, vcc, s20, v26
	v_addc_co_u32_e32 v27, vcc, v89, v27, vcc
	v_add_co_u32_e32 v28, vcc, s20, v28
	v_addc_co_u32_e32 v29, vcc, v89, v29, vcc
	v_add_co_u32_e32 v30, vcc, s20, v30
	v_addc_co_u32_e32 v31, vcc, v89, v31, vcc
	v_add_co_u32_e32 v32, vcc, s20, v32
	v_addc_co_u32_e32 v33, vcc, v89, v33, vcc
	global_load_dword v18, v[18:19], off
	s_nop 0
	global_load_dword v19, v[20:21], off
	s_nop 0
	global_load_dword v20, v[22:23], off
	global_load_dword v21, v[24:25], off
	s_nop 0
	global_load_dword v24, v[26:27], off
	global_load_dword v25, v[28:29], off
	;; [unrolled: 1-line block ×4, first 2 shown]
	v_add_u32_e32 v26, s48, v85
	v_ashrrev_i32_e32 v27, 31, v26
	v_lshlrev_b64 v[26:27], 2, v[26:27]
	v_add_u32_e32 v28, s49, v85
	v_add_co_u32_e32 v26, vcc, s20, v26
	v_ashrrev_i32_e32 v29, 31, v28
	v_addc_co_u32_e32 v27, vcc, v89, v27, vcc
	v_lshlrev_b64 v[28:29], 2, v[28:29]
	v_add_u32_e32 v30, s50, v85
	v_add_co_u32_e32 v28, vcc, s20, v28
	v_ashrrev_i32_e32 v31, 31, v30
	v_addc_co_u32_e32 v29, vcc, v89, v29, vcc
	;; [unrolled: 5-line block ×3, first 2 shown]
	v_lshlrev_b64 v[32:33], 2, v[32:33]
	v_add_co_u32_e32 v32, vcc, s20, v32
	v_addc_co_u32_e32 v33, vcc, v89, v33, vcc
	v_add_co_u32_e32 v34, vcc, s20, v34
	v_addc_co_u32_e32 v35, vcc, v89, v35, vcc
	;; [unrolled: 2-line block ×3, first 2 shown]
	v_add_u32_e32 v40, s55, v85
	v_add_co_u32_e32 v38, vcc, s20, v38
	v_ashrrev_i32_e32 v41, 31, v40
	v_addc_co_u32_e32 v39, vcc, v89, v39, vcc
	v_lshlrev_b64 v[40:41], 2, v[40:41]
	v_add_co_u32_e32 v40, vcc, s20, v40
	v_addc_co_u32_e32 v41, vcc, v89, v41, vcc
	global_load_dword v26, v[26:27], off
	s_nop 0
	global_load_dword v27, v[28:29], off
	s_nop 0
	;; [unrolled: 2-line block ×6, first 2 shown]
	global_load_dword v36, v[38:39], off
	global_load_dword v37, v[40:41], off
	v_add_u32_e32 v28, s56, v85
	v_ashrrev_i32_e32 v29, 31, v28
	v_lshlrev_b64 v[28:29], 2, v[28:29]
	v_add_u32_e32 v32, s57, v85
	v_add_co_u32_e32 v28, vcc, s20, v28
	v_ashrrev_i32_e32 v33, 31, v32
	v_addc_co_u32_e32 v29, vcc, v89, v29, vcc
	v_lshlrev_b64 v[32:33], 2, v[32:33]
	v_add_u32_e32 v38, s58, v85
	v_add_co_u32_e32 v32, vcc, s20, v32
	v_ashrrev_i32_e32 v39, 31, v38
	v_addc_co_u32_e32 v33, vcc, v89, v33, vcc
	;; [unrolled: 5-line block ×4, first 2 shown]
	v_lshlrev_b64 v[42:43], 2, v[42:43]
	v_add_co_u32_e32 v44, vcc, s20, v42
	v_add_u32_e32 v42, s61, v85
	v_addc_co_u32_e32 v45, vcc, v89, v43, vcc
	v_ashrrev_i32_e32 v43, 31, v42
	v_lshlrev_b64 v[42:43], 2, v[42:43]
	v_add_co_u32_e32 v50, vcc, s20, v42
	v_add_u32_e32 v42, s62, v85
	v_addc_co_u32_e32 v51, vcc, v89, v43, vcc
	v_ashrrev_i32_e32 v43, 31, v42
	;; [unrolled: 5-line block ×3, first 2 shown]
	v_lshlrev_b64 v[42:43], 2, v[42:43]
	v_add_co_u32_e32 v54, vcc, s20, v42
	v_addc_co_u32_e32 v55, vcc, v89, v43, vcc
	global_load_dword v42, v[28:29], off
	global_load_dword v43, v[32:33], off
	;; [unrolled: 1-line block ×6, first 2 shown]
	s_nop 0
	global_load_dword v40, v[52:53], off
	global_load_dword v41, v[54:55], off
	v_add_u32_e32 v28, s64, v85
	v_ashrrev_i32_e32 v29, 31, v28
	v_lshlrev_b64 v[28:29], 2, v[28:29]
	v_add_u32_e32 v32, s65, v85
	v_add_co_u32_e32 v28, vcc, s20, v28
	v_ashrrev_i32_e32 v33, 31, v32
	v_addc_co_u32_e32 v29, vcc, v89, v29, vcc
	v_lshlrev_b64 v[32:33], 2, v[32:33]
	v_add_u32_e32 v38, s66, v85
	v_add_co_u32_e32 v32, vcc, s20, v32
	v_ashrrev_i32_e32 v39, 31, v38
	v_addc_co_u32_e32 v33, vcc, v89, v33, vcc
	v_lshlrev_b64 v[38:39], 2, v[38:39]
	v_add_u32_e32 v44, s67, v85
	v_add_co_u32_e32 v38, vcc, s20, v38
	v_ashrrev_i32_e32 v45, 31, v44
	v_addc_co_u32_e32 v39, vcc, v89, v39, vcc
	v_lshlrev_b64 v[44:45], 2, v[44:45]
	v_add_u32_e32 v50, s68, v85
	v_add_co_u32_e32 v44, vcc, s20, v44
	v_ashrrev_i32_e32 v51, 31, v50
	v_addc_co_u32_e32 v45, vcc, v89, v45, vcc
	v_lshlrev_b64 v[50:51], 2, v[50:51]
	v_add_u32_e32 v52, s69, v85
	v_add_co_u32_e32 v50, vcc, s20, v50
	v_ashrrev_i32_e32 v53, 31, v52
	v_addc_co_u32_e32 v51, vcc, v89, v51, vcc
	v_lshlrev_b64 v[52:53], 2, v[52:53]
	v_add_u32_e32 v54, s70, v85
	v_add_co_u32_e32 v52, vcc, s20, v52
	v_ashrrev_i32_e32 v55, 31, v54
	v_addc_co_u32_e32 v53, vcc, v89, v53, vcc
	v_lshlrev_b64 v[54:55], 2, v[54:55]
	v_add_u32_e32 v56, s71, v85
	v_add_co_u32_e32 v54, vcc, s20, v54
	v_ashrrev_i32_e32 v57, 31, v56
	v_addc_co_u32_e32 v55, vcc, v89, v55, vcc
	v_lshlrev_b64 v[56:57], 2, v[56:57]
	v_add_co_u32_e32 v56, vcc, s20, v56
	v_addc_co_u32_e32 v57, vcc, v89, v57, vcc
	global_load_dword v58, v[28:29], off
	global_load_dword v59, v[32:33], off
	global_load_dword v60, v[38:39], off
	global_load_dword v61, v[44:45], off
	global_load_dword v62, v[50:51], off
	global_load_dword v63, v[52:53], off
	global_load_dword v64, v[54:55], off
	global_load_dword v65, v[56:57], off
	v_add_u32_e32 v28, s72, v85
	v_ashrrev_i32_e32 v29, 31, v28
	v_lshlrev_b64 v[28:29], 2, v[28:29]
	v_add_u32_e32 v32, s73, v85
	v_add_co_u32_e32 v28, vcc, s20, v28
	v_ashrrev_i32_e32 v33, 31, v32
	v_addc_co_u32_e32 v29, vcc, v89, v29, vcc
	v_lshlrev_b64 v[32:33], 2, v[32:33]
	v_add_u32_e32 v38, s74, v85
	v_add_co_u32_e32 v32, vcc, s20, v32
	v_ashrrev_i32_e32 v39, 31, v38
	v_addc_co_u32_e32 v33, vcc, v89, v33, vcc
	v_lshlrev_b64 v[38:39], 2, v[38:39]
	v_add_u32_e32 v44, s75, v85
	v_add_co_u32_e32 v38, vcc, s20, v38
	v_ashrrev_i32_e32 v45, 31, v44
	v_addc_co_u32_e32 v39, vcc, v89, v39, vcc
	v_lshlrev_b64 v[44:45], 2, v[44:45]
	v_add_u32_e32 v50, s25, v85
	v_add_co_u32_e32 v44, vcc, s20, v44
	v_ashrrev_i32_e32 v51, 31, v50
	v_addc_co_u32_e32 v45, vcc, v89, v45, vcc
	v_lshlrev_b64 v[50:51], 2, v[50:51]
	v_add_u32_e32 v52, s76, v85
	v_add_co_u32_e32 v50, vcc, s20, v50
	v_ashrrev_i32_e32 v53, 31, v52
	v_addc_co_u32_e32 v51, vcc, v89, v51, vcc
	v_lshlrev_b64 v[52:53], 2, v[52:53]
	v_add_u32_e32 v54, s77, v85
	v_add_co_u32_e32 v52, vcc, s20, v52
	v_ashrrev_i32_e32 v55, 31, v54
	v_addc_co_u32_e32 v53, vcc, v89, v53, vcc
	v_lshlrev_b64 v[54:55], 2, v[54:55]
	v_add_u32_e32 v56, s78, v85
	v_add_co_u32_e32 v54, vcc, s20, v54
	v_ashrrev_i32_e32 v57, 31, v56
	v_addc_co_u32_e32 v55, vcc, v89, v55, vcc
	v_lshlrev_b64 v[56:57], 2, v[56:57]
	v_add_co_u32_e32 v56, vcc, s20, v56
	v_addc_co_u32_e32 v57, vcc, v89, v57, vcc
	global_load_dword v66, v[28:29], off
	global_load_dword v67, v[32:33], off
	global_load_dword v68, v[38:39], off
	global_load_dword v69, v[44:45], off
	global_load_dword v70, v[50:51], off
	global_load_dword v71, v[52:53], off
	;; [unrolled: 48-line block ×3, first 2 shown]
	global_load_dword v92, v[54:55], off
	global_load_dword v93, v[56:57], off
	v_add_u32_e32 v28, s87, v85
	v_ashrrev_i32_e32 v29, 31, v28
	v_lshlrev_b64 v[28:29], 2, v[28:29]
	v_add_u32_e32 v32, s88, v85
	v_add_co_u32_e32 v28, vcc, s20, v28
	v_ashrrev_i32_e32 v33, 31, v32
	v_addc_co_u32_e32 v29, vcc, v89, v29, vcc
	v_lshlrev_b64 v[32:33], 2, v[32:33]
	v_add_u32_e32 v38, s89, v85
	v_add_co_u32_e32 v32, vcc, s20, v32
	v_ashrrev_i32_e32 v39, 31, v38
	v_addc_co_u32_e32 v33, vcc, v89, v33, vcc
	;; [unrolled: 5-line block ×5, first 2 shown]
	v_lshlrev_b64 v[52:53], 2, v[52:53]
	v_add_co_u32_e32 v52, vcc, s20, v52
	v_addc_co_u32_e32 v53, vcc, v89, v53, vcc
	global_load_dword v94, v[28:29], off
	global_load_dword v95, v[32:33], off
	;; [unrolled: 1-line block ×6, first 2 shown]
	s_waitcnt vmcnt(55)
	ds_write_b32 v86, v16 offset:2176
	s_waitcnt vmcnt(54)
	ds_write_b32 v86, v17 offset:2440
	s_waitcnt vmcnt(53)
	ds_write_b32 v86, v18 offset:2704
	s_waitcnt vmcnt(52)
	ds_write_b32 v86, v19 offset:2968
	s_waitcnt vmcnt(51)
	ds_write_b32 v86, v20 offset:3232
	s_waitcnt vmcnt(50)
	ds_write_b32 v86, v21 offset:3496
	s_waitcnt vmcnt(49)
	ds_write_b32 v86, v24 offset:3760
	s_waitcnt vmcnt(48)
	ds_write_b32 v86, v25 offset:4024
	ds_read_b64 v[44:45], v87 offset:64
	ds_read_b64 v[38:39], v87 offset:96
	ds_read_b64 v[32:33], v87 offset:128
	ds_read_b64 v[28:29], v87 offset:160
	ds_read_b64 v[24:25], v87 offset:192
	ds_read_b64 v[20:21], v87 offset:224
	ds_read_b64 v[18:19], v87 offset:256
	ds_read_b64 v[16:17], v87 offset:288
	s_waitcnt vmcnt(47)
	ds_write_b32 v86, v22 offset:64
	s_waitcnt vmcnt(46)
	ds_write_b32 v86, v23 offset:328
	s_waitcnt vmcnt(45)
	ds_write_b32 v86, v26 offset:592
	s_waitcnt vmcnt(44)
	ds_write_b32 v86, v27 offset:856
	s_waitcnt vmcnt(43)
	ds_write_b32 v86, v30 offset:1120
	s_waitcnt vmcnt(42)
	ds_write_b32 v86, v31 offset:1384
	s_waitcnt vmcnt(41)
	ds_write_b32 v86, v34 offset:1648
	s_waitcnt vmcnt(40)
	ds_write_b32 v86, v35 offset:1912
	s_waitcnt vmcnt(39)
	ds_write_b32 v86, v36 offset:2176
	s_waitcnt vmcnt(38)
	ds_write_b32 v86, v37 offset:2440
	s_waitcnt vmcnt(37)
	ds_write_b32 v86, v42 offset:2704
	s_waitcnt vmcnt(36)
	ds_write_b32 v86, v43 offset:2968
	s_waitcnt vmcnt(35)
	ds_write_b32 v86, v46 offset:3232
	s_waitcnt vmcnt(34)
	ds_write_b32 v86, v47 offset:3496
	s_waitcnt vmcnt(33)
	ds_write_b32 v86, v48 offset:3760
	s_waitcnt vmcnt(32)
	ds_write_b32 v86, v49 offset:4024
	ds_read_b64 v[56:57], v87 offset:64
	ds_read_b64 v[52:53], v87 offset:96
	ds_read_b64 v[48:49], v87 offset:128
	ds_read_b64 v[42:43], v87 offset:160
	ds_read_b64 v[36:37], v87 offset:192
	ds_read_b64 v[30:31], v87 offset:224
	ds_read_b64 v[26:27], v87 offset:256
	ds_read_b64 v[22:23], v87 offset:288
	s_waitcnt vmcnt(31)
	ds_write_b32 v86, v40 offset:64
	s_waitcnt vmcnt(30)
	ds_write_b32 v86, v41 offset:328
	s_waitcnt vmcnt(29)
	ds_write_b32 v86, v58 offset:592
	s_waitcnt vmcnt(28)
	ds_write_b32 v86, v59 offset:856
	s_waitcnt vmcnt(27)
	ds_write_b32 v86, v60 offset:1120
	s_waitcnt vmcnt(26)
	ds_write_b32 v86, v61 offset:1384
	s_waitcnt vmcnt(25)
	ds_write_b32 v86, v62 offset:1648
	s_waitcnt vmcnt(24)
	ds_write_b32 v86, v63 offset:1912
	;; [unrolled: 40-line block ×3, first 2 shown]
	s_waitcnt vmcnt(7)
	ds_write_b32 v86, v92 offset:2176
	s_waitcnt vmcnt(6)
	ds_write_b32 v86, v93 offset:2440
	;; [unrolled: 2-line block ×8, first 2 shown]
	ds_read_b64 v[78:79], v87 offset:64
	ds_read_b64 v[76:77], v87 offset:96
	;; [unrolled: 1-line block ×8, first 2 shown]
	v_accvgpr_read_b32 v3, a15
	v_accvgpr_read_b32 v2, a14
	;; [unrolled: 1-line block ×12, first 2 shown]
	s_andn2_b64 vcc, exec, s[4:5]
	v_mov_b32_e32 v92, 0
	s_cbranch_vccnz .LBB85_26
; %bb.23:                               ;   in Loop: Header=BB85_22 Depth=1
	ds_read_b32 v92, v91
	s_waitcnt lgkmcnt(0)
	v_cmp_gt_i32_e32 vcc, 0, v92
	s_cbranch_vccnz .LBB85_25
; %bb.24:                               ;   in Loop: Header=BB85_22 Depth=1
	v_mul_lo_u32 v92, v92, s21
	v_add_u32_e32 v92, v85, v92
	v_ashrrev_i32_e32 v93, 31, v92
	v_lshlrev_b64 v[92:93], 2, v[92:93]
	v_mov_b32_e32 v94, s30
	v_add_co_u32_e32 v92, vcc, s27, v92
	v_addc_co_u32_e32 v93, vcc, v94, v93, vcc
	global_load_dword v92, v[92:93], off
	s_branch .LBB85_26
.LBB85_25:                              ;   in Loop: Header=BB85_22 Depth=1
	v_mov_b32_e32 v92, 0
.LBB85_26:                              ;   in Loop: Header=BB85_22 Depth=1
	s_waitcnt vmcnt(0)
	ds_write_b32 v86, v92 offset:64
	s_andn2_b64 vcc, exec, s[6:7]
	v_mov_b32_e32 v92, 0
	v_mov_b32_e32 v93, 0
	s_cbranch_vccz .LBB85_29
; %bb.27:                               ;   in Loop: Header=BB85_22 Depth=1
	s_andn2_b64 vcc, exec, s[10:11]
	ds_write_b32 v86, v93 offset:328
	s_cbranch_vccz .LBB85_32
.LBB85_28:                              ;   in Loop: Header=BB85_22 Depth=1
	ds_write_b32 v86, v92 offset:592
	s_andn2_b64 vcc, exec, s[18:19]
	v_mov_b32_e32 v92, 0
	s_cbranch_vccnz .LBB85_21
	s_branch .LBB85_35
.LBB85_29:                              ;   in Loop: Header=BB85_22 Depth=1
	ds_read_b32 v93, v91 offset:4
	s_waitcnt lgkmcnt(0)
	v_cmp_gt_i32_e32 vcc, 0, v93
	s_cbranch_vccnz .LBB85_31
; %bb.30:                               ;   in Loop: Header=BB85_22 Depth=1
	v_mul_lo_u32 v93, v93, s21
	v_add_u32_e32 v93, s16, v93
	v_add_u32_e32 v94, v93, v85
	v_ashrrev_i32_e32 v95, 31, v94
	v_lshlrev_b64 v[94:95], 2, v[94:95]
	v_mov_b32_e32 v93, s30
	v_add_co_u32_e32 v94, vcc, s27, v94
	v_addc_co_u32_e32 v95, vcc, v93, v95, vcc
	global_load_dword v93, v[94:95], off
	s_andn2_b64 vcc, exec, s[10:11]
	s_waitcnt vmcnt(0)
	ds_write_b32 v86, v93 offset:328
	s_cbranch_vccnz .LBB85_28
	s_branch .LBB85_32
.LBB85_31:                              ;   in Loop: Header=BB85_22 Depth=1
	v_mov_b32_e32 v93, 0
	s_andn2_b64 vcc, exec, s[10:11]
	ds_write_b32 v86, v93 offset:328
	s_cbranch_vccnz .LBB85_28
.LBB85_32:                              ;   in Loop: Header=BB85_22 Depth=1
	ds_read_b32 v92, v91 offset:8
	s_waitcnt lgkmcnt(0)
	v_cmp_gt_i32_e32 vcc, 0, v92
	s_cbranch_vccnz .LBB85_34
; %bb.33:                               ;   in Loop: Header=BB85_22 Depth=1
	v_mul_lo_u32 v92, v92, s21
	v_add_u32_e32 v92, s31, v92
	v_add_u32_e32 v92, v92, v85
	v_ashrrev_i32_e32 v93, 31, v92
	v_lshlrev_b64 v[92:93], 2, v[92:93]
	v_mov_b32_e32 v94, s30
	v_add_co_u32_e32 v92, vcc, s27, v92
	v_addc_co_u32_e32 v93, vcc, v94, v93, vcc
	global_load_dword v92, v[92:93], off
	s_waitcnt vmcnt(0)
	ds_write_b32 v86, v92 offset:592
	s_andn2_b64 vcc, exec, s[18:19]
	v_mov_b32_e32 v92, 0
	s_cbranch_vccnz .LBB85_21
	s_branch .LBB85_35
.LBB85_34:                              ;   in Loop: Header=BB85_22 Depth=1
	v_mov_b32_e32 v92, 0
	ds_write_b32 v86, v92 offset:592
	s_andn2_b64 vcc, exec, s[18:19]
	v_mov_b32_e32 v92, 0
	s_cbranch_vccnz .LBB85_21
.LBB85_35:                              ;   in Loop: Header=BB85_22 Depth=1
	ds_read_b32 v92, v91 offset:12
	s_waitcnt lgkmcnt(0)
	v_cmp_gt_i32_e32 vcc, 0, v92
	s_cbranch_vccz .LBB85_20
; %bb.36:                               ;   in Loop: Header=BB85_22 Depth=1
	v_mov_b32_e32 v92, 0
	s_branch .LBB85_21
.LBB85_37:
	s_or_b64 exec, exec, s[14:15]
.LBB85_38:
	s_or_b64 exec, exec, s[0:1]
	v_mul_u32_u24_e32 v0, 0x408, v84
	s_movk_i32 s0, 0x100
	v_lshlrev_b32_e32 v1, 2, v83
	v_add3_u32 v0, s0, v0, v1
	v_and_b32_e32 v2, 0x3f0, v12
	v_add_u32_e32 v3, v0, v2
	s_barrier
	ds_write2_b32 v3, a12, a13 offset0:16 offset1:17
	v_or_b32_e32 v3, 12, v12
	v_add_u32_e32 v1, 64, v0
	v_and_b32_e32 v3, 0x3fc, v3
	v_add_u32_e32 v2, v1, v2
	v_add_u32_e32 v0, v0, v3
	ds_write_b32 v2, a14 offset:8
	ds_write_b32 v0, a15 offset:64
	ds_write2_b32 v2, a8, a9 offset0:16 offset1:17
	ds_write_b32 v2, a10 offset:72
	v_add_u32_e32 v0, v1, v3
	ds_write_b32 v0, a11 offset:64
	ds_write2_b32 v2, a4, a5 offset0:32 offset1:33
	ds_write_b32 v2, a6 offset:136
	ds_write_b32 v0, a7 offset:128
	ds_write2_b32 v2, a0, a1 offset0:48 offset1:49
	ds_write_b32 v2, a2 offset:200
	ds_write_b32 v0, a3 offset:192
	v_mul_u32_u24_e32 v0, 0x408, v13
	v_lshlrev_b32_e32 v1, 2, v12
	v_add3_u32 v0, s0, v0, v1
	s_waitcnt lgkmcnt(0)
	s_barrier
	ds_read2_b32 v[2:3], v0 offset0:16 offset1:80
	ds_read2_b32 v[0:1], v0 offset0:144 offset1:208
	v_cmp_gt_u32_e32 vcc, 4, v13
	v_mov_b32_e32 v4, -1
	s_and_saveexec_b64 s[0:1], vcc
	s_cbranch_execz .LBB85_40
; %bb.39:
	v_add_u32_e32 v4, v80, v81
	ds_read_b32 v4, v4
.LBB85_40:
	s_or_b64 exec, exec, s[0:1]
	s_waitcnt lgkmcnt(0)
	v_cmp_lt_i32_e32 vcc, -1, v4
	v_cmp_gt_i32_e64 s[0:1], s13, v82
	s_and_b64 s[0:1], vcc, s[0:1]
	s_and_saveexec_b64 s[4:5], s[0:1]
	s_cbranch_execz .LBB85_42
; %bb.41:
	v_add_f32_e32 v2, 0, v2
	s_mul_hi_i32 s1, s26, s8
	s_mul_i32 s0, s26, s8
	v_add_f32_e32 v2, v2, v3
	s_lshl_b64 s[0:1], s[0:1], 2
	v_add_f32_e32 v0, v2, v0
	s_mul_hi_i32 s5, s9, s17
	s_mul_i32 s4, s9, s17
	s_add_u32 s2, s2, s0
	v_add_f32_e32 v2, v0, v1
	s_addc_u32 s3, s3, s1
	s_lshl_b64 s[0:1], s[4:5], 2
	v_mul_lo_u32 v0, v4, s22
	v_mul_lo_u32 v1, v13, s17
	v_add_u32_e32 v3, s23, v12
	s_add_u32 s0, s2, s0
	v_add3_u32 v0, v3, v1, v0
	v_mov_b32_e32 v1, 0
	s_addc_u32 s1, s3, s1
	v_lshlrev_b64 v[0:1], 2, v[0:1]
	v_mov_b32_e32 v3, s1
	v_add_co_u32_e32 v0, vcc, s0, v0
	v_addc_co_u32_e32 v1, vcc, v3, v1, vcc
	global_store_dword v[0:1], v2, off
.LBB85_42:
	s_endpgm
	.section	.rodata,"a",@progbits
	.p2align	6, 0x0
	.amdhsa_kernel _ZL9mul_mat_fIfLi64ELi4ELi4ELb1EEvPKT_PKfPKiPfiiiiiiiiiiiiiiii
		.amdhsa_group_segment_fixed_size 256
		.amdhsa_private_segment_fixed_size 0
		.amdhsa_kernarg_size 352
		.amdhsa_user_sgpr_count 6
		.amdhsa_user_sgpr_private_segment_buffer 1
		.amdhsa_user_sgpr_dispatch_ptr 0
		.amdhsa_user_sgpr_queue_ptr 0
		.amdhsa_user_sgpr_kernarg_segment_ptr 1
		.amdhsa_user_sgpr_dispatch_id 0
		.amdhsa_user_sgpr_flat_scratch_init 0
		.amdhsa_user_sgpr_kernarg_preload_length 0
		.amdhsa_user_sgpr_kernarg_preload_offset 0
		.amdhsa_user_sgpr_private_segment_size 0
		.amdhsa_uses_dynamic_stack 0
		.amdhsa_system_sgpr_private_segment_wavefront_offset 0
		.amdhsa_system_sgpr_workgroup_id_x 1
		.amdhsa_system_sgpr_workgroup_id_y 1
		.amdhsa_system_sgpr_workgroup_id_z 1
		.amdhsa_system_sgpr_workgroup_info 0
		.amdhsa_system_vgpr_workitem_id 2
		.amdhsa_next_free_vgpr 120
		.amdhsa_next_free_sgpr 93
		.amdhsa_accum_offset 100
		.amdhsa_reserve_vcc 1
		.amdhsa_reserve_flat_scratch 0
		.amdhsa_float_round_mode_32 0
		.amdhsa_float_round_mode_16_64 0
		.amdhsa_float_denorm_mode_32 3
		.amdhsa_float_denorm_mode_16_64 3
		.amdhsa_dx10_clamp 1
		.amdhsa_ieee_mode 1
		.amdhsa_fp16_overflow 0
		.amdhsa_tg_split 0
		.amdhsa_exception_fp_ieee_invalid_op 0
		.amdhsa_exception_fp_denorm_src 0
		.amdhsa_exception_fp_ieee_div_zero 0
		.amdhsa_exception_fp_ieee_overflow 0
		.amdhsa_exception_fp_ieee_underflow 0
		.amdhsa_exception_fp_ieee_inexact 0
		.amdhsa_exception_int_div_zero 0
	.end_amdhsa_kernel
	.section	.text._ZL9mul_mat_fIfLi64ELi4ELi4ELb1EEvPKT_PKfPKiPfiiiiiiiiiiiiiiii,"axG",@progbits,_ZL9mul_mat_fIfLi64ELi4ELi4ELb1EEvPKT_PKfPKiPfiiiiiiiiiiiiiiii,comdat
.Lfunc_end85:
	.size	_ZL9mul_mat_fIfLi64ELi4ELi4ELb1EEvPKT_PKfPKiPfiiiiiiiiiiiiiiii, .Lfunc_end85-_ZL9mul_mat_fIfLi64ELi4ELi4ELb1EEvPKT_PKfPKiPfiiiiiiiiiiiiiiii
                                        ; -- End function
	.section	.AMDGPU.csdata,"",@progbits
; Kernel info:
; codeLenInByte = 6700
; NumSgprs: 97
; NumVgprs: 100
; NumAgprs: 20
; TotalNumVgprs: 120
; ScratchSize: 0
; MemoryBound: 0
; FloatMode: 240
; IeeeMode: 1
; LDSByteSize: 256 bytes/workgroup (compile time only)
; SGPRBlocks: 12
; VGPRBlocks: 14
; NumSGPRsForWavesPerEU: 97
; NumVGPRsForWavesPerEU: 120
; AccumOffset: 100
; Occupancy: 4
; WaveLimiterHint : 0
; COMPUTE_PGM_RSRC2:SCRATCH_EN: 0
; COMPUTE_PGM_RSRC2:USER_SGPR: 6
; COMPUTE_PGM_RSRC2:TRAP_HANDLER: 0
; COMPUTE_PGM_RSRC2:TGID_X_EN: 1
; COMPUTE_PGM_RSRC2:TGID_Y_EN: 1
; COMPUTE_PGM_RSRC2:TGID_Z_EN: 1
; COMPUTE_PGM_RSRC2:TIDIG_COMP_CNT: 2
; COMPUTE_PGM_RSRC3_GFX90A:ACCUM_OFFSET: 24
; COMPUTE_PGM_RSRC3_GFX90A:TG_SPLIT: 0
	.section	.text._ZL9mul_mat_fIfLi64ELi4ELi4ELb0EEvPKT_PKfPKiPfiiiiiiiiiiiiiiii,"axG",@progbits,_ZL9mul_mat_fIfLi64ELi4ELi4ELb0EEvPKT_PKfPKiPfiiiiiiiiiiiiiiii,comdat
	.globl	_ZL9mul_mat_fIfLi64ELi4ELi4ELb0EEvPKT_PKfPKiPfiiiiiiiiiiiiiiii ; -- Begin function _ZL9mul_mat_fIfLi64ELi4ELi4ELb0EEvPKT_PKfPKiPfiiiiiiiiiiiiiiii
	.p2align	8
	.type	_ZL9mul_mat_fIfLi64ELi4ELi4ELb0EEvPKT_PKfPKiPfiiiiiiiiiiiiiiii,@function
_ZL9mul_mat_fIfLi64ELi4ELi4ELb0EEvPKT_PKfPKiPfiiiiiiiiiiiiiiii: ; @_ZL9mul_mat_fIfLi64ELi4ELi4ELb0EEvPKT_PKfPKiPfiiiiiiiiiiiiiiii
; %bb.0:
	s_load_dwordx8 s[12:19], s[4:5], 0x40
	s_load_dword s9, s[4:5], 0x20
	s_load_dwordx4 s[0:3], s[4:5], 0x2c
	v_bfe_u32 v25, v0, 10, 10
	v_lshlrev_b32_e32 v95, 6, v25
	v_and_b32_e32 v94, 0x3ff, v0
	s_waitcnt lgkmcnt(0)
	s_abs_i32 s27, s12
	s_abs_i32 s26, s16
	v_cvt_f32_u32_e32 v1, s27
	v_cvt_f32_u32_e32 v2, s26
	v_add_u32_e32 v97, v95, v94
	s_mov_b32 s22, 0
	v_rcp_iflag_f32_e32 v1, v1
	v_rcp_iflag_f32_e32 v2, v2
	s_ashr_i32 s28, s8, 31
	v_cmp_le_i32_e32 vcc, s9, v97
	v_mul_f32_e32 v1, 0x4f7ffffe, v1
	v_mul_f32_e32 v2, 0x4f7ffffe, v2
	v_cvt_u32_f32_e32 v1, v1
	v_cvt_u32_f32_e32 v2, v2
	v_and_b32_e32 v96, 15, v94
	v_readfirstlane_b32 s21, v1
	v_readfirstlane_b32 s20, v2
	s_and_saveexec_b64 s[10:11], vcc
	s_xor_b64 s[10:11], exec, s[10:11]
; %bb.1:
	v_and_b32_e32 v96, 15, v94
                                        ; implicit-def: $vgpr97
; %bb.2:
	s_or_saveexec_b64 s[24:25], s[10:11]
	s_load_dwordx2 s[10:11], s[4:5], 0x18
	s_lshl_b32 s3, s6, 6
	v_accvgpr_write_b32 a0, s22
	v_accvgpr_write_b32 a1, s22
	;; [unrolled: 1-line block ×16, first 2 shown]
	v_lshlrev_b32_e32 v16, 2, v94
	s_xor_b64 exec, exec, s[24:25]
	s_cbranch_execz .LBB86_6
; %bb.3:
	s_sub_i32 s6, 0, s27
	s_sub_i32 s22, 0, s26
	s_mul_i32 s6, s6, s21
	s_mul_i32 s22, s22, s20
	s_mul_hi_u32 s6, s21, s6
	s_mul_hi_u32 s22, s20, s22
	s_abs_i32 s29, s7
	s_add_i32 s6, s21, s6
	s_add_i32 s31, s20, s22
	s_load_dwordx4 s[20:23], s[4:5], 0x0
	s_mul_hi_u32 s4, s29, s6
	s_ashr_i32 s6, s7, 31
	s_ashr_i32 s12, s12, 31
	s_xor_b32 s6, s6, s12
	s_mul_i32 s12, s4, s27
	s_abs_i32 s30, s8
	s_sub_i32 s12, s29, s12
	s_mul_hi_u32 s5, s30, s31
	s_ashr_i32 s16, s16, 31
	s_add_i32 s29, s4, 1
	s_sub_i32 s31, s12, s27
	s_cmp_ge_u32 s12, s27
	s_cselect_b32 s4, s29, s4
	s_cselect_b32 s12, s31, s12
	s_add_i32 s29, s4, 1
	s_cmp_ge_u32 s12, s27
	s_cselect_b32 s4, s29, s4
	s_mul_i32 s12, s5, s26
	s_xor_b32 s4, s4, s6
	s_sub_i32 s12, s30, s12
	s_sub_i32 s6, s4, s6
	s_xor_b32 s4, s28, s16
	s_add_i32 s16, s5, 1
	s_sub_i32 s27, s12, s26
	s_cmp_ge_u32 s12, s26
	s_cselect_b32 s5, s16, s5
	s_cselect_b32 s12, s27, s12
	s_add_i32 s16, s5, 1
	s_cmp_ge_u32 s12, s26
	s_cselect_b32 s5, s16, s5
	s_xor_b32 s5, s5, s4
	s_sub_i32 s4, s5, s4
	s_mul_i32 s12, s6, s13
	s_mul_i32 s16, s3, s0
	s_mul_hi_i32 s5, s4, s17
	s_mul_i32 s4, s4, s17
	s_ashr_i32 s13, s12, 31
	s_ashr_i32 s17, s16, 31
	s_lshl_b64 s[30:31], s[4:5], 2
	s_lshl_b64 s[4:5], s[16:17], 2
	;; [unrolled: 1-line block ×3, first 2 shown]
	s_waitcnt lgkmcnt(0)
	s_add_u32 s6, s20, s12
	s_addc_u32 s12, s21, s13
	s_add_u32 s6, s6, s4
	s_mul_i32 s28, s7, s14
	s_addc_u32 s14, s12, s5
	s_add_u32 s4, s6, s30
	s_mul_hi_i32 s27, s18, s8
	s_mul_i32 s26, s18, s8
	s_addc_u32 s73, s14, s31
	s_ashr_i32 s29, s28, 31
	s_lshl_b64 s[12:13], s[26:27], 2
	s_lshl_b64 s[16:17], s[28:29], 2
	s_add_u32 s18, s22, s16
	s_addc_u32 s22, s23, s17
	s_add_u32 s5, s18, s12
	s_movk_i32 s16, 0x1080
	v_lshrrev_b32_e32 v2, 1, v94
	s_addc_u32 s74, s22, s13
	v_mad_u32_u24 v0, v25, s16, 0
	v_mul_u32_u24_e32 v1, 0x108, v96
	v_and_b32_e32 v2, 0x1f8, v2
	s_ashr_i32 s17, s0, 31
	s_mov_b32 s16, s0
	v_add_u32_e32 v98, v0, v16
	v_add3_u32 v99, v0, v1, v2
	s_ashr_i32 s21, s1, 31
	v_lshlrev_b32_e32 v0, 8, v25
	s_lshl_b64 s[16:17], s[16:17], 2
	v_mov_b32_e32 v1, s31
	v_add_co_u32_e32 v2, vcc, s30, v0
	s_add_u32 s16, s6, s16
	v_addc_co_u32_e32 v1, vcc, 0, v1, vcc
	s_addc_u32 s17, s14, s17
	v_mov_b32_e32 v3, s17
	v_add_co_u32_e32 v18, vcc, s16, v2
	v_addc_co_u32_e32 v17, vcc, v3, v1, vcc
	v_mov_b32_e32 v3, s14
	v_add_co_u32_e32 v20, vcc, s6, v2
	s_mov_b32 s20, s1
	v_addc_co_u32_e32 v19, vcc, v3, v1, vcc
	v_mov_b32_e32 v1, s13
	v_add_co_u32_e32 v0, vcc, s12, v0
	s_lshl_b64 s[12:13], s[20:21], 2
	s_add_u32 s6, s18, s12
	v_addc_co_u32_e32 v1, vcc, 0, v1, vcc
	s_addc_u32 s12, s22, s13
	v_mov_b32_e32 v2, s12
	v_add_co_u32_e32 v22, vcc, s6, v0
	v_addc_co_u32_e32 v21, vcc, v2, v1, vcc
	v_mov_b32_e32 v2, s22
	v_add_co_u32_e32 v24, vcc, s18, v0
	v_addc_co_u32_e32 v23, vcc, v2, v1, vcc
	s_lshl_b32 s6, s1, 1
	s_mul_i32 s12, s1, 3
	s_lshl_b32 s13, s0, 1
	s_mul_i32 s14, s0, 3
	;; [unrolled: 2-line block ×3, first 2 shown]
	s_mul_i32 s18, s0, 6
	s_mul_i32 s20, s0, 7
	s_lshl_b32 s21, s0, 3
	s_mul_i32 s22, s0, 9
	s_mul_i32 s23, s0, 10
	;; [unrolled: 1-line block ×7, first 2 shown]
	s_lshl_b32 s31, s0, 4
	s_mul_i32 s33, s0, 17
	s_mul_i32 s34, s0, 18
	;; [unrolled: 1-line block ×15, first 2 shown]
	s_lshl_b32 s48, s0, 5
	s_mul_i32 s49, s0, 33
	s_mul_i32 s50, s0, 34
	;; [unrolled: 1-line block ×24, first 2 shown]
	v_mov_b32_e32 v100, s73
	s_mul_i32 s73, s0, 57
	v_mov_b32_e32 v101, s74
	s_mul_i32 s74, s0, 58
	v_mov_b32_e32 v102, 0
	v_accvgpr_write_b32 a15, 0
	v_accvgpr_write_b32 a14, 0
	;; [unrolled: 1-line block ×16, first 2 shown]
	s_mul_i32 s75, s0, 59
	s_mul_i32 s76, s0, 60
	;; [unrolled: 1-line block ×5, first 2 shown]
	s_movk_i32 s80, 0x400
	s_mov_b64 s[0:1], 0
.LBB86_4:                               ; =>This Inner Loop Header: Depth=1
	v_add_co_u32_e32 v26, vcc, v20, v16
	v_addc_co_u32_e32 v27, vcc, 0, v19, vcc
	global_load_dword v26, v[26:27], off
	v_add_u32_e32 v42, s31, v97
	v_ashrrev_i32_e32 v43, 31, v42
	v_lshlrev_b64 v[42:43], 2, v[42:43]
	v_add_u32_e32 v54, s48, v97
	v_ashrrev_i32_e32 v55, 31, v54
	v_lshlrev_b64 v[54:55], 2, v[54:55]
	;; [unrolled: 3-line block ×3, first 2 shown]
	v_accvgpr_read_b32 v8, a4
	v_accvgpr_read_b32 v7, a11
	;; [unrolled: 1-line block ×8, first 2 shown]
	v_accvgpr_write_b32 a8, v8
	v_accvgpr_write_b32 a9, v9
	;; [unrolled: 1-line block ×4, first 2 shown]
	v_accvgpr_read_b32 v0, a12
	v_accvgpr_read_b32 v12, a0
	;; [unrolled: 1-line block ×8, first 2 shown]
	v_accvgpr_write_b32 a0, v0
	v_accvgpr_write_b32 a4, v4
	;; [unrolled: 1-line block ×12, first 2 shown]
	s_waitcnt vmcnt(0)
	ds_write_b32 v98, v26
	v_add_co_u32_e32 v26, vcc, v18, v16
	v_addc_co_u32_e32 v27, vcc, 0, v17, vcc
	global_load_dword v26, v[26:27], off
	s_waitcnt vmcnt(0)
	ds_write_b32 v98, v26 offset:264
	v_add_u32_e32 v26, s13, v97
	v_ashrrev_i32_e32 v27, 31, v26
	v_lshlrev_b64 v[26:27], 2, v[26:27]
	v_add_co_u32_e32 v26, vcc, s4, v26
	v_addc_co_u32_e32 v27, vcc, v100, v27, vcc
	global_load_dword v26, v[26:27], off
	s_waitcnt vmcnt(0)
	ds_write_b32 v98, v26 offset:528
	v_add_u32_e32 v26, s14, v97
	v_ashrrev_i32_e32 v27, 31, v26
	v_lshlrev_b64 v[26:27], 2, v[26:27]
	;; [unrolled: 8-line block ×14, first 2 shown]
	v_add_co_u32_e32 v26, vcc, s4, v26
	v_addc_co_u32_e32 v27, vcc, v100, v27, vcc
	global_load_dword v26, v[26:27], off
	v_add_co_u32_e32 v42, vcc, s4, v42
	v_addc_co_u32_e32 v43, vcc, v100, v43, vcc
	s_waitcnt vmcnt(0)
	ds_write_b32 v98, v26 offset:3960
	ds_read_b64 v[40:41], v99
	ds_read_b64 v[38:39], v99 offset:32
	ds_read_b64 v[36:37], v99 offset:64
	;; [unrolled: 1-line block ×7, first 2 shown]
	global_load_dword v42, v[42:43], off
	s_waitcnt vmcnt(0)
	ds_write_b32 v98, v42
	v_add_u32_e32 v42, s33, v97
	v_ashrrev_i32_e32 v43, 31, v42
	v_lshlrev_b64 v[42:43], 2, v[42:43]
	v_add_co_u32_e32 v42, vcc, s4, v42
	v_addc_co_u32_e32 v43, vcc, v100, v43, vcc
	global_load_dword v42, v[42:43], off
	s_waitcnt vmcnt(0)
	ds_write_b32 v98, v42 offset:264
	v_add_u32_e32 v42, s34, v97
	v_ashrrev_i32_e32 v43, 31, v42
	v_lshlrev_b64 v[42:43], 2, v[42:43]
	v_add_co_u32_e32 v42, vcc, s4, v42
	v_addc_co_u32_e32 v43, vcc, v100, v43, vcc
	global_load_dword v42, v[42:43], off
	s_waitcnt vmcnt(0)
	ds_write_b32 v98, v42 offset:528
	;; [unrolled: 8-line block ×14, first 2 shown]
	v_add_u32_e32 v42, s47, v97
	v_ashrrev_i32_e32 v43, 31, v42
	v_lshlrev_b64 v[42:43], 2, v[42:43]
	v_add_co_u32_e32 v42, vcc, s4, v42
	v_addc_co_u32_e32 v43, vcc, v100, v43, vcc
	global_load_dword v42, v[42:43], off
	v_add_co_u32_e32 v54, vcc, s4, v54
	v_addc_co_u32_e32 v55, vcc, v100, v55, vcc
	s_waitcnt vmcnt(0)
	ds_write_b32 v98, v42 offset:3960
	ds_read_b64 v[64:65], v99
	ds_read_b64 v[60:61], v99 offset:32
	ds_read_b64 v[52:53], v99 offset:64
	;; [unrolled: 1-line block ×7, first 2 shown]
	global_load_dword v54, v[54:55], off
	s_waitcnt vmcnt(0)
	ds_write_b32 v98, v54
	v_add_u32_e32 v54, s49, v97
	v_ashrrev_i32_e32 v55, 31, v54
	v_lshlrev_b64 v[54:55], 2, v[54:55]
	v_add_co_u32_e32 v54, vcc, s4, v54
	v_addc_co_u32_e32 v55, vcc, v100, v55, vcc
	global_load_dword v54, v[54:55], off
	s_waitcnt vmcnt(0)
	ds_write_b32 v98, v54 offset:264
	v_add_u32_e32 v54, s50, v97
	v_ashrrev_i32_e32 v55, 31, v54
	v_lshlrev_b64 v[54:55], 2, v[54:55]
	v_add_co_u32_e32 v54, vcc, s4, v54
	v_addc_co_u32_e32 v55, vcc, v100, v55, vcc
	global_load_dword v54, v[54:55], off
	s_waitcnt vmcnt(0)
	ds_write_b32 v98, v54 offset:528
	v_add_u32_e32 v54, s51, v97
	v_ashrrev_i32_e32 v55, 31, v54
	v_lshlrev_b64 v[54:55], 2, v[54:55]
	v_add_co_u32_e32 v54, vcc, s4, v54
	v_addc_co_u32_e32 v55, vcc, v100, v55, vcc
	global_load_dword v54, v[54:55], off
	s_waitcnt vmcnt(0)
	ds_write_b32 v98, v54 offset:792
	v_add_u32_e32 v54, s52, v97
	v_ashrrev_i32_e32 v55, 31, v54
	v_lshlrev_b64 v[54:55], 2, v[54:55]
	v_add_co_u32_e32 v54, vcc, s4, v54
	v_addc_co_u32_e32 v55, vcc, v100, v55, vcc
	global_load_dword v54, v[54:55], off
	s_waitcnt vmcnt(0)
	ds_write_b32 v98, v54 offset:1056
	v_add_u32_e32 v54, s53, v97
	v_ashrrev_i32_e32 v55, 31, v54
	v_lshlrev_b64 v[54:55], 2, v[54:55]
	v_add_co_u32_e32 v54, vcc, s4, v54
	v_addc_co_u32_e32 v55, vcc, v100, v55, vcc
	global_load_dword v54, v[54:55], off
	s_waitcnt vmcnt(0)
	ds_write_b32 v98, v54 offset:1320
	v_add_u32_e32 v54, s54, v97
	v_ashrrev_i32_e32 v55, 31, v54
	v_lshlrev_b64 v[54:55], 2, v[54:55]
	v_add_co_u32_e32 v54, vcc, s4, v54
	v_addc_co_u32_e32 v55, vcc, v100, v55, vcc
	global_load_dword v54, v[54:55], off
	s_waitcnt vmcnt(0)
	ds_write_b32 v98, v54 offset:1584
	v_add_u32_e32 v54, s55, v97
	v_ashrrev_i32_e32 v55, 31, v54
	v_lshlrev_b64 v[54:55], 2, v[54:55]
	v_add_co_u32_e32 v54, vcc, s4, v54
	v_addc_co_u32_e32 v55, vcc, v100, v55, vcc
	global_load_dword v54, v[54:55], off
	s_waitcnt vmcnt(0)
	ds_write_b32 v98, v54 offset:1848
	v_add_u32_e32 v54, s56, v97
	v_ashrrev_i32_e32 v55, 31, v54
	v_lshlrev_b64 v[54:55], 2, v[54:55]
	v_add_co_u32_e32 v54, vcc, s4, v54
	v_addc_co_u32_e32 v55, vcc, v100, v55, vcc
	global_load_dword v54, v[54:55], off
	s_waitcnt vmcnt(0)
	ds_write_b32 v98, v54 offset:2112
	v_add_u32_e32 v54, s57, v97
	v_ashrrev_i32_e32 v55, 31, v54
	v_lshlrev_b64 v[54:55], 2, v[54:55]
	v_add_co_u32_e32 v54, vcc, s4, v54
	v_addc_co_u32_e32 v55, vcc, v100, v55, vcc
	global_load_dword v54, v[54:55], off
	s_waitcnt vmcnt(0)
	ds_write_b32 v98, v54 offset:2376
	v_add_u32_e32 v54, s58, v97
	v_ashrrev_i32_e32 v55, 31, v54
	v_lshlrev_b64 v[54:55], 2, v[54:55]
	v_add_co_u32_e32 v54, vcc, s4, v54
	v_addc_co_u32_e32 v55, vcc, v100, v55, vcc
	global_load_dword v54, v[54:55], off
	s_waitcnt vmcnt(0)
	ds_write_b32 v98, v54 offset:2640
	v_add_u32_e32 v54, s59, v97
	v_ashrrev_i32_e32 v55, 31, v54
	v_lshlrev_b64 v[54:55], 2, v[54:55]
	v_add_co_u32_e32 v54, vcc, s4, v54
	v_addc_co_u32_e32 v55, vcc, v100, v55, vcc
	global_load_dword v54, v[54:55], off
	s_waitcnt vmcnt(0)
	ds_write_b32 v98, v54 offset:2904
	v_add_u32_e32 v54, s60, v97
	v_ashrrev_i32_e32 v55, 31, v54
	v_lshlrev_b64 v[54:55], 2, v[54:55]
	v_add_co_u32_e32 v54, vcc, s4, v54
	v_addc_co_u32_e32 v55, vcc, v100, v55, vcc
	global_load_dword v54, v[54:55], off
	s_waitcnt vmcnt(0)
	ds_write_b32 v98, v54 offset:3168
	v_add_u32_e32 v54, s61, v97
	v_ashrrev_i32_e32 v55, 31, v54
	v_lshlrev_b64 v[54:55], 2, v[54:55]
	v_add_co_u32_e32 v54, vcc, s4, v54
	v_addc_co_u32_e32 v55, vcc, v100, v55, vcc
	global_load_dword v54, v[54:55], off
	s_waitcnt vmcnt(0)
	ds_write_b32 v98, v54 offset:3432
	v_add_u32_e32 v54, s62, v97
	v_ashrrev_i32_e32 v55, 31, v54
	v_lshlrev_b64 v[54:55], 2, v[54:55]
	v_add_co_u32_e32 v54, vcc, s4, v54
	v_addc_co_u32_e32 v55, vcc, v100, v55, vcc
	global_load_dword v54, v[54:55], off
	s_waitcnt vmcnt(0)
	ds_write_b32 v98, v54 offset:3696
	v_add_u32_e32 v54, s63, v97
	v_ashrrev_i32_e32 v55, 31, v54
	v_lshlrev_b64 v[54:55], 2, v[54:55]
	v_add_co_u32_e32 v54, vcc, s4, v54
	v_addc_co_u32_e32 v55, vcc, v100, v55, vcc
	global_load_dword v54, v[54:55], off
	v_add_co_u32_e32 v70, vcc, s4, v70
	v_addc_co_u32_e32 v71, vcc, v100, v71, vcc
	s_waitcnt vmcnt(0)
	ds_write_b32 v98, v54 offset:3960
	ds_read_b64 v[74:75], v99
	ds_read_b64 v[72:73], v99 offset:32
	ds_read_b64 v[68:69], v99 offset:64
	;; [unrolled: 1-line block ×7, first 2 shown]
	global_load_dword v70, v[70:71], off
	s_waitcnt vmcnt(0)
	ds_write_b32 v98, v70
	v_add_u32_e32 v70, s65, v97
	v_ashrrev_i32_e32 v71, 31, v70
	v_lshlrev_b64 v[70:71], 2, v[70:71]
	v_add_co_u32_e32 v70, vcc, s4, v70
	v_addc_co_u32_e32 v71, vcc, v100, v71, vcc
	global_load_dword v70, v[70:71], off
	s_waitcnt vmcnt(0)
	ds_write_b32 v98, v70 offset:264
	v_add_u32_e32 v70, s66, v97
	v_ashrrev_i32_e32 v71, 31, v70
	v_lshlrev_b64 v[70:71], 2, v[70:71]
	v_add_co_u32_e32 v70, vcc, s4, v70
	v_addc_co_u32_e32 v71, vcc, v100, v71, vcc
	global_load_dword v70, v[70:71], off
	s_waitcnt vmcnt(0)
	ds_write_b32 v98, v70 offset:528
	;; [unrolled: 8-line block ×14, first 2 shown]
	v_add_u32_e32 v70, s79, v97
	v_ashrrev_i32_e32 v71, 31, v70
	v_lshlrev_b64 v[70:71], 2, v[70:71]
	v_add_co_u32_e32 v70, vcc, s4, v70
	v_addc_co_u32_e32 v71, vcc, v100, v71, vcc
	global_load_dword v70, v[70:71], off
	v_add_co_u32_e32 v90, vcc, v24, v16
	v_addc_co_u32_e32 v91, vcc, 0, v23, vcc
	s_waitcnt vmcnt(0)
	ds_write_b32 v98, v70 offset:3960
	ds_read_b64 v[88:89], v99
	ds_read_b64 v[86:87], v99 offset:32
	ds_read_b64 v[84:85], v99 offset:64
	;; [unrolled: 1-line block ×7, first 2 shown]
	global_load_dword v90, v[90:91], off
	s_waitcnt vmcnt(0)
	ds_write_b32 v98, v90
	v_add_co_u32_e32 v90, vcc, v22, v16
	v_addc_co_u32_e32 v91, vcc, 0, v21, vcc
	global_load_dword v90, v[90:91], off
	s_waitcnt vmcnt(0)
	ds_write_b32 v98, v90 offset:264
	v_add_u32_e32 v90, s6, v97
	v_ashrrev_i32_e32 v91, 31, v90
	v_lshlrev_b64 v[90:91], 2, v[90:91]
	v_add_co_u32_e32 v90, vcc, s5, v90
	v_addc_co_u32_e32 v91, vcc, v101, v91, vcc
	global_load_dword v90, v[90:91], off
	s_waitcnt vmcnt(0)
	ds_write_b32 v98, v90 offset:528
	v_add_u32_e32 v90, s12, v97
	v_ashrrev_i32_e32 v91, 31, v90
	v_lshlrev_b64 v[90:91], 2, v[90:91]
	v_add_co_u32_e32 v90, vcc, s5, v90
	v_addc_co_u32_e32 v91, vcc, v101, v91, vcc
	global_load_dword v90, v[90:91], off
	s_waitcnt vmcnt(0)
	ds_write_b32 v98, v90 offset:792
	ds_write_b32 v98, v102 offset:1056
	;; [unrolled: 1-line block ×13, first 2 shown]
	ds_read_b64 v[92:93], v99
	ds_read_b64 v[90:91], v99 offset:32
	s_waitcnt lgkmcnt(1)
	v_mfma_f32_16x16x4f32 a[8:11], v74, v92, a[8:11]
	ds_read_b64 v[0:1], v99 offset:64
	v_add_co_u32_e32 v18, vcc, s80, v18
	v_addc_co_u32_e32 v17, vcc, 0, v17, vcc
	v_add_co_u32_e32 v20, vcc, 0x400, v20
	v_mfma_f32_16x16x4f32 a[0:3], v40, v92, a[0:3]
	v_addc_co_u32_e32 v19, vcc, 0, v19, vcc
	v_add_co_u32_e32 v22, vcc, 0x400, v22
	v_addc_co_u32_e32 v21, vcc, 0, v21, vcc
	v_add_co_u32_e32 v24, vcc, 0x400, v24
	v_mfma_f32_16x16x4f32 a[4:7], v64, v92, a[4:7]
	v_add_u32_e32 v97, 0x100, v97
	v_addc_co_u32_e32 v23, vcc, 0, v23, vcc
	v_cmp_le_i32_e32 vcc, s9, v97
	s_or_b64 s[0:1], vcc, s[0:1]
	v_mfma_f32_16x16x4f32 a[12:15], v88, v92, a[12:15]
	v_mfma_f32_16x16x4f32 a[8:11], v75, v93, a[8:11]
	;; [unrolled: 1-line block ×5, first 2 shown]
	s_waitcnt lgkmcnt(1)
	v_mfma_f32_16x16x4f32 a[8:11], v72, v90, a[8:11]
	v_mfma_f32_16x16x4f32 a[0:3], v38, v90, a[0:3]
	;; [unrolled: 1-line block ×8, first 2 shown]
	s_waitcnt lgkmcnt(0)
	v_mfma_f32_16x16x4f32 a[8:11], v68, v0, a[8:11]
	v_mfma_f32_16x16x4f32 a[0:3], v36, v0, a[0:3]
	v_mfma_f32_16x16x4f32 a[4:7], v52, v0, a[4:7]
	v_mfma_f32_16x16x4f32 a[12:15], v84, v0, a[12:15]
	v_mfma_f32_16x16x4f32 a[8:11], v69, v1, a[8:11]
	v_mfma_f32_16x16x4f32 a[0:3], v37, v1, a[0:3]
	v_mfma_f32_16x16x4f32 a[4:7], v53, v1, a[4:7]
	v_mfma_f32_16x16x4f32 a[12:15], v85, v1, a[12:15]
	ds_read_b64 v[0:1], v99 offset:96
	s_waitcnt lgkmcnt(0)
	v_mfma_f32_16x16x4f32 a[8:11], v66, v0, a[8:11]
	v_mfma_f32_16x16x4f32 a[0:3], v34, v0, a[0:3]
	v_mfma_f32_16x16x4f32 a[4:7], v50, v0, a[4:7]
	v_mfma_f32_16x16x4f32 a[12:15], v82, v0, a[12:15]
	v_mfma_f32_16x16x4f32 a[8:11], v67, v1, a[8:11]
	v_mfma_f32_16x16x4f32 a[0:3], v35, v1, a[0:3]
	v_mfma_f32_16x16x4f32 a[4:7], v51, v1, a[4:7]
	v_mfma_f32_16x16x4f32 a[12:15], v83, v1, a[12:15]
	ds_read_b64 v[0:1], v99 offset:128
	;; [unrolled: 10-line block ×5, first 2 shown]
	s_waitcnt lgkmcnt(0)
	v_mfma_f32_16x16x4f32 a[0:3], v26, v0, a[0:3]
	v_mfma_f32_16x16x4f32 a[12:15], v27, v1, a[0:3]
	v_mfma_f32_16x16x4f32 a[0:3], v42, v0, a[4:7]
	v_mfma_f32_16x16x4f32 a[8:11], v43, v1, a[0:3]
	v_mfma_f32_16x16x4f32 a[0:3], v54, v0, a[16:19]
	v_mfma_f32_16x16x4f32 a[4:7], v55, v1, a[0:3]
	v_mfma_f32_16x16x4f32 a[0:3], v70, v0, a[20:23]
	v_mfma_f32_16x16x4f32 a[0:3], v71, v1, a[0:3]
	s_andn2_b64 exec, exec, s[0:1]
	s_cbranch_execnz .LBB86_4
; %bb.5:
	s_or_b64 exec, exec, s[0:1]
.LBB86_6:
	s_or_b64 exec, exec, s[24:25]
	v_mul_u32_u24_e32 v0, 0x408, v96
	v_lshlrev_b32_e32 v1, 2, v95
	v_or_b32_e32 v2, 12, v94
	v_add3_u32 v0, 0, v0, v1
	v_and_b32_e32 v1, 0x3f0, v94
	v_and_b32_e32 v2, 0x3fc, v2
	v_add_u32_e32 v1, v0, v1
	v_add_u32_e32 v0, v0, v2
	s_waitcnt lgkmcnt(0)
	s_barrier
	ds_write2_b32 v1, a12, a13 offset1:1
	ds_write_b32 v1, a14 offset:8
	ds_write_b32 v0, a15
	ds_write2_b32 v1, a8, a9 offset0:16 offset1:17
	ds_write_b32 v1, a10 offset:72
	ds_write_b32 v0, a11 offset:64
	ds_write2_b32 v1, a4, a5 offset0:32 offset1:33
	ds_write_b32 v1, a6 offset:136
	ds_write_b32 v0, a7 offset:128
	;; [unrolled: 3-line block ×3, first 2 shown]
	v_mul_u32_u24_e32 v0, 0x408, v25
	v_add3_u32 v2, 0, v0, v16
	s_waitcnt lgkmcnt(0)
	s_barrier
	ds_read2st64_b32 v[0:1], v2 offset1:1
	ds_read2st64_b32 v[2:3], v2 offset0:2 offset1:3
	s_mul_hi_i32 s1, s19, s8
	s_mul_i32 s0, s19, s8
	s_lshl_b64 s[0:1], s[0:1], 2
	s_waitcnt lgkmcnt(1)
	v_add_f32_e32 v0, 0, v0
	v_add_f32_e32 v0, v0, v1
	s_add_u32 s4, s10, s0
	s_mul_i32 s0, s7, s15
	s_waitcnt lgkmcnt(0)
	v_add_f32_e32 v0, v0, v2
	s_addc_u32 s5, s11, s1
	s_ashr_i32 s1, s0, 31
	v_add_f32_e32 v2, v0, v3
	s_lshl_b64 s[0:1], s[0:1], 2
	v_mul_lo_u32 v0, v25, s2
	s_add_u32 s0, s4, s0
	v_add3_u32 v0, s3, v94, v0
	v_mov_b32_e32 v1, 0
	s_addc_u32 s1, s5, s1
	v_lshlrev_b64 v[0:1], 2, v[0:1]
	v_mov_b32_e32 v3, s1
	v_add_co_u32_e32 v0, vcc, s0, v0
	v_addc_co_u32_e32 v1, vcc, v3, v1, vcc
	global_store_dword v[0:1], v2, off
	s_endpgm
	.section	.rodata,"a",@progbits
	.p2align	6, 0x0
	.amdhsa_kernel _ZL9mul_mat_fIfLi64ELi4ELi4ELb0EEvPKT_PKfPKiPfiiiiiiiiiiiiiiii
		.amdhsa_group_segment_fixed_size 0
		.amdhsa_private_segment_fixed_size 0
		.amdhsa_kernarg_size 96
		.amdhsa_user_sgpr_count 6
		.amdhsa_user_sgpr_private_segment_buffer 1
		.amdhsa_user_sgpr_dispatch_ptr 0
		.amdhsa_user_sgpr_queue_ptr 0
		.amdhsa_user_sgpr_kernarg_segment_ptr 1
		.amdhsa_user_sgpr_dispatch_id 0
		.amdhsa_user_sgpr_flat_scratch_init 0
		.amdhsa_user_sgpr_kernarg_preload_length 0
		.amdhsa_user_sgpr_kernarg_preload_offset 0
		.amdhsa_user_sgpr_private_segment_size 0
		.amdhsa_uses_dynamic_stack 0
		.amdhsa_system_sgpr_private_segment_wavefront_offset 0
		.amdhsa_system_sgpr_workgroup_id_x 1
		.amdhsa_system_sgpr_workgroup_id_y 1
		.amdhsa_system_sgpr_workgroup_id_z 1
		.amdhsa_system_sgpr_workgroup_info 0
		.amdhsa_system_vgpr_workitem_id 1
		.amdhsa_next_free_vgpr 128
		.amdhsa_next_free_sgpr 81
		.amdhsa_accum_offset 104
		.amdhsa_reserve_vcc 1
		.amdhsa_reserve_flat_scratch 0
		.amdhsa_float_round_mode_32 0
		.amdhsa_float_round_mode_16_64 0
		.amdhsa_float_denorm_mode_32 3
		.amdhsa_float_denorm_mode_16_64 3
		.amdhsa_dx10_clamp 1
		.amdhsa_ieee_mode 1
		.amdhsa_fp16_overflow 0
		.amdhsa_tg_split 0
		.amdhsa_exception_fp_ieee_invalid_op 0
		.amdhsa_exception_fp_denorm_src 0
		.amdhsa_exception_fp_ieee_div_zero 0
		.amdhsa_exception_fp_ieee_overflow 0
		.amdhsa_exception_fp_ieee_underflow 0
		.amdhsa_exception_fp_ieee_inexact 0
		.amdhsa_exception_int_div_zero 0
	.end_amdhsa_kernel
	.section	.text._ZL9mul_mat_fIfLi64ELi4ELi4ELb0EEvPKT_PKfPKiPfiiiiiiiiiiiiiiii,"axG",@progbits,_ZL9mul_mat_fIfLi64ELi4ELi4ELb0EEvPKT_PKfPKiPfiiiiiiiiiiiiiiii,comdat
.Lfunc_end86:
	.size	_ZL9mul_mat_fIfLi64ELi4ELi4ELb0EEvPKT_PKfPKiPfiiiiiiiiiiiiiiii, .Lfunc_end86-_ZL9mul_mat_fIfLi64ELi4ELi4ELb0EEvPKT_PKfPKiPfiiiiiiiiiiiiiiii
                                        ; -- End function
	.section	.AMDGPU.csdata,"",@progbits
; Kernel info:
; codeLenInByte = 5660
; NumSgprs: 85
; NumVgprs: 103
; NumAgprs: 24
; TotalNumVgprs: 128
; ScratchSize: 0
; MemoryBound: 0
; FloatMode: 240
; IeeeMode: 1
; LDSByteSize: 0 bytes/workgroup (compile time only)
; SGPRBlocks: 10
; VGPRBlocks: 15
; NumSGPRsForWavesPerEU: 85
; NumVGPRsForWavesPerEU: 128
; AccumOffset: 104
; Occupancy: 4
; WaveLimiterHint : 0
; COMPUTE_PGM_RSRC2:SCRATCH_EN: 0
; COMPUTE_PGM_RSRC2:USER_SGPR: 6
; COMPUTE_PGM_RSRC2:TRAP_HANDLER: 0
; COMPUTE_PGM_RSRC2:TGID_X_EN: 1
; COMPUTE_PGM_RSRC2:TGID_Y_EN: 1
; COMPUTE_PGM_RSRC2:TGID_Z_EN: 1
; COMPUTE_PGM_RSRC2:TIDIG_COMP_CNT: 1
; COMPUTE_PGM_RSRC3_GFX90A:ACCUM_OFFSET: 25
; COMPUTE_PGM_RSRC3_GFX90A:TG_SPLIT: 0
	.section	.text._ZL13mul_mat_f_idsIfLi64ELi4ELi5EEvPKT_PKfPKiS6_S6_Pfiiiiiiiiiiiiii15HIP_vector_typeIjLj3EES9_,"axG",@progbits,_ZL13mul_mat_f_idsIfLi64ELi4ELi5EEvPKT_PKfPKiS6_S6_Pfiiiiiiiiiiiiii15HIP_vector_typeIjLj3EES9_,comdat
	.globl	_ZL13mul_mat_f_idsIfLi64ELi4ELi5EEvPKT_PKfPKiS6_S6_Pfiiiiiiiiiiiiii15HIP_vector_typeIjLj3EES9_ ; -- Begin function _ZL13mul_mat_f_idsIfLi64ELi4ELi5EEvPKT_PKfPKiS6_S6_Pfiiiiiiiiiiiiii15HIP_vector_typeIjLj3EES9_
	.p2align	8
	.type	_ZL13mul_mat_f_idsIfLi64ELi4ELi5EEvPKT_PKfPKiS6_S6_Pfiiiiiiiiiiiiii15HIP_vector_typeIjLj3EES9_,@function
_ZL13mul_mat_f_idsIfLi64ELi4ELi5EEvPKT_PKfPKiS6_S6_Pfiiiiiiiiiiiiii15HIP_vector_typeIjLj3EES9_: ; @_ZL13mul_mat_f_idsIfLi64ELi4ELi5EEvPKT_PKfPKiS6_S6_Pfiiiiiiiiiiiiii15HIP_vector_typeIjLj3EES9_
; %bb.0:
	s_load_dwordx2 s[0:1], s[4:5], 0x20
	s_mov_b32 s34, s7
	s_ashr_i32 s35, s7, 31
	s_lshl_b64 s[2:3], s[34:35], 2
	s_waitcnt lgkmcnt(0)
	s_add_u32 s0, s0, s2
	s_addc_u32 s1, s1, s3
	s_load_dwordx2 s[26:27], s[0:1], 0x0
	s_waitcnt lgkmcnt(0)
	s_sub_i32 s33, s27, s26
	s_add_i32 s0, s33, 3
	s_ashr_i32 s1, s0, 31
	s_lshr_b32 s1, s1, 30
	s_add_i32 s0, s0, s1
	s_ashr_i32 s0, s0, 2
	s_cmp_ge_i32 s8, s0
	s_cbranch_scc1 .LBB87_23
; %bb.1:
	v_bfe_u32 v83, v0, 10, 10
	v_lshlrev_b32_e32 v84, 6, v83
	v_and_b32_e32 v82, 0x3ff, v0
	s_load_dwordx4 s[12:15], s[4:5], 0x30
	s_load_dwordx2 s[20:21], s[4:5], 0x40
	s_load_dwordx4 s[0:3], s[4:5], 0x4c
	s_load_dwordx4 s[16:19], s[4:5], 0x68
	s_load_dwordx2 s[24:25], s[4:5], 0x78
	v_add_u32_e32 v86, v84, v82
	s_ashr_i32 s27, s26, 31
	s_waitcnt lgkmcnt(0)
	v_cmp_le_i32_e32 vcc, s12, v86
	v_and_b32_e32 v85, 15, v82
                                        ; implicit-def: $sgpr3
	s_and_saveexec_b64 s[10:11], vcc
	s_xor_b64 s[10:11], exec, s[10:11]
; %bb.2:
	v_and_b32_e32 v85, 15, v82
	s_mov_b32 s3, 0
                                        ; implicit-def: $vgpr86
; %bb.3:
	s_or_saveexec_b64 s[22:23], s[10:11]
	s_load_dwordx2 s[10:11], s[4:5], 0x18
                                        ; implicit-def: $vgpr100 : SGPR spill to VGPR lane
	s_lshl_b32 s7, s6, 6
	s_lshl_b32 s6, s8, 2
	v_mov_b32_e32 v15, s3
	v_mov_b32_e32 v14, s3
	s_waitcnt lgkmcnt(0)
	v_writelane_b32 v100, s10, 0
	v_writelane_b32 v100, s11, 1
	s_load_dwordx2 s[10:11], s[4:5], 0x28
	v_mov_b32_e32 v13, s3
	v_mov_b32_e32 v12, s3
	;; [unrolled: 1-line block ×4, first 2 shown]
	s_waitcnt lgkmcnt(0)
	v_writelane_b32 v100, s10, 2
	v_writelane_b32 v100, s11, 3
	v_mov_b32_e32 v5, s3
	v_mov_b32_e32 v4, s3
	;; [unrolled: 1-line block ×10, first 2 shown]
	v_writelane_b32 v100, s22, 4
	v_writelane_b32 v100, s23, 5
	s_xor_b64 exec, exec, s[22:23]
	s_cbranch_execz .LBB87_19
; %bb.4:
	v_writelane_b32 v100, s24, 6
	v_writelane_b32 v100, s25, 7
	s_load_dwordx4 s[8:11], s[4:5], 0x0
	s_load_dwordx2 s[22:23], s[4:5], 0x10
	s_mul_i32 s4, s34, s0
	s_mul_i32 s24, s7, s15
	s_ashr_i32 s5, s4, 31
	s_ashr_i32 s25, s24, 31
	s_lshl_b64 s[24:25], s[24:25], 2
	s_lshl_b64 s[4:5], s[4:5], 2
	s_add_u32 s3, s4, s24
	s_addc_u32 s24, s5, s25
	s_waitcnt lgkmcnt(0)
	s_add_u32 s0, s3, s8
	s_addc_u32 s25, s24, s9
	s_lshl_b64 s[4:5], s[26:27], 2
	s_add_u32 s28, s22, s4
	s_addc_u32 s29, s23, s5
	s_movk_i32 s4, 0x1080
	s_cmp_lt_i32 s6, s33
	v_writelane_b32 v100, s7, 8
	v_mad_u32_u24 v0, v83, s4, 0
	s_cselect_b64 s[4:5], -1, 0
	s_ashr_i32 s7, s6, 31
	s_lshl_b64 s[22:23], s[6:7], 2
	s_add_u32 s34, s28, s22
	v_lshrrev_b32_e32 v3, 1, v82
	s_addc_u32 s35, s29, s23
	s_or_b32 s7, s6, 1
	v_lshlrev_b32_e32 v1, 2, v82
	v_mul_u32_u24_e32 v2, 0x108, v85
	v_and_b32_e32 v3, 0x1f8, v3
	s_cmp_lt_i32 s7, s33
	v_add_u32_e32 v87, v0, v1
	v_add3_u32 v88, v0, v2, v3
	s_cselect_b64 s[36:37], -1, 0
	s_or_b32 s7, s6, 2
	v_lshlrev_b32_e32 v0, 8, v83
	s_cmp_lt_i32 s7, s33
	v_mov_b32_e32 v2, s24
	v_add_co_u32_e32 v0, vcc, s3, v0
	s_cselect_b64 s[38:39], -1, 0
	s_or_b32 s7, s6, 3
	v_addc_co_u32_e32 v2, vcc, 0, v2, vcc
	s_cmp_lt_i32 s7, s33
	v_add_co_u32_e32 v0, vcc, v0, v1
	s_cselect_b64 s[40:41], -1, 0
	s_ashr_i32 s23, s15, 31
	s_mov_b32 s22, s15
	v_addc_co_u32_e32 v1, vcc, 0, v2, vcc
	s_lshl_b64 s[42:43], s[22:23], 2
	v_mov_b32_e32 v2, s9
	v_add_co_u32_e32 v16, vcc, s8, v0
	v_mov_b32_e32 v0, 0
	v_addc_co_u32_e32 v17, vcc, v2, v1, vcc
	s_lshl_b32 s7, s15, 1
	s_mul_i32 s44, s15, 3
	s_lshl_b32 s45, s15, 2
	s_mul_i32 s46, s15, 5
	s_mul_i32 s47, s15, 6
	;; [unrolled: 1-line block ×3, first 2 shown]
	s_lshl_b32 s49, s15, 3
	s_mul_i32 s50, s15, 9
	s_mul_i32 s51, s15, 10
	;; [unrolled: 1-line block ×7, first 2 shown]
	s_lshl_b32 s57, s15, 4
	s_mul_i32 s58, s15, 17
	s_mul_i32 s59, s15, 18
	;; [unrolled: 1-line block ×15, first 2 shown]
	s_lshl_b32 s73, s15, 5
	s_mul_i32 s74, s15, 33
	s_mul_i32 s75, s15, 34
	;; [unrolled: 1-line block ×15, first 2 shown]
	v_mov_b32_e32 v89, s25
	s_mul_i32 s89, s15, 48
	v_mov_b32_e32 v90, s43
	v_mov_b32_e32 v91, 0
	;; [unrolled: 1-line block ×17, first 2 shown]
	s_mul_i32 s43, s15, 49
	s_mul_i32 s90, s15, 50
	;; [unrolled: 1-line block ×15, first 2 shown]
	s_mov_b64 s[8:9], 0
	s_branch .LBB87_6
.LBB87_5:                               ;   in Loop: Header=BB87_6 Depth=1
	s_waitcnt vmcnt(0)
	ds_write2_b32 v87, v92, v94 offset1:66
	ds_write2_b32 v87, v93, v95 offset0:132 offset1:198
	v_add_u32_e32 v92, 0x400, v87
	ds_write2_b32 v92, v91, v91 offset0:8 offset1:74
	ds_write2_b32 v92, v91, v91 offset0:140 offset1:206
	v_add_u32_e32 v92, 0x800, v87
	ds_write2_b32 v92, v91, v91 offset0:16 offset1:82
	;; [unrolled: 3-line block ×3, first 2 shown]
	ds_write2_b32 v92, v91, v91 offset0:156 offset1:222
	ds_read2_b64 v[92:95], v88 offset1:4
	v_add_co_u32_e32 v16, vcc, 0x500, v16
	s_waitcnt lgkmcnt(0)
	v_mfma_f32_16x16x4f32 v[0:3], v46, v92, v[0:3]
	v_add_u32_e32 v86, 0x140, v86
	v_addc_co_u32_e32 v17, vcc, 0, v17, vcc
	v_cmp_le_i32_e32 vcc, s12, v86
	s_or_b64 s[8:9], vcc, s[8:9]
	v_mfma_f32_16x16x4f32 v[8:11], v58, v92, v[8:11]
	v_mfma_f32_16x16x4f32 v[4:7], v64, v92, v[4:7]
	;; [unrolled: 1-line block ×14, first 2 shown]
	ds_read2_b64 v[62:65], v88 offset0:8 offset1:12
	v_mfma_f32_16x16x4f32 v[12:15], v79, v95, v[12:15]
	s_waitcnt lgkmcnt(0)
	v_mfma_f32_16x16x4f32 v[0:3], v34, v62, v[0:3]
	v_mfma_f32_16x16x4f32 v[8:11], v50, v62, v[8:11]
	;; [unrolled: 1-line block ×14, first 2 shown]
	ds_read2_b64 v[44:47], v88 offset0:16 offset1:20
	v_mfma_f32_16x16x4f32 v[4:7], v57, v65, v[4:7]
	v_mfma_f32_16x16x4f32 v[12:15], v75, v65, v[12:15]
	s_waitcnt lgkmcnt(0)
	v_mfma_f32_16x16x4f32 v[0:3], v26, v44, v[0:3]
	v_mfma_f32_16x16x4f32 v[8:11], v38, v44, v[8:11]
	;; [unrolled: 1-line block ×14, first 2 shown]
	ds_read2_b64 v[30:33], v88 offset0:24 offset1:28
	v_mfma_f32_16x16x4f32 v[4:7], v49, v47, v[4:7]
	v_mfma_f32_16x16x4f32 v[12:15], v71, v47, v[12:15]
	s_waitcnt lgkmcnt(0)
	v_mfma_f32_16x16x4f32 v[0:3], v20, v30, v[0:3]
	v_mfma_f32_16x16x4f32 v[8:11], v28, v30, v[8:11]
	;; [unrolled: 1-line block ×16, first 2 shown]
	s_andn2_b64 exec, exec, s[8:9]
	s_cbranch_execz .LBB87_18
.LBB87_6:                               ; =>This Inner Loop Header: Depth=1
	v_add_co_u32_e32 v18, vcc, s42, v16
	v_addc_co_u32_e32 v19, vcc, v17, v90, vcc
	global_load_dword v30, v[16:17], off
	global_load_dword v31, v[18:19], off
	v_add_u32_e32 v18, s7, v86
	v_ashrrev_i32_e32 v19, 31, v18
	v_lshlrev_b64 v[18:19], 2, v[18:19]
	v_add_u32_e32 v20, s44, v86
	v_add_co_u32_e32 v18, vcc, s0, v18
	v_ashrrev_i32_e32 v21, 31, v20
	v_addc_co_u32_e32 v19, vcc, v89, v19, vcc
	v_lshlrev_b64 v[20:21], 2, v[20:21]
	v_add_u32_e32 v22, s45, v86
	v_add_co_u32_e32 v20, vcc, s0, v20
	v_ashrrev_i32_e32 v23, 31, v22
	v_addc_co_u32_e32 v21, vcc, v89, v21, vcc
	;; [unrolled: 5-line block ×5, first 2 shown]
	v_lshlrev_b64 v[28:29], 2, v[28:29]
	v_add_co_u32_e32 v28, vcc, s0, v28
	v_addc_co_u32_e32 v29, vcc, v89, v29, vcc
	global_load_dword v32, v[18:19], off
	global_load_dword v33, v[20:21], off
	;; [unrolled: 1-line block ×3, first 2 shown]
	s_nop 0
	global_load_dword v24, v[24:25], off
	s_nop 0
	global_load_dword v25, v[26:27], off
	;; [unrolled: 2-line block ×3, first 2 shown]
	v_add_u32_e32 v18, s49, v86
	v_ashrrev_i32_e32 v19, 31, v18
	v_add_u32_e32 v20, s50, v86
	v_lshlrev_b64 v[18:19], 2, v[18:19]
	v_ashrrev_i32_e32 v21, 31, v20
	v_add_co_u32_e32 v18, vcc, s0, v18
	v_add_u32_e32 v22, s51, v86
	v_lshlrev_b64 v[20:21], 2, v[20:21]
	v_addc_co_u32_e32 v19, vcc, v89, v19, vcc
	v_ashrrev_i32_e32 v23, 31, v22
	v_add_co_u32_e32 v20, vcc, s0, v20
	v_lshlrev_b64 v[22:23], 2, v[22:23]
	v_addc_co_u32_e32 v21, vcc, v89, v21, vcc
	global_load_dword v18, v[18:19], off
	s_nop 0
	global_load_dword v19, v[20:21], off
	v_add_u32_e32 v20, s52, v86
	v_add_co_u32_e32 v22, vcc, s0, v22
	v_ashrrev_i32_e32 v21, 31, v20
	v_addc_co_u32_e32 v23, vcc, v89, v23, vcc
	v_lshlrev_b64 v[20:21], 2, v[20:21]
	v_add_u32_e32 v38, s64, v86
	v_ashrrev_i32_e32 v39, 31, v38
	v_lshlrev_b64 v[38:39], 2, v[38:39]
	v_add_u32_e32 v40, s65, v86
	v_ashrrev_i32_e32 v41, 31, v40
	;; [unrolled: 3-line block ×5, first 2 shown]
	v_lshlrev_b64 v[58:59], 2, v[58:59]
	s_waitcnt vmcnt(9)
	ds_write_b32 v87, v30
	s_waitcnt vmcnt(8)
	ds_write_b32 v87, v31 offset:264
	s_waitcnt vmcnt(7)
	ds_write_b32 v87, v32 offset:528
	;; [unrolled: 2-line block ×7, first 2 shown]
	v_add_co_u32_e32 v24, vcc, s0, v20
	v_add_u32_e32 v20, s53, v86
	v_addc_co_u32_e32 v25, vcc, v89, v21, vcc
	v_ashrrev_i32_e32 v21, 31, v20
	v_lshlrev_b64 v[20:21], 2, v[20:21]
	v_add_co_u32_e32 v26, vcc, s0, v20
	v_add_u32_e32 v20, s54, v86
	v_addc_co_u32_e32 v27, vcc, v89, v21, vcc
	v_ashrrev_i32_e32 v21, 31, v20
	v_lshlrev_b64 v[20:21], 2, v[20:21]
	;; [unrolled: 5-line block ×6, first 2 shown]
	v_add_co_u32_e32 v36, vcc, s0, v20
	v_addc_co_u32_e32 v37, vcc, v89, v21, vcc
	global_load_dword v20, v[22:23], off
	global_load_dword v21, v[24:25], off
	s_nop 0
	global_load_dword v22, v[26:27], off
	global_load_dword v23, v[28:29], off
	s_nop 0
	global_load_dword v26, v[30:31], off
	global_load_dword v27, v[32:33], off
	;; [unrolled: 1-line block ×4, first 2 shown]
	v_add_u32_e32 v28, s59, v86
	v_ashrrev_i32_e32 v29, 31, v28
	v_lshlrev_b64 v[28:29], 2, v[28:29]
	v_add_u32_e32 v30, s60, v86
	v_add_co_u32_e32 v28, vcc, s0, v28
	v_ashrrev_i32_e32 v31, 31, v30
	v_addc_co_u32_e32 v29, vcc, v89, v29, vcc
	v_lshlrev_b64 v[30:31], 2, v[30:31]
	v_add_u32_e32 v32, s61, v86
	v_add_co_u32_e32 v30, vcc, s0, v30
	v_ashrrev_i32_e32 v33, 31, v32
	v_addc_co_u32_e32 v31, vcc, v89, v31, vcc
	;; [unrolled: 5-line block ×4, first 2 shown]
	v_lshlrev_b64 v[36:37], 2, v[36:37]
	v_add_co_u32_e32 v36, vcc, s0, v36
	v_addc_co_u32_e32 v37, vcc, v89, v37, vcc
	v_add_co_u32_e32 v38, vcc, s0, v38
	v_addc_co_u32_e32 v39, vcc, v89, v39, vcc
	;; [unrolled: 2-line block ×4, first 2 shown]
	global_load_dword v28, v[28:29], off
	s_nop 0
	global_load_dword v29, v[30:31], off
	s_nop 0
	;; [unrolled: 2-line block ×6, first 2 shown]
	global_load_dword v38, v[40:41], off
	global_load_dword v39, v[42:43], off
	v_add_u32_e32 v30, s67, v86
	v_ashrrev_i32_e32 v31, 31, v30
	v_lshlrev_b64 v[30:31], 2, v[30:31]
	v_add_u32_e32 v34, s68, v86
	v_add_co_u32_e32 v30, vcc, s0, v30
	v_ashrrev_i32_e32 v35, 31, v34
	v_addc_co_u32_e32 v31, vcc, v89, v31, vcc
	v_lshlrev_b64 v[34:35], 2, v[34:35]
	v_add_u32_e32 v40, s69, v86
	v_add_co_u32_e32 v34, vcc, s0, v34
	v_ashrrev_i32_e32 v41, 31, v40
	v_addc_co_u32_e32 v35, vcc, v89, v35, vcc
	v_lshlrev_b64 v[40:41], 2, v[40:41]
	v_add_u32_e32 v42, s70, v86
	v_add_co_u32_e32 v40, vcc, s0, v40
	v_ashrrev_i32_e32 v43, 31, v42
	v_addc_co_u32_e32 v41, vcc, v89, v41, vcc
	v_lshlrev_b64 v[42:43], 2, v[42:43]
	v_add_co_u32_e32 v42, vcc, s0, v42
	v_addc_co_u32_e32 v43, vcc, v89, v43, vcc
	v_add_co_u32_e32 v46, vcc, s0, v44
	v_add_u32_e32 v44, s72, v86
	v_addc_co_u32_e32 v47, vcc, v89, v45, vcc
	v_ashrrev_i32_e32 v45, 31, v44
	v_lshlrev_b64 v[44:45], 2, v[44:45]
	v_add_co_u32_e32 v52, vcc, s0, v44
	v_add_u32_e32 v44, s73, v86
	v_addc_co_u32_e32 v53, vcc, v89, v45, vcc
	v_ashrrev_i32_e32 v45, 31, v44
	v_lshlrev_b64 v[44:45], 2, v[44:45]
	;; [unrolled: 5-line block ×3, first 2 shown]
	v_add_co_u32_e32 v56, vcc, s0, v44
	v_addc_co_u32_e32 v57, vcc, v89, v45, vcc
	global_load_dword v44, v[30:31], off
	global_load_dword v45, v[34:35], off
	;; [unrolled: 1-line block ×6, first 2 shown]
	s_nop 0
	global_load_dword v42, v[54:55], off
	global_load_dword v43, v[56:57], off
	v_add_u32_e32 v30, s75, v86
	v_ashrrev_i32_e32 v31, 31, v30
	v_lshlrev_b64 v[30:31], 2, v[30:31]
	v_add_u32_e32 v34, s76, v86
	v_add_co_u32_e32 v30, vcc, s0, v30
	v_ashrrev_i32_e32 v35, 31, v34
	v_addc_co_u32_e32 v31, vcc, v89, v31, vcc
	v_lshlrev_b64 v[34:35], 2, v[34:35]
	v_add_u32_e32 v40, s77, v86
	v_add_co_u32_e32 v34, vcc, s0, v34
	v_ashrrev_i32_e32 v41, 31, v40
	v_addc_co_u32_e32 v35, vcc, v89, v35, vcc
	;; [unrolled: 5-line block ×6, first 2 shown]
	v_lshlrev_b64 v[56:57], 2, v[56:57]
	v_add_co_u32_e32 v56, vcc, s0, v56
	v_addc_co_u32_e32 v57, vcc, v89, v57, vcc
	v_add_co_u32_e32 v58, vcc, s0, v58
	v_addc_co_u32_e32 v59, vcc, v89, v59, vcc
	global_load_dword v60, v[30:31], off
	global_load_dword v61, v[34:35], off
	;; [unrolled: 1-line block ×8, first 2 shown]
	v_add_u32_e32 v30, s83, v86
	v_ashrrev_i32_e32 v31, 31, v30
	v_lshlrev_b64 v[30:31], 2, v[30:31]
	v_add_u32_e32 v34, s84, v86
	v_add_co_u32_e32 v30, vcc, s0, v30
	v_ashrrev_i32_e32 v35, 31, v34
	v_addc_co_u32_e32 v31, vcc, v89, v31, vcc
	v_lshlrev_b64 v[34:35], 2, v[34:35]
	v_add_u32_e32 v40, s85, v86
	v_add_co_u32_e32 v34, vcc, s0, v34
	v_ashrrev_i32_e32 v41, 31, v40
	v_addc_co_u32_e32 v35, vcc, v89, v35, vcc
	;; [unrolled: 5-line block ×7, first 2 shown]
	v_lshlrev_b64 v[58:59], 2, v[58:59]
	v_add_co_u32_e32 v58, vcc, s0, v58
	v_addc_co_u32_e32 v59, vcc, v89, v59, vcc
	global_load_dword v68, v[30:31], off
	global_load_dword v69, v[34:35], off
	;; [unrolled: 1-line block ×8, first 2 shown]
	v_add_u32_e32 v30, s90, v86
	v_ashrrev_i32_e32 v31, 31, v30
	v_lshlrev_b64 v[30:31], 2, v[30:31]
	v_add_u32_e32 v34, s91, v86
	v_add_co_u32_e32 v30, vcc, s0, v30
	v_ashrrev_i32_e32 v35, 31, v34
	v_addc_co_u32_e32 v31, vcc, v89, v31, vcc
	v_lshlrev_b64 v[34:35], 2, v[34:35]
	v_add_u32_e32 v40, s92, v86
	v_add_co_u32_e32 v34, vcc, s0, v34
	v_ashrrev_i32_e32 v41, 31, v40
	v_addc_co_u32_e32 v35, vcc, v89, v35, vcc
	;; [unrolled: 5-line block ×7, first 2 shown]
	v_lshlrev_b64 v[58:59], 2, v[58:59]
	v_add_co_u32_e32 v58, vcc, s0, v58
	v_addc_co_u32_e32 v59, vcc, v89, v59, vcc
	global_load_dword v76, v[30:31], off
	global_load_dword v77, v[34:35], off
	;; [unrolled: 1-line block ×8, first 2 shown]
	v_add_u32_e32 v30, s22, v86
	v_ashrrev_i32_e32 v31, 31, v30
	v_lshlrev_b64 v[30:31], 2, v[30:31]
	v_add_u32_e32 v34, s23, v86
	v_add_co_u32_e32 v30, vcc, s0, v30
	v_ashrrev_i32_e32 v35, 31, v34
	v_addc_co_u32_e32 v31, vcc, v89, v31, vcc
	v_lshlrev_b64 v[34:35], 2, v[34:35]
	v_add_u32_e32 v40, s28, v86
	v_add_co_u32_e32 v34, vcc, s0, v34
	v_ashrrev_i32_e32 v41, 31, v40
	v_addc_co_u32_e32 v35, vcc, v89, v35, vcc
	v_lshlrev_b64 v[40:41], 2, v[40:41]
	v_add_u32_e32 v46, s29, v86
	v_add_co_u32_e32 v40, vcc, s0, v40
	v_ashrrev_i32_e32 v47, 31, v46
	v_addc_co_u32_e32 v41, vcc, v89, v41, vcc
	v_lshlrev_b64 v[46:47], 2, v[46:47]
	v_add_u32_e32 v52, s3, v86
	v_add_co_u32_e32 v46, vcc, s0, v46
	v_ashrrev_i32_e32 v53, 31, v52
	v_addc_co_u32_e32 v47, vcc, v89, v47, vcc
	v_lshlrev_b64 v[52:53], 2, v[52:53]
	v_add_u32_e32 v54, s15, v86
	v_add_co_u32_e32 v52, vcc, s0, v52
	v_ashrrev_i32_e32 v55, 31, v54
	v_addc_co_u32_e32 v53, vcc, v89, v53, vcc
	v_lshlrev_b64 v[54:55], 2, v[54:55]
	v_add_co_u32_e32 v54, vcc, s0, v54
	v_addc_co_u32_e32 v55, vcc, v89, v55, vcc
	global_load_dword v94, v[30:31], off
	global_load_dword v95, v[34:35], off
	;; [unrolled: 1-line block ×6, first 2 shown]
	s_waitcnt vmcnt(55)
	ds_write_b32 v87, v18 offset:2112
	s_waitcnt vmcnt(54)
	ds_write_b32 v87, v19 offset:2376
	s_waitcnt vmcnt(53)
	ds_write_b32 v87, v20 offset:2640
	s_waitcnt vmcnt(52)
	ds_write_b32 v87, v21 offset:2904
	s_waitcnt vmcnt(51)
	ds_write_b32 v87, v22 offset:3168
	s_waitcnt vmcnt(50)
	ds_write_b32 v87, v23 offset:3432
	s_waitcnt vmcnt(49)
	ds_write_b32 v87, v26 offset:3696
	s_waitcnt vmcnt(48)
	ds_write_b32 v87, v27 offset:3960
	ds_read_b64 v[46:47], v88
	ds_read_b64 v[40:41], v88 offset:32
	ds_read_b64 v[34:35], v88 offset:64
	ds_read_b64 v[30:31], v88 offset:96
	ds_read_b64 v[26:27], v88 offset:128
	ds_read_b64 v[22:23], v88 offset:160
	ds_read_b64 v[20:21], v88 offset:192
	ds_read_b64 v[18:19], v88 offset:224
	s_waitcnt vmcnt(47)
	ds_write_b32 v87, v24
	s_waitcnt vmcnt(46)
	ds_write_b32 v87, v25 offset:264
	s_waitcnt vmcnt(45)
	ds_write_b32 v87, v28 offset:528
	s_waitcnt vmcnt(44)
	ds_write_b32 v87, v29 offset:792
	s_waitcnt vmcnt(43)
	ds_write_b32 v87, v32 offset:1056
	s_waitcnt vmcnt(42)
	ds_write_b32 v87, v33 offset:1320
	s_waitcnt vmcnt(41)
	ds_write_b32 v87, v36 offset:1584
	s_waitcnt vmcnt(40)
	ds_write_b32 v87, v37 offset:1848
	s_waitcnt vmcnt(39)
	ds_write_b32 v87, v38 offset:2112
	s_waitcnt vmcnt(38)
	ds_write_b32 v87, v39 offset:2376
	s_waitcnt vmcnt(37)
	ds_write_b32 v87, v44 offset:2640
	s_waitcnt vmcnt(36)
	ds_write_b32 v87, v45 offset:2904
	s_waitcnt vmcnt(35)
	ds_write_b32 v87, v48 offset:3168
	s_waitcnt vmcnt(34)
	ds_write_b32 v87, v49 offset:3432
	s_waitcnt vmcnt(33)
	ds_write_b32 v87, v50 offset:3696
	s_waitcnt vmcnt(32)
	ds_write_b32 v87, v51 offset:3960
	ds_read_b64 v[58:59], v88
	ds_read_b64 v[54:55], v88 offset:32
	ds_read_b64 v[50:51], v88 offset:64
	ds_read_b64 v[44:45], v88 offset:96
	ds_read_b64 v[38:39], v88 offset:128
	ds_read_b64 v[32:33], v88 offset:160
	ds_read_b64 v[28:29], v88 offset:192
	ds_read_b64 v[24:25], v88 offset:224
	s_waitcnt vmcnt(31)
	ds_write_b32 v87, v42
	s_waitcnt vmcnt(30)
	ds_write_b32 v87, v43 offset:264
	s_waitcnt vmcnt(29)
	ds_write_b32 v87, v60 offset:528
	s_waitcnt vmcnt(28)
	ds_write_b32 v87, v61 offset:792
	s_waitcnt vmcnt(27)
	ds_write_b32 v87, v62 offset:1056
	s_waitcnt vmcnt(26)
	ds_write_b32 v87, v63 offset:1320
	s_waitcnt vmcnt(25)
	ds_write_b32 v87, v64 offset:1584
	s_waitcnt vmcnt(24)
	ds_write_b32 v87, v65 offset:1848
	;; [unrolled: 40-line block ×3, first 2 shown]
	s_waitcnt vmcnt(7)
	ds_write_b32 v87, v92 offset:2112
	s_waitcnt vmcnt(6)
	ds_write_b32 v87, v93 offset:2376
	;; [unrolled: 2-line block ×8, first 2 shown]
	ds_read_b64 v[80:81], v88
	ds_read_b64 v[78:79], v88 offset:32
	ds_read_b64 v[76:77], v88 offset:64
	ds_read_b64 v[74:75], v88 offset:96
	ds_read_b64 v[72:73], v88 offset:128
	ds_read_b64 v[70:71], v88 offset:160
	ds_read_b64 v[68:69], v88 offset:192
	ds_read_b64 v[66:67], v88 offset:224
	s_andn2_b64 vcc, exec, s[4:5]
	v_mov_b32_e32 v92, 0
	s_cbranch_vccnz .LBB87_9
; %bb.7:                                ;   in Loop: Header=BB87_6 Depth=1
	s_load_dword vcc_lo, s[34:35], 0x0
	v_mov_b32_e32 v92, 0
	s_waitcnt lgkmcnt(0)
	s_mul_hi_u32 vcc_hi, vcc_lo, s16
	s_add_i32 vcc_hi, vcc_lo, vcc_hi
	s_lshr_b32 s30, vcc_hi, s17
	s_cmp_ge_i32 s30, s13
	s_cbranch_scc1 .LBB87_9
; %bb.8:                                ;   in Loop: Header=BB87_6 Depth=1
	s_mul_i32 vcc_hi, s30, s18
	s_sub_i32 s31, vcc_lo, vcc_hi
	s_mul_i32 s31, s31, s1
	s_mul_i32 s30, s30, s20
	s_add_i32 s30, s30, s31
	v_add_u32_e32 v92, s30, v86
	v_ashrrev_i32_e32 v93, 31, v92
	v_lshlrev_b64 v[92:93], 2, v[92:93]
	v_mov_b32_e32 v94, s11
	v_add_co_u32_e32 v92, vcc, s10, v92
	v_addc_co_u32_e32 v93, vcc, v94, v93, vcc
	global_load_dword v92, v[92:93], off
.LBB87_9:                               ;   in Loop: Header=BB87_6 Depth=1
	s_andn2_b64 vcc, exec, s[36:37]
	v_mov_b32_e32 v93, 0
	v_mov_b32_e32 v94, 0
	s_cbranch_vccnz .LBB87_12
; %bb.10:                               ;   in Loop: Header=BB87_6 Depth=1
	s_load_dword vcc_lo, s[34:35], 0x4
	v_mov_b32_e32 v94, 0
	s_waitcnt lgkmcnt(0)
	s_mul_hi_u32 s30, vcc_lo, s16
	s_add_i32 s30, vcc_lo, s30
	s_lshr_b32 vcc_hi, s30, s17
	s_cmp_ge_i32 vcc_hi, s13
	s_cbranch_scc1 .LBB87_12
; %bb.11:                               ;   in Loop: Header=BB87_6 Depth=1
	s_mul_i32 s30, vcc_hi, s18
	s_sub_i32 s30, vcc_lo, s30
	s_mul_i32 s30, s30, s1
	s_mul_i32 s31, vcc_hi, s20
	s_add_i32 s31, s31, s30
	v_add_u32_e32 v94, s31, v86
	v_ashrrev_i32_e32 v95, 31, v94
	v_lshlrev_b64 v[94:95], 2, v[94:95]
	v_mov_b32_e32 v96, s11
	v_add_co_u32_e32 v94, vcc, s10, v94
	v_addc_co_u32_e32 v95, vcc, v96, v95, vcc
	global_load_dword v94, v[94:95], off
.LBB87_12:                              ;   in Loop: Header=BB87_6 Depth=1
	s_andn2_b64 vcc, exec, s[38:39]
	s_cbranch_vccnz .LBB87_15
; %bb.13:                               ;   in Loop: Header=BB87_6 Depth=1
	s_load_dword vcc_lo, s[34:35], 0x8
	v_mov_b32_e32 v93, 0
	s_waitcnt lgkmcnt(0)
	s_mul_hi_u32 s30, vcc_lo, s16
	s_add_i32 s30, vcc_lo, s30
	s_lshr_b32 vcc_hi, s30, s17
	s_cmp_ge_i32 vcc_hi, s13
	s_cbranch_scc1 .LBB87_15
; %bb.14:                               ;   in Loop: Header=BB87_6 Depth=1
	s_mul_i32 s30, vcc_hi, s18
	s_sub_i32 s30, vcc_lo, s30
	s_mul_i32 s30, s30, s1
	s_mul_i32 s31, vcc_hi, s20
	s_add_i32 s31, s31, s30
	v_add_u32_e32 v96, s31, v86
	v_ashrrev_i32_e32 v97, 31, v96
	v_lshlrev_b64 v[96:97], 2, v[96:97]
	v_mov_b32_e32 v93, s11
	v_add_co_u32_e32 v96, vcc, s10, v96
	v_addc_co_u32_e32 v97, vcc, v93, v97, vcc
	global_load_dword v93, v[96:97], off
.LBB87_15:                              ;   in Loop: Header=BB87_6 Depth=1
	s_andn2_b64 vcc, exec, s[40:41]
	v_mov_b32_e32 v95, 0
	s_cbranch_vccnz .LBB87_5
; %bb.16:                               ;   in Loop: Header=BB87_6 Depth=1
	s_load_dword vcc_lo, s[34:35], 0xc
	v_mov_b32_e32 v95, 0
	s_waitcnt lgkmcnt(0)
	s_mul_hi_u32 s30, vcc_lo, s16
	s_add_i32 s30, vcc_lo, s30
	s_lshr_b32 vcc_hi, s30, s17
	s_cmp_ge_i32 vcc_hi, s13
	s_cbranch_scc1 .LBB87_5
; %bb.17:                               ;   in Loop: Header=BB87_6 Depth=1
	s_mul_i32 s30, vcc_hi, s18
	s_sub_i32 s30, vcc_lo, s30
	s_mul_i32 s30, s30, s1
	s_mul_i32 s31, vcc_hi, s20
	s_add_i32 s31, s31, s30
	v_add_u32_e32 v96, s31, v86
	v_ashrrev_i32_e32 v97, 31, v96
	v_lshlrev_b64 v[96:97], 2, v[96:97]
	v_mov_b32_e32 v95, s11
	v_add_co_u32_e32 v96, vcc, s10, v96
	v_addc_co_u32_e32 v97, vcc, v95, v97, vcc
	global_load_dword v95, v[96:97], off
	s_branch .LBB87_5
.LBB87_18:
	s_or_b64 exec, exec, s[8:9]
	v_readlane_b32 s24, v100, 6
	v_readlane_b32 s25, v100, 7
	;; [unrolled: 1-line block ×3, first 2 shown]
.LBB87_19:
	v_readlane_b32 s0, v100, 4
	v_readlane_b32 s1, v100, 5
	s_or_b64 exec, exec, s[0:1]
	v_mul_u32_u24_e32 v16, 0x508, v85
	v_lshlrev_b32_e32 v17, 2, v84
	v_add3_u32 v16, 0, v16, v17
	v_and_b32_e32 v17, 0x3f0, v82
	v_add_u32_e32 v17, v16, v17
	s_barrier
	ds_write2_b32 v17, v0, v1 offset1:1
	ds_write_b32 v17, v2 offset:8
	v_or_b32_e32 v0, 12, v82
	v_and_b32_e32 v0, 0x3fc, v0
	v_add_u32_e32 v0, v16, v0
	v_cmp_gt_u32_e32 vcc, 4, v83
	ds_write_b32 v0, v3
	ds_write2_b32 v17, v8, v9 offset0:16 offset1:17
	ds_write_b32 v17, v10 offset:72
	ds_write_b32 v0, v11 offset:64
	ds_write2_b32 v17, v4, v5 offset0:32 offset1:33
	ds_write_b32 v17, v6 offset:136
	ds_write_b32 v0, v7 offset:128
	;; [unrolled: 3-line block ×3, first 2 shown]
	s_waitcnt lgkmcnt(0)
	s_barrier
	s_and_saveexec_b64 s[0:1], vcc
	s_cbranch_execz .LBB87_23
; %bb.20:
	s_cmp_gt_i32 s14, 0
	v_or_b32_e32 v0, s6, v83
	s_cselect_b64 s[0:1], -1, 0
	v_cmp_gt_i32_e32 vcc, s33, v0
	s_and_b64 s[0:1], s[0:1], vcc
	s_and_b64 exec, exec, s[0:1]
	s_cbranch_execz .LBB87_23
; %bb.21:
	s_lshl_b64 s[0:1], s[26:27], 2
	v_readlane_b32 s4, v100, 0
	v_readlane_b32 s5, v100, 1
	s_add_u32 s0, s4, s0
	v_ashrrev_i32_e32 v1, 31, v0
	s_addc_u32 s1, s5, s1
	v_lshlrev_b64 v[0:1], 2, v[0:1]
	v_mov_b32_e32 v2, s1
	v_add_co_u32_e32 v0, vcc, s0, v0
	v_addc_co_u32_e32 v1, vcc, v2, v1, vcc
	global_load_dword v0, v[0:1], off
	s_waitcnt vmcnt(0)
	v_mul_hi_u32 v1, v0, s19
	v_add_u32_e32 v1, v0, v1
	v_lshrrev_b32_e32 v1, s24, v1
	v_cmp_gt_i32_e32 vcc, s13, v1
	s_and_b64 exec, exec, vcc
	s_cbranch_execz .LBB87_23
; %bb.22:
	v_lshlrev_b32_e32 v2, 2, v82
	v_mul_u32_u24_e32 v3, 0x508, v83
	v_add3_u32 v6, 0, v2, v3
	ds_read2st64_b32 v[2:3], v6 offset1:1
	ds_read2st64_b32 v[4:5], v6 offset0:2 offset1:3
	ds_read_b32 v6, v6 offset:1024
	v_add_u32_e32 v7, s7, v82
	v_readlane_b32 s0, v100, 2
	s_waitcnt lgkmcnt(2)
	v_add_f32_e32 v2, 0, v2
	v_add_f32_e32 v2, v2, v3
	v_mul_lo_u32 v3, v1, s25
	v_sub_u32_e32 v0, v0, v3
	v_mul_lo_u32 v0, v0, s2
	v_mul_lo_u32 v1, v1, s21
	v_add3_u32 v0, v7, v1, v0
	v_mov_b32_e32 v1, 0
	s_waitcnt lgkmcnt(1)
	v_add_f32_e32 v2, v2, v4
	v_lshlrev_b64 v[0:1], 2, v[0:1]
	v_readlane_b32 s1, v100, 3
	v_add_f32_e32 v2, v2, v5
	v_mov_b32_e32 v3, s1
	v_add_co_u32_e32 v0, vcc, s0, v0
	s_waitcnt lgkmcnt(0)
	v_add_f32_e32 v2, v2, v6
	v_addc_co_u32_e32 v1, vcc, v3, v1, vcc
	global_store_dword v[0:1], v2, off
.LBB87_23:
	s_endpgm
	.section	.rodata,"a",@progbits
	.p2align	6, 0x0
	.amdhsa_kernel _ZL13mul_mat_f_idsIfLi64ELi4ELi5EEvPKT_PKfPKiS6_S6_Pfiiiiiiiiiiiiii15HIP_vector_typeIjLj3EES9_
		.amdhsa_group_segment_fixed_size 0
		.amdhsa_private_segment_fixed_size 0
		.amdhsa_kernarg_size 128
		.amdhsa_user_sgpr_count 6
		.amdhsa_user_sgpr_private_segment_buffer 1
		.amdhsa_user_sgpr_dispatch_ptr 0
		.amdhsa_user_sgpr_queue_ptr 0
		.amdhsa_user_sgpr_kernarg_segment_ptr 1
		.amdhsa_user_sgpr_dispatch_id 0
		.amdhsa_user_sgpr_flat_scratch_init 0
		.amdhsa_user_sgpr_kernarg_preload_length 0
		.amdhsa_user_sgpr_kernarg_preload_offset 0
		.amdhsa_user_sgpr_private_segment_size 0
		.amdhsa_uses_dynamic_stack 0
		.amdhsa_system_sgpr_private_segment_wavefront_offset 0
		.amdhsa_system_sgpr_workgroup_id_x 1
		.amdhsa_system_sgpr_workgroup_id_y 1
		.amdhsa_system_sgpr_workgroup_id_z 1
		.amdhsa_system_sgpr_workgroup_info 0
		.amdhsa_system_vgpr_workitem_id 1
		.amdhsa_next_free_vgpr 101
		.amdhsa_next_free_sgpr 96
		.amdhsa_accum_offset 104
		.amdhsa_reserve_vcc 1
		.amdhsa_reserve_flat_scratch 0
		.amdhsa_float_round_mode_32 0
		.amdhsa_float_round_mode_16_64 0
		.amdhsa_float_denorm_mode_32 3
		.amdhsa_float_denorm_mode_16_64 3
		.amdhsa_dx10_clamp 1
		.amdhsa_ieee_mode 1
		.amdhsa_fp16_overflow 0
		.amdhsa_tg_split 0
		.amdhsa_exception_fp_ieee_invalid_op 0
		.amdhsa_exception_fp_denorm_src 0
		.amdhsa_exception_fp_ieee_div_zero 0
		.amdhsa_exception_fp_ieee_overflow 0
		.amdhsa_exception_fp_ieee_underflow 0
		.amdhsa_exception_fp_ieee_inexact 0
		.amdhsa_exception_int_div_zero 0
	.end_amdhsa_kernel
	.section	.text._ZL13mul_mat_f_idsIfLi64ELi4ELi5EEvPKT_PKfPKiS6_S6_Pfiiiiiiiiiiiiii15HIP_vector_typeIjLj3EES9_,"axG",@progbits,_ZL13mul_mat_f_idsIfLi64ELi4ELi5EEvPKT_PKfPKiS6_S6_Pfiiiiiiiiiiiiii15HIP_vector_typeIjLj3EES9_,comdat
.Lfunc_end87:
	.size	_ZL13mul_mat_f_idsIfLi64ELi4ELi5EEvPKT_PKfPKiS6_S6_Pfiiiiiiiiiiiiii15HIP_vector_typeIjLj3EES9_, .Lfunc_end87-_ZL13mul_mat_f_idsIfLi64ELi4ELi5EEvPKT_PKfPKiS6_S6_Pfiiiiiiiiiiiiii15HIP_vector_typeIjLj3EES9_
                                        ; -- End function
	.section	.AMDGPU.csdata,"",@progbits
; Kernel info:
; codeLenInByte = 5608
; NumSgprs: 100
; NumVgprs: 101
; NumAgprs: 0
; TotalNumVgprs: 101
; ScratchSize: 0
; MemoryBound: 0
; FloatMode: 240
; IeeeMode: 1
; LDSByteSize: 0 bytes/workgroup (compile time only)
; SGPRBlocks: 12
; VGPRBlocks: 12
; NumSGPRsForWavesPerEU: 100
; NumVGPRsForWavesPerEU: 101
; AccumOffset: 104
; Occupancy: 4
; WaveLimiterHint : 1
; COMPUTE_PGM_RSRC2:SCRATCH_EN: 0
; COMPUTE_PGM_RSRC2:USER_SGPR: 6
; COMPUTE_PGM_RSRC2:TRAP_HANDLER: 0
; COMPUTE_PGM_RSRC2:TGID_X_EN: 1
; COMPUTE_PGM_RSRC2:TGID_Y_EN: 1
; COMPUTE_PGM_RSRC2:TGID_Z_EN: 1
; COMPUTE_PGM_RSRC2:TIDIG_COMP_CNT: 1
; COMPUTE_PGM_RSRC3_GFX90A:ACCUM_OFFSET: 25
; COMPUTE_PGM_RSRC3_GFX90A:TG_SPLIT: 0
	.section	.text._ZL9mul_mat_fIfLi64ELi4ELi5ELb1EEvPKT_PKfPKiPfiiiiiiiiiiiiiiii,"axG",@progbits,_ZL9mul_mat_fIfLi64ELi4ELi5ELb1EEvPKT_PKfPKiPfiiiiiiiiiiiiiiii,comdat
	.globl	_ZL9mul_mat_fIfLi64ELi4ELi5ELb1EEvPKT_PKfPKiPfiiiiiiiiiiiiiiii ; -- Begin function _ZL9mul_mat_fIfLi64ELi4ELi5ELb1EEvPKT_PKfPKiPfiiiiiiiiiiiiiiii
	.p2align	8
	.type	_ZL9mul_mat_fIfLi64ELi4ELi5ELb1EEvPKT_PKfPKiPfiiiiiiiiiiiiiiii,@function
_ZL9mul_mat_fIfLi64ELi4ELi5ELb1EEvPKT_PKfPKiPfiiiiiiiiiiiiiiii: ; @_ZL9mul_mat_fIfLi64ELi4ELi5ELb1EEvPKT_PKfPKiPfiiiiiiiiiiiiiiii
; %bb.0:
	s_load_dwordx8 s[12:19], s[4:5], 0x20
	v_and_b32_e32 v16, 0x3ff, v0
	v_bfe_u32 v17, v0, 10, 10
	v_cmp_eq_u32_e32 vcc, 0, v16
	s_waitcnt lgkmcnt(0)
	s_add_i32 s0, s13, 3
	s_ashr_i32 s1, s0, 31
	s_lshr_b32 s1, s1, 30
	s_add_i32 s0, s0, s1
	s_ashr_i32 s0, s0, 2
	v_cvt_f32_u32_e32 v1, s0
	s_load_dwordx4 s[20:23], s[4:5], 0x44
	s_load_dword s1, s[4:5], 0x64
	s_sub_i32 s2, 0, s0
	s_add_u32 s10, s4, 0x60
	v_rcp_iflag_f32_e32 v1, v1
	s_addc_u32 s11, s5, 0
	v_mul_f32_e32 v1, 0x4f7ffffe, v1
	v_cvt_u32_f32_e32 v1, v1
	v_readfirstlane_b32 s3, v1
	s_mul_i32 s2, s2, s3
	s_mul_hi_u32 s2, s3, s2
	s_add_i32 s3, s3, s2
	s_waitcnt lgkmcnt(0)
	s_mul_hi_u32 s2, s1, s3
	s_mul_i32 s3, s2, s0
	s_sub_i32 s1, s1, s3
	s_add_i32 s9, s2, 1
	s_sub_i32 s3, s1, s0
	s_cmp_ge_u32 s1, s0
	s_cselect_b32 s2, s9, s2
	s_cselect_b32 s1, s3, s1
	s_add_i32 s3, s2, 1
	s_cmp_ge_u32 s1, s0
	s_cselect_b32 s2, s3, s2
	v_cvt_f32_u32_e32 v1, s2
	s_abs_i32 s33, s23
	v_cvt_f32_u32_e32 v2, s33
	s_sub_i32 s0, 0, s2
	v_rcp_iflag_f32_e32 v1, v1
	s_sub_i32 s1, 0, s33
	v_rcp_iflag_f32_e32 v2, v2
	v_mul_f32_e32 v1, 0x4f7ffffe, v1
	v_cvt_u32_f32_e32 v1, v1
	v_mul_f32_e32 v2, 0x4f7ffffe, v2
	v_cvt_u32_f32_e32 v2, v2
	v_readfirstlane_b32 s3, v1
	s_mul_i32 s0, s0, s3
	v_readfirstlane_b32 s34, v2
	s_mul_hi_u32 s0, s3, s0
	s_mul_i32 s1, s1, s34
	s_add_i32 s3, s3, s0
	s_mul_hi_u32 s9, s34, s1
	s_mul_hi_u32 s3, s7, s3
	s_and_saveexec_b64 s[0:1], vcc
	s_cbranch_execz .LBB88_2
; %bb.1:
	v_mov_b32_e32 v1, 0x100
	v_lshl_add_u32 v1, v17, 2, v1
	v_mov_b32_e32 v2, -1
	ds_write_b32 v1, v2
.LBB88_2:
	s_or_b64 exec, exec, s[0:1]
	s_mul_i32 s0, s3, s2
	s_load_dwordx4 s[24:27], s[4:5], 0x54
	s_sub_i32 s0, s7, s0
	s_waitcnt lgkmcnt(0)
	s_abs_i32 s27, s8
	s_add_i32 s34, s34, s9
	s_add_i32 s1, s3, 1
	s_sub_i32 s9, s0, s2
	s_cmp_ge_u32 s0, s2
	s_cselect_b32 s1, s1, s3
	s_cselect_b32 s0, s9, s0
	s_add_i32 s3, s1, 1
	s_cmp_ge_u32 s0, s2
	s_cselect_b32 s0, s3, s1
	s_lshl_b32 s9, s0, 2
	s_mul_i32 s1, s0, s2
	v_add_u32_e32 v1, s9, v17
	s_sub_i32 s7, s7, s1
	v_cmp_gt_i32_e32 vcc, s13, v1
	v_mov_b32_e32 v1, 0
	s_and_saveexec_b64 s[2:3], vcc
	s_cbranch_execz .LBB88_10
; %bb.3:
	v_cmp_gt_i32_e32 vcc, s14, v16
	v_mov_b32_e32 v1, 0
	s_and_saveexec_b64 s[28:29], vcc
	s_cbranch_execz .LBB88_9
; %bb.4:
	s_load_dwordx2 s[0:1], s[4:5], 0x10
	s_mul_hi_i32 s31, s9, s19
	s_mul_i32 s30, s9, s19
	v_mul_lo_u32 v2, v17, s19
	s_lshl_b64 s[30:31], s[30:31], 2
	s_waitcnt lgkmcnt(0)
	s_add_u32 s0, s0, s30
	v_ashrrev_i32_e32 v3, 31, v2
	s_addc_u32 s1, s1, s31
	v_lshlrev_b64 v[2:3], 2, v[2:3]
	v_mov_b32_e32 v4, s1
	v_add_co_u32_e32 v1, vcc, s0, v2
	v_mov_b32_e32 v2, 0x100
	v_addc_co_u32_e32 v4, vcc, v4, v3, vcc
	v_lshl_add_u32 v5, v17, 2, v2
	v_mul_lo_u32 v2, v16, s18
	s_lshl_b32 s35, s18, 6
	s_mov_b64 s[18:19], 0
	v_mov_b32_e32 v6, 0
	v_mov_b32_e32 v7, v16
	s_branch .LBB88_6
.LBB88_5:                               ;   in Loop: Header=BB88_6 Depth=1
	s_or_b64 exec, exec, s[30:31]
	v_add_u32_e32 v7, 64, v7
	v_cmp_le_i32_e64 s[0:1], s14, v7
	s_xor_b64 s[30:31], vcc, -1
	s_or_b64 s[0:1], s[30:31], s[0:1]
	s_and_b64 s[0:1], exec, s[0:1]
	s_or_b64 s[18:19], s[0:1], s[18:19]
	v_add_u32_e32 v2, s35, v2
	s_andn2_b64 exec, exec, s[18:19]
	s_cbranch_execz .LBB88_8
.LBB88_6:                               ; =>This Inner Loop Header: Depth=1
	v_ashrrev_i32_e32 v3, 31, v2
	v_lshlrev_b64 v[8:9], 2, v[2:3]
	v_add_co_u32_e32 v8, vcc, v1, v8
	v_addc_co_u32_e32 v9, vcc, v4, v9, vcc
	global_load_dword v3, v[8:9], off
	s_waitcnt vmcnt(0)
	v_cmp_ne_u32_e32 vcc, s7, v3
	v_cmp_eq_u32_e64 s[0:1], s7, v3
	s_and_saveexec_b64 s[30:31], s[0:1]
	s_cbranch_execz .LBB88_5
; %bb.7:                                ;   in Loop: Header=BB88_6 Depth=1
	v_mov_b32_e32 v6, 1
	ds_write_b32 v5, v7
	s_branch .LBB88_5
.LBB88_8:
	s_or_b64 exec, exec, s[18:19]
	v_cmp_ne_u32_e32 vcc, 0, v6
	v_cndmask_b32_e64 v1, 0, 1, vcc
.LBB88_9:
	s_or_b64 exec, exec, s[28:29]
.LBB88_10:
	s_or_b64 exec, exec, s[2:3]
	s_load_dwordx2 s[0:1], s[10:11], 0xc
	s_load_dwordx4 s[28:31], s[4:5], 0x0
	s_load_dwordx2 s[2:3], s[4:5], 0x18
	v_or_b32_dpp v1, v1, v1 row_shl:1 row_mask:0xf bank_mask:0xf bound_ctrl:1
	s_mul_hi_u32 s4, s27, s34
	s_waitcnt lgkmcnt(0)
	s_and_b32 s5, s1, 0xffff
	s_lshr_b32 s1, s0, 16
	s_and_b32 s0, s0, 0xffff
	v_or_b32_dpp v1, v1, v1 row_shl:2 row_mask:0xf bank_mask:0xf bound_ctrl:1
	s_mul_i32 s10, s1, s0
	s_bfe_i32 s10, s10, 0x180000
	v_or_b32_dpp v1, v1, v1 row_shl:4 row_mask:0xf bank_mask:0xf bound_ctrl:1
	s_mul_i32 s5, s10, s5
	s_add_i32 s10, s5, 63
	v_or_b32_dpp v1, v1, v1 row_shl:8 row_mask:0xf bank_mask:0xf bound_ctrl:1
	s_bitcmp1_b32 exec_hi, 0
	s_nop 0
	v_mov_b32_dpp v2, v1 wave_shl:1 row_mask:0xf bank_mask:0xf bound_ctrl:1
	s_nop 1
	v_or_b32_dpp v1, v2, v1 row_mirror row_mask:0xf bank_mask:0xf bound_ctrl:1
	v_readlane_b32 s5, v1, 32
	s_cselect_b32 s5, s5, 0
	v_readlane_b32 s11, v1, 0
	s_or_b32 s5, s5, s11
	s_andn2_b32 s10, s10, 63
	s_cmp_lg_u32 s10, 64
	v_mov_b32_e32 v1, s5
	s_cbranch_scc0 .LBB88_17
; %bb.11:
	v_bfe_u32 v0, v0, 20, 10
	v_mbcnt_lo_u32_b32 v1, -1, 0
	v_mad_u32_u24 v0, v0, s1, v17
	v_mbcnt_hi_u32_b32 v2, -1, v1
	v_mad_u64_u32 v[0:1], s[0:1], v0, s0, v[16:17]
	v_lshrrev_b32_e32 v1, 6, v0
	v_or_b32_e32 v1, v2, v1
	v_cmp_eq_u32_e32 vcc, 0, v1
	s_and_saveexec_b64 s[0:1], vcc
	s_cbranch_execz .LBB88_13
; %bb.12:
	v_mov_b32_e32 v1, 0
	v_mov_b32_e32 v3, s5
	ds_write_b32 v1, v3
.LBB88_13:
	s_or_b64 exec, exec, s[0:1]
	v_cmp_eq_u32_e32 vcc, 0, v2
	v_cmp_lt_u32_e64 s[0:1], 63, v0
	s_and_b64 s[10:11], s[0:1], vcc
	s_waitcnt lgkmcnt(0)
	s_barrier
	s_and_saveexec_b64 s[0:1], s[10:11]
	s_cbranch_execz .LBB88_16
; %bb.14:
	v_mbcnt_lo_u32_b32 v0, exec_lo, 0
	v_mbcnt_hi_u32_b32 v0, exec_hi, v0
	v_cmp_eq_u32_e32 vcc, 0, v0
	s_and_b64 exec, exec, vcc
	s_cbranch_execz .LBB88_16
; %bb.15:
	v_mov_b32_e32 v0, 0
	v_mov_b32_e32 v1, s5
	ds_or_b32 v0, v1
.LBB88_16:
	s_or_b64 exec, exec, s[0:1]
	v_mov_b32_e32 v0, 0
	s_waitcnt lgkmcnt(0)
	s_barrier
	ds_read_b32 v1, v0
	s_waitcnt lgkmcnt(0)
	s_barrier
.LBB88_17:
	v_cmp_ne_u32_e32 vcc, 0, v1
	s_ashr_i32 s5, s8, 31
	s_ashr_i32 s10, s23, 31
	s_cbranch_vccz .LBB88_43
; %bb.18:
	v_lshlrev_b32_e32 v84, 6, v17
	v_add_u32_e32 v86, v84, v16
	v_cmp_le_i32_e32 vcc, s12, v86
	v_and_b32_e32 v85, 15, v16
                                        ; implicit-def: $sgpr11
	s_and_saveexec_b64 s[0:1], vcc
	s_xor_b64 s[0:1], exec, s[0:1]
; %bb.19:
	v_and_b32_e32 v85, 15, v16
	s_mov_b32 s11, 0
                                        ; implicit-def: $vgpr86
; %bb.20:
	s_or_saveexec_b64 s[0:1], s[0:1]
	s_lshl_b32 s23, s6, 6
	v_mov_b32_e32 v11, s11
	v_mov_b32_e32 v10, s11
	v_mov_b32_e32 v9, s11
	v_mov_b32_e32 v8, s11
	v_mov_b32_e32 v7, s11
	v_mov_b32_e32 v6, s11
	v_mov_b32_e32 v5, s11
	v_mov_b32_e32 v4, s11
	v_mov_b32_e32 v3, s11
	v_mov_b32_e32 v2, s11
	v_mov_b32_e32 v1, s11
	v_mov_b32_e32 v0, s11
	v_mov_b32_e32 v15, s11
	v_mov_b32_e32 v14, s11
	v_mov_b32_e32 v13, s11
	v_mov_b32_e32 v12, s11
	s_xor_b64 exec, exec, s[0:1]
	s_cbranch_execz .LBB88_40
; %bb.21:
	s_mul_i32 s6, s4, s33
	s_sub_i32 s6, s27, s6
	s_xor_b32 s5, s5, s10
	s_add_i32 s10, s4, 1
	s_sub_i32 s11, s6, s33
	s_cmp_ge_u32 s6, s33
	s_cselect_b32 s4, s10, s4
	s_cselect_b32 s6, s11, s6
	s_add_i32 s10, s4, 1
	s_cmp_ge_u32 s6, s33
	s_cselect_b32 s4, s10, s4
	s_xor_b32 s4, s4, s5
	s_sub_i32 s4, s4, s5
	s_mul_hi_i32 s5, s4, s24
	s_mul_i32 s4, s4, s24
	s_mul_i32 s6, s7, s20
	s_ashr_i32 s7, s6, 31
	s_lshl_b64 s[34:35], s[4:5], 2
	s_add_u32 s4, s28, s34
	s_addc_u32 s5, s29, s35
	s_lshl_b64 s[36:37], s[6:7], 2
	s_mul_i32 s10, s23, s15
	s_add_u32 s4, s4, s36
	s_addc_u32 s5, s5, s37
	s_ashr_i32 s11, s10, 31
	s_lshl_b64 s[38:39], s[10:11], 2
	s_add_u32 s20, s4, s38
	s_movk_i32 s4, 0x1080
	v_mov_b32_e32 v87, 0x100
	s_addc_u32 s14, s5, s39
	v_mad_u32_u24 v0, v17, s4, v87
	s_mul_hi_i32 s5, s25, s8
	s_mul_i32 s4, s25, s8
	s_lshl_b64 s[4:5], s[4:5], 2
	s_mul_hi_i32 s7, s9, s16
	s_mul_i32 s6, s9, s16
	s_add_u32 s10, s30, s4
	s_addc_u32 s11, s31, s5
	s_lshl_b64 s[4:5], s[6:7], 2
	s_add_u32 s27, s10, s4
	s_addc_u32 s30, s11, s5
	s_cmp_lt_i32 s9, s13
	s_cselect_b64 s[4:5], -1, 0
	s_or_b32 s6, s9, 1
	s_cmp_lt_i32 s6, s13
	s_cselect_b64 s[6:7], -1, 0
	s_or_b32 s10, s9, 2
	s_cmp_lt_i32 s10, s13
	s_cselect_b64 s[10:11], -1, 0
	s_lshl_b32 s31, s16, 1
	s_or_b32 s18, s9, 3
	s_cmp_lt_i32 s18, s13
	s_cselect_b64 s[18:19], -1, 0
	s_ashr_i32 s25, s15, 31
	s_mov_b32 s24, s15
	s_lshl_b64 s[24:25], s[24:25], 2
	s_add_u32 s34, s34, s38
	s_addc_u32 s35, s35, s39
	s_add_u32 s34, s34, s36
	v_lshrrev_b32_e32 v2, 1, v16
	s_addc_u32 s35, s35, s37
	v_mul_u32_u24_e32 v1, 0x108, v85
	v_and_b32_e32 v2, 0x1f8, v2
	s_add_u32 s28, s28, s34
	v_lshl_add_u32 v88, v16, 2, v0
	v_add3_u32 v89, v0, v1, v2
	v_lshlrev_b32_e32 v0, 2, v86
	s_addc_u32 s29, s29, s35
	v_mov_b32_e32 v1, s29
	v_add_co_u32_e32 v18, vcc, s28, v0
	v_mov_b32_e32 v12, 0
	s_mul_i32 s33, s16, 3
	v_mov_b32_e32 v90, 0
	v_addc_co_u32_e32 v19, vcc, 0, v1, vcc
	s_lshl_b32 s28, s15, 1
	s_mul_i32 s29, s15, 3
	s_lshl_b32 s34, s15, 2
	s_mul_i32 s35, s15, 5
	s_mul_i32 s36, s15, 6
	;; [unrolled: 1-line block ×3, first 2 shown]
	s_lshl_b32 s38, s15, 3
	s_mul_i32 s39, s15, 9
	s_mul_i32 s40, s15, 10
	;; [unrolled: 1-line block ×7, first 2 shown]
	s_lshl_b32 s46, s15, 4
	s_mul_i32 s47, s15, 17
	s_mul_i32 s48, s15, 18
	;; [unrolled: 1-line block ×15, first 2 shown]
	s_lshl_b32 s62, s15, 5
	s_mul_i32 s63, s15, 33
	s_mul_i32 s64, s15, 34
	;; [unrolled: 1-line block ×12, first 2 shown]
	v_mov_b32_e32 v91, s14
	s_mul_i32 s75, s15, 45
	v_mov_b32_e32 v92, s25
	v_mov_b32_e32 v13, v12
	;; [unrolled: 1-line block ×16, first 2 shown]
	s_mul_i32 s25, s15, 46
	s_mul_i32 s76, s15, 47
	;; [unrolled: 1-line block ×18, first 2 shown]
	s_mov_b64 s[14:15], 0
	s_branch .LBB88_24
.LBB88_22:                              ;   in Loop: Header=BB88_24 Depth=1
	v_mul_lo_u32 v93, v93, s21
	v_add_u32_e32 v93, s33, v93
	v_add_u32_e32 v94, v93, v86
	v_ashrrev_i32_e32 v95, 31, v94
	v_lshlrev_b64 v[94:95], 2, v[94:95]
	v_mov_b32_e32 v93, s30
	v_add_co_u32_e32 v94, vcc, s27, v94
	v_addc_co_u32_e32 v95, vcc, v93, v95, vcc
	global_load_dword v93, v[94:95], off
.LBB88_23:                              ;   in Loop: Header=BB88_24 Depth=1
	v_add_u32_e32 v94, 0x200, v88
	s_waitcnt vmcnt(0)
	ds_write2_b32 v94, v93, v90 offset0:86 offset1:152
	v_add_u32_e32 v93, 0x400, v88
	ds_write2_b32 v93, v90, v90 offset0:90 offset1:156
	v_add_u32_e32 v93, 0x600, v88
	;; [unrolled: 2-line block ×5, first 2 shown]
	ds_write2_b32 v93, v90, v90 offset0:106 offset1:172
	ds_write_b32 v88, v90 offset:4024
	ds_read2_b64 v[94:97], v89 offset0:8 offset1:12
	s_waitcnt lgkmcnt(0)
	v_mfma_f32_16x16x4f32 v[8:11], v48, v94, v[8:11]
	v_add_co_u32_e32 v18, vcc, 0x500, v18
	v_add_u32_e32 v86, 0x140, v86
	v_addc_co_u32_e32 v19, vcc, 0, v19, vcc
	v_cmp_le_i32_e32 vcc, s12, v86
	s_or_b64 s[14:15], vcc, s[14:15]
	v_mfma_f32_16x16x4f32 v[4:7], v60, v94, v[4:7]
	v_mfma_f32_16x16x4f32 v[0:3], v66, v94, v[0:3]
	;; [unrolled: 1-line block ×14, first 2 shown]
	ds_read2_b64 v[64:67], v89 offset0:16 offset1:20
	v_mfma_f32_16x16x4f32 v[12:15], v81, v97, v[12:15]
	s_waitcnt lgkmcnt(0)
	v_mfma_f32_16x16x4f32 v[8:11], v36, v64, v[8:11]
	v_mfma_f32_16x16x4f32 v[4:7], v52, v64, v[4:7]
	;; [unrolled: 1-line block ×14, first 2 shown]
	ds_read2_b64 v[46:49], v89 offset0:24 offset1:28
	v_mfma_f32_16x16x4f32 v[0:3], v59, v67, v[0:3]
	v_mfma_f32_16x16x4f32 v[12:15], v77, v67, v[12:15]
	s_waitcnt lgkmcnt(0)
	v_mfma_f32_16x16x4f32 v[8:11], v28, v46, v[8:11]
	v_mfma_f32_16x16x4f32 v[4:7], v40, v46, v[4:7]
	;; [unrolled: 1-line block ×14, first 2 shown]
	ds_read2_b64 v[32:35], v89 offset0:32 offset1:36
	v_mfma_f32_16x16x4f32 v[0:3], v51, v49, v[0:3]
	v_mfma_f32_16x16x4f32 v[12:15], v73, v49, v[12:15]
	s_waitcnt lgkmcnt(0)
	v_mfma_f32_16x16x4f32 v[8:11], v22, v32, v[8:11]
	v_mfma_f32_16x16x4f32 v[4:7], v30, v32, v[4:7]
	v_mfma_f32_16x16x4f32 v[0:3], v44, v32, v[0:3]
	v_mfma_f32_16x16x4f32 v[12:15], v70, v32, v[12:15]
	v_mfma_f32_16x16x4f32 v[8:11], v23, v33, v[8:11]
	v_mfma_f32_16x16x4f32 v[4:7], v31, v33, v[4:7]
	v_mfma_f32_16x16x4f32 v[0:3], v45, v33, v[0:3]
	v_mfma_f32_16x16x4f32 v[12:15], v71, v33, v[12:15]
	v_mfma_f32_16x16x4f32 v[8:11], v20, v34, v[8:11]
	v_mfma_f32_16x16x4f32 v[4:7], v26, v34, v[4:7]
	v_mfma_f32_16x16x4f32 v[0:3], v38, v34, v[0:3]
	v_mfma_f32_16x16x4f32 v[12:15], v68, v34, v[12:15]
	v_mfma_f32_16x16x4f32 v[8:11], v21, v35, v[8:11]
	v_mfma_f32_16x16x4f32 v[4:7], v27, v35, v[4:7]
	v_mfma_f32_16x16x4f32 v[0:3], v39, v35, v[0:3]
	v_mfma_f32_16x16x4f32 v[12:15], v69, v35, v[12:15]
	s_andn2_b64 exec, exec, s[14:15]
	s_cbranch_execz .LBB88_39
.LBB88_24:                              ; =>This Inner Loop Header: Depth=1
	v_add_co_u32_e32 v20, vcc, s24, v18
	v_addc_co_u32_e32 v21, vcc, v19, v92, vcc
	global_load_dword v32, v[18:19], off
	global_load_dword v33, v[20:21], off
	v_add_u32_e32 v20, s28, v86
	v_ashrrev_i32_e32 v21, 31, v20
	v_lshlrev_b64 v[20:21], 2, v[20:21]
	v_add_u32_e32 v22, s29, v86
	v_add_co_u32_e32 v20, vcc, s20, v20
	v_ashrrev_i32_e32 v23, 31, v22
	v_addc_co_u32_e32 v21, vcc, v91, v21, vcc
	v_lshlrev_b64 v[22:23], 2, v[22:23]
	v_add_u32_e32 v24, s34, v86
	v_add_co_u32_e32 v22, vcc, s20, v22
	v_ashrrev_i32_e32 v25, 31, v24
	v_addc_co_u32_e32 v23, vcc, v91, v23, vcc
	;; [unrolled: 5-line block ×5, first 2 shown]
	v_lshlrev_b64 v[30:31], 2, v[30:31]
	v_add_co_u32_e32 v30, vcc, s20, v30
	v_addc_co_u32_e32 v31, vcc, v91, v31, vcc
	global_load_dword v34, v[20:21], off
	global_load_dword v35, v[22:23], off
	;; [unrolled: 1-line block ×3, first 2 shown]
	s_nop 0
	global_load_dword v26, v[26:27], off
	s_nop 0
	global_load_dword v27, v[28:29], off
	;; [unrolled: 2-line block ×3, first 2 shown]
	v_add_u32_e32 v20, s38, v86
	v_ashrrev_i32_e32 v21, 31, v20
	v_add_u32_e32 v22, s39, v86
	v_lshlrev_b64 v[20:21], 2, v[20:21]
	v_ashrrev_i32_e32 v23, 31, v22
	v_add_co_u32_e32 v20, vcc, s20, v20
	v_add_u32_e32 v24, s40, v86
	v_lshlrev_b64 v[22:23], 2, v[22:23]
	v_addc_co_u32_e32 v21, vcc, v91, v21, vcc
	v_ashrrev_i32_e32 v25, 31, v24
	v_add_co_u32_e32 v22, vcc, s20, v22
	v_lshlrev_b64 v[24:25], 2, v[24:25]
	v_addc_co_u32_e32 v23, vcc, v91, v23, vcc
	global_load_dword v20, v[20:21], off
	s_nop 0
	global_load_dword v21, v[22:23], off
	v_add_u32_e32 v22, s41, v86
	v_add_co_u32_e32 v24, vcc, s20, v24
	v_ashrrev_i32_e32 v23, 31, v22
	v_addc_co_u32_e32 v25, vcc, v91, v25, vcc
	v_lshlrev_b64 v[22:23], 2, v[22:23]
	v_add_u32_e32 v40, s53, v86
	v_ashrrev_i32_e32 v41, 31, v40
	v_lshlrev_b64 v[40:41], 2, v[40:41]
	v_add_u32_e32 v42, s54, v86
	v_ashrrev_i32_e32 v43, 31, v42
	;; [unrolled: 3-line block ×5, first 2 shown]
	v_lshlrev_b64 v[60:61], 2, v[60:61]
	s_waitcnt vmcnt(9)
	ds_write_b32 v88, v32 offset:64
	s_waitcnt vmcnt(8)
	ds_write_b32 v88, v33 offset:328
	;; [unrolled: 2-line block ×8, first 2 shown]
	v_add_co_u32_e32 v26, vcc, s20, v22
	v_add_u32_e32 v22, s42, v86
	v_addc_co_u32_e32 v27, vcc, v91, v23, vcc
	v_ashrrev_i32_e32 v23, 31, v22
	v_lshlrev_b64 v[22:23], 2, v[22:23]
	v_add_co_u32_e32 v28, vcc, s20, v22
	v_add_u32_e32 v22, s43, v86
	v_addc_co_u32_e32 v29, vcc, v91, v23, vcc
	v_ashrrev_i32_e32 v23, 31, v22
	v_lshlrev_b64 v[22:23], 2, v[22:23]
	;; [unrolled: 5-line block ×6, first 2 shown]
	v_add_co_u32_e32 v38, vcc, s20, v22
	v_addc_co_u32_e32 v39, vcc, v91, v23, vcc
	global_load_dword v22, v[24:25], off
	global_load_dword v23, v[26:27], off
	s_nop 0
	global_load_dword v24, v[28:29], off
	global_load_dword v25, v[30:31], off
	s_nop 0
	global_load_dword v28, v[32:33], off
	global_load_dword v29, v[34:35], off
	;; [unrolled: 1-line block ×4, first 2 shown]
	v_add_u32_e32 v30, s48, v86
	v_ashrrev_i32_e32 v31, 31, v30
	v_lshlrev_b64 v[30:31], 2, v[30:31]
	v_add_u32_e32 v32, s49, v86
	v_add_co_u32_e32 v30, vcc, s20, v30
	v_ashrrev_i32_e32 v33, 31, v32
	v_addc_co_u32_e32 v31, vcc, v91, v31, vcc
	v_lshlrev_b64 v[32:33], 2, v[32:33]
	v_add_u32_e32 v34, s50, v86
	v_add_co_u32_e32 v32, vcc, s20, v32
	v_ashrrev_i32_e32 v35, 31, v34
	v_addc_co_u32_e32 v33, vcc, v91, v33, vcc
	;; [unrolled: 5-line block ×4, first 2 shown]
	v_lshlrev_b64 v[38:39], 2, v[38:39]
	v_add_co_u32_e32 v38, vcc, s20, v38
	v_addc_co_u32_e32 v39, vcc, v91, v39, vcc
	v_add_co_u32_e32 v40, vcc, s20, v40
	v_addc_co_u32_e32 v41, vcc, v91, v41, vcc
	v_add_co_u32_e32 v42, vcc, s20, v42
	v_addc_co_u32_e32 v43, vcc, v91, v43, vcc
	v_add_co_u32_e32 v44, vcc, s20, v44
	v_addc_co_u32_e32 v45, vcc, v91, v45, vcc
	global_load_dword v30, v[30:31], off
	s_nop 0
	global_load_dword v31, v[32:33], off
	s_nop 0
	;; [unrolled: 2-line block ×6, first 2 shown]
	global_load_dword v40, v[42:43], off
	global_load_dword v41, v[44:45], off
	v_add_u32_e32 v32, s56, v86
	v_ashrrev_i32_e32 v33, 31, v32
	v_lshlrev_b64 v[32:33], 2, v[32:33]
	v_add_u32_e32 v36, s57, v86
	v_add_co_u32_e32 v32, vcc, s20, v32
	v_ashrrev_i32_e32 v37, 31, v36
	v_addc_co_u32_e32 v33, vcc, v91, v33, vcc
	v_lshlrev_b64 v[36:37], 2, v[36:37]
	v_add_u32_e32 v42, s58, v86
	v_add_co_u32_e32 v36, vcc, s20, v36
	v_ashrrev_i32_e32 v43, 31, v42
	v_addc_co_u32_e32 v37, vcc, v91, v37, vcc
	;; [unrolled: 5-line block ×3, first 2 shown]
	v_lshlrev_b64 v[44:45], 2, v[44:45]
	v_add_co_u32_e32 v44, vcc, s20, v44
	v_addc_co_u32_e32 v45, vcc, v91, v45, vcc
	v_add_co_u32_e32 v48, vcc, s20, v46
	v_add_u32_e32 v46, s61, v86
	v_addc_co_u32_e32 v49, vcc, v91, v47, vcc
	v_ashrrev_i32_e32 v47, 31, v46
	v_lshlrev_b64 v[46:47], 2, v[46:47]
	v_add_co_u32_e32 v54, vcc, s20, v46
	v_add_u32_e32 v46, s62, v86
	v_addc_co_u32_e32 v55, vcc, v91, v47, vcc
	v_ashrrev_i32_e32 v47, 31, v46
	v_lshlrev_b64 v[46:47], 2, v[46:47]
	;; [unrolled: 5-line block ×3, first 2 shown]
	v_add_co_u32_e32 v58, vcc, s20, v46
	v_addc_co_u32_e32 v59, vcc, v91, v47, vcc
	global_load_dword v46, v[32:33], off
	global_load_dword v47, v[36:37], off
	;; [unrolled: 1-line block ×6, first 2 shown]
	s_nop 0
	global_load_dword v44, v[56:57], off
	global_load_dword v45, v[58:59], off
	v_add_u32_e32 v32, s64, v86
	v_ashrrev_i32_e32 v33, 31, v32
	v_lshlrev_b64 v[32:33], 2, v[32:33]
	v_add_u32_e32 v36, s65, v86
	v_add_co_u32_e32 v32, vcc, s20, v32
	v_ashrrev_i32_e32 v37, 31, v36
	v_addc_co_u32_e32 v33, vcc, v91, v33, vcc
	v_lshlrev_b64 v[36:37], 2, v[36:37]
	v_add_u32_e32 v42, s66, v86
	v_add_co_u32_e32 v36, vcc, s20, v36
	v_ashrrev_i32_e32 v43, 31, v42
	v_addc_co_u32_e32 v37, vcc, v91, v37, vcc
	;; [unrolled: 5-line block ×6, first 2 shown]
	v_lshlrev_b64 v[58:59], 2, v[58:59]
	v_add_co_u32_e32 v58, vcc, s20, v58
	v_addc_co_u32_e32 v59, vcc, v91, v59, vcc
	v_add_co_u32_e32 v60, vcc, s20, v60
	v_addc_co_u32_e32 v61, vcc, v91, v61, vcc
	global_load_dword v62, v[32:33], off
	global_load_dword v63, v[36:37], off
	;; [unrolled: 1-line block ×8, first 2 shown]
	v_add_u32_e32 v32, s72, v86
	v_ashrrev_i32_e32 v33, 31, v32
	v_lshlrev_b64 v[32:33], 2, v[32:33]
	v_add_u32_e32 v36, s73, v86
	v_add_co_u32_e32 v32, vcc, s20, v32
	v_ashrrev_i32_e32 v37, 31, v36
	v_addc_co_u32_e32 v33, vcc, v91, v33, vcc
	v_lshlrev_b64 v[36:37], 2, v[36:37]
	v_add_u32_e32 v42, s74, v86
	v_add_co_u32_e32 v36, vcc, s20, v36
	v_ashrrev_i32_e32 v43, 31, v42
	v_addc_co_u32_e32 v37, vcc, v91, v37, vcc
	;; [unrolled: 5-line block ×7, first 2 shown]
	v_lshlrev_b64 v[60:61], 2, v[60:61]
	v_add_co_u32_e32 v60, vcc, s20, v60
	v_addc_co_u32_e32 v61, vcc, v91, v61, vcc
	global_load_dword v70, v[32:33], off
	global_load_dword v71, v[36:37], off
	;; [unrolled: 1-line block ×8, first 2 shown]
	v_add_u32_e32 v32, s79, v86
	v_ashrrev_i32_e32 v33, 31, v32
	v_lshlrev_b64 v[32:33], 2, v[32:33]
	v_add_u32_e32 v36, s80, v86
	v_add_co_u32_e32 v32, vcc, s20, v32
	v_ashrrev_i32_e32 v37, 31, v36
	v_addc_co_u32_e32 v33, vcc, v91, v33, vcc
	v_lshlrev_b64 v[36:37], 2, v[36:37]
	v_add_u32_e32 v42, s81, v86
	v_add_co_u32_e32 v36, vcc, s20, v36
	v_ashrrev_i32_e32 v43, 31, v42
	v_addc_co_u32_e32 v37, vcc, v91, v37, vcc
	;; [unrolled: 5-line block ×7, first 2 shown]
	v_lshlrev_b64 v[60:61], 2, v[60:61]
	v_add_co_u32_e32 v60, vcc, s20, v60
	v_addc_co_u32_e32 v61, vcc, v91, v61, vcc
	global_load_dword v78, v[32:33], off
	global_load_dword v79, v[36:37], off
	;; [unrolled: 1-line block ×8, first 2 shown]
	v_add_u32_e32 v32, s87, v86
	v_ashrrev_i32_e32 v33, 31, v32
	v_lshlrev_b64 v[32:33], 2, v[32:33]
	v_add_u32_e32 v36, s88, v86
	v_add_co_u32_e32 v32, vcc, s20, v32
	v_ashrrev_i32_e32 v37, 31, v36
	v_addc_co_u32_e32 v33, vcc, v91, v33, vcc
	v_lshlrev_b64 v[36:37], 2, v[36:37]
	v_add_u32_e32 v42, s89, v86
	v_add_co_u32_e32 v36, vcc, s20, v36
	v_ashrrev_i32_e32 v43, 31, v42
	v_addc_co_u32_e32 v37, vcc, v91, v37, vcc
	;; [unrolled: 5-line block ×5, first 2 shown]
	v_lshlrev_b64 v[56:57], 2, v[56:57]
	v_add_co_u32_e32 v56, vcc, s20, v56
	v_addc_co_u32_e32 v57, vcc, v91, v57, vcc
	global_load_dword v95, v[32:33], off
	global_load_dword v96, v[36:37], off
	;; [unrolled: 1-line block ×6, first 2 shown]
	s_waitcnt vmcnt(55)
	ds_write_b32 v88, v20 offset:2176
	s_waitcnt vmcnt(54)
	ds_write_b32 v88, v21 offset:2440
	s_waitcnt vmcnt(53)
	ds_write_b32 v88, v22 offset:2704
	s_waitcnt vmcnt(52)
	ds_write_b32 v88, v23 offset:2968
	s_waitcnt vmcnt(51)
	ds_write_b32 v88, v24 offset:3232
	s_waitcnt vmcnt(50)
	ds_write_b32 v88, v25 offset:3496
	s_waitcnt vmcnt(49)
	ds_write_b32 v88, v28 offset:3760
	s_waitcnt vmcnt(48)
	ds_write_b32 v88, v29 offset:4024
	ds_read_b64 v[48:49], v89 offset:64
	ds_read_b64 v[42:43], v89 offset:96
	ds_read_b64 v[36:37], v89 offset:128
	ds_read_b64 v[32:33], v89 offset:160
	ds_read_b64 v[28:29], v89 offset:192
	ds_read_b64 v[24:25], v89 offset:224
	ds_read_b64 v[22:23], v89 offset:256
	ds_read_b64 v[20:21], v89 offset:288
	s_waitcnt vmcnt(47)
	ds_write_b32 v88, v26 offset:64
	s_waitcnt vmcnt(46)
	ds_write_b32 v88, v27 offset:328
	s_waitcnt vmcnt(45)
	ds_write_b32 v88, v30 offset:592
	s_waitcnt vmcnt(44)
	ds_write_b32 v88, v31 offset:856
	s_waitcnt vmcnt(43)
	ds_write_b32 v88, v34 offset:1120
	s_waitcnt vmcnt(42)
	ds_write_b32 v88, v35 offset:1384
	s_waitcnt vmcnt(41)
	ds_write_b32 v88, v38 offset:1648
	s_waitcnt vmcnt(40)
	ds_write_b32 v88, v39 offset:1912
	s_waitcnt vmcnt(39)
	ds_write_b32 v88, v40 offset:2176
	s_waitcnt vmcnt(38)
	ds_write_b32 v88, v41 offset:2440
	s_waitcnt vmcnt(37)
	ds_write_b32 v88, v46 offset:2704
	s_waitcnt vmcnt(36)
	ds_write_b32 v88, v47 offset:2968
	s_waitcnt vmcnt(35)
	ds_write_b32 v88, v50 offset:3232
	s_waitcnt vmcnt(34)
	ds_write_b32 v88, v51 offset:3496
	s_waitcnt vmcnt(33)
	ds_write_b32 v88, v52 offset:3760
	s_waitcnt vmcnt(32)
	ds_write_b32 v88, v53 offset:4024
	ds_read_b64 v[60:61], v89 offset:64
	ds_read_b64 v[56:57], v89 offset:96
	ds_read_b64 v[52:53], v89 offset:128
	ds_read_b64 v[46:47], v89 offset:160
	ds_read_b64 v[40:41], v89 offset:192
	ds_read_b64 v[34:35], v89 offset:224
	ds_read_b64 v[30:31], v89 offset:256
	ds_read_b64 v[26:27], v89 offset:288
	s_waitcnt vmcnt(31)
	ds_write_b32 v88, v44 offset:64
	s_waitcnt vmcnt(30)
	ds_write_b32 v88, v45 offset:328
	s_waitcnt vmcnt(29)
	ds_write_b32 v88, v62 offset:592
	s_waitcnt vmcnt(28)
	ds_write_b32 v88, v63 offset:856
	s_waitcnt vmcnt(27)
	ds_write_b32 v88, v64 offset:1120
	s_waitcnt vmcnt(26)
	ds_write_b32 v88, v65 offset:1384
	s_waitcnt vmcnt(25)
	ds_write_b32 v88, v66 offset:1648
	s_waitcnt vmcnt(24)
	ds_write_b32 v88, v67 offset:1912
	;; [unrolled: 40-line block ×3, first 2 shown]
	s_waitcnt vmcnt(7)
	ds_write_b32 v88, v93 offset:2176
	s_waitcnt vmcnt(6)
	ds_write_b32 v88, v94 offset:2440
	;; [unrolled: 2-line block ×8, first 2 shown]
	ds_read_b64 v[82:83], v89 offset:64
	ds_read_b64 v[80:81], v89 offset:96
	;; [unrolled: 1-line block ×8, first 2 shown]
	s_andn2_b64 vcc, exec, s[4:5]
	v_mov_b32_e32 v93, 0
	s_cbranch_vccnz .LBB88_28
; %bb.25:                               ;   in Loop: Header=BB88_24 Depth=1
	ds_read_b32 v93, v87
	s_waitcnt lgkmcnt(0)
	v_cmp_gt_i32_e32 vcc, 0, v93
	s_cbranch_vccnz .LBB88_27
; %bb.26:                               ;   in Loop: Header=BB88_24 Depth=1
	v_mul_lo_u32 v93, v93, s21
	v_add_u32_e32 v94, v86, v93
	v_ashrrev_i32_e32 v95, 31, v94
	v_lshlrev_b64 v[94:95], 2, v[94:95]
	v_mov_b32_e32 v93, s30
	v_add_co_u32_e32 v94, vcc, s27, v94
	v_addc_co_u32_e32 v95, vcc, v93, v95, vcc
	global_load_dword v93, v[94:95], off
	s_branch .LBB88_28
.LBB88_27:                              ;   in Loop: Header=BB88_24 Depth=1
	v_mov_b32_e32 v93, 0
.LBB88_28:                              ;   in Loop: Header=BB88_24 Depth=1
	s_waitcnt vmcnt(0)
	ds_write_b32 v88, v93 offset:64
	s_andn2_b64 vcc, exec, s[6:7]
	v_mov_b32_e32 v93, 0
	v_mov_b32_e32 v94, 0
	s_cbranch_vccz .LBB88_31
; %bb.29:                               ;   in Loop: Header=BB88_24 Depth=1
	s_andn2_b64 vcc, exec, s[10:11]
	ds_write_b32 v88, v94 offset:328
	s_cbranch_vccz .LBB88_34
.LBB88_30:                              ;   in Loop: Header=BB88_24 Depth=1
	ds_write_b32 v88, v93 offset:592
	s_andn2_b64 vcc, exec, s[18:19]
	v_mov_b32_e32 v93, 0
	s_cbranch_vccnz .LBB88_23
	s_branch .LBB88_37
.LBB88_31:                              ;   in Loop: Header=BB88_24 Depth=1
	ds_read_b32 v94, v87 offset:4
	s_waitcnt lgkmcnt(0)
	v_cmp_gt_i32_e32 vcc, 0, v94
	s_cbranch_vccnz .LBB88_33
; %bb.32:                               ;   in Loop: Header=BB88_24 Depth=1
	v_mul_lo_u32 v94, v94, s21
	v_add_u32_e32 v94, s16, v94
	v_add_u32_e32 v94, v94, v86
	v_ashrrev_i32_e32 v95, 31, v94
	v_lshlrev_b64 v[94:95], 2, v[94:95]
	v_mov_b32_e32 v96, s30
	v_add_co_u32_e32 v94, vcc, s27, v94
	v_addc_co_u32_e32 v95, vcc, v96, v95, vcc
	global_load_dword v94, v[94:95], off
	s_andn2_b64 vcc, exec, s[10:11]
	s_waitcnt vmcnt(0)
	ds_write_b32 v88, v94 offset:328
	s_cbranch_vccnz .LBB88_30
	s_branch .LBB88_34
.LBB88_33:                              ;   in Loop: Header=BB88_24 Depth=1
	v_mov_b32_e32 v94, 0
	s_andn2_b64 vcc, exec, s[10:11]
	ds_write_b32 v88, v94 offset:328
	s_cbranch_vccnz .LBB88_30
.LBB88_34:                              ;   in Loop: Header=BB88_24 Depth=1
	ds_read_b32 v93, v87 offset:8
	s_waitcnt lgkmcnt(0)
	v_cmp_gt_i32_e32 vcc, 0, v93
	s_cbranch_vccnz .LBB88_36
; %bb.35:                               ;   in Loop: Header=BB88_24 Depth=1
	v_mul_lo_u32 v93, v93, s21
	v_add_u32_e32 v93, s31, v93
	v_add_u32_e32 v94, v93, v86
	v_ashrrev_i32_e32 v95, 31, v94
	v_lshlrev_b64 v[94:95], 2, v[94:95]
	v_mov_b32_e32 v93, s30
	v_add_co_u32_e32 v94, vcc, s27, v94
	v_addc_co_u32_e32 v95, vcc, v93, v95, vcc
	global_load_dword v93, v[94:95], off
	s_waitcnt vmcnt(0)
	ds_write_b32 v88, v93 offset:592
	s_andn2_b64 vcc, exec, s[18:19]
	v_mov_b32_e32 v93, 0
	s_cbranch_vccnz .LBB88_23
	s_branch .LBB88_37
.LBB88_36:                              ;   in Loop: Header=BB88_24 Depth=1
	v_mov_b32_e32 v93, 0
	ds_write_b32 v88, v93 offset:592
	s_andn2_b64 vcc, exec, s[18:19]
	v_mov_b32_e32 v93, 0
	s_cbranch_vccnz .LBB88_23
.LBB88_37:                              ;   in Loop: Header=BB88_24 Depth=1
	ds_read_b32 v93, v87 offset:12
	s_waitcnt lgkmcnt(0)
	v_cmp_gt_i32_e32 vcc, 0, v93
	s_cbranch_vccz .LBB88_22
; %bb.38:                               ;   in Loop: Header=BB88_24 Depth=1
	v_mov_b32_e32 v93, 0
	s_branch .LBB88_23
.LBB88_39:
	s_or_b64 exec, exec, s[14:15]
.LBB88_40:
	s_or_b64 exec, exec, s[0:1]
	v_mul_u32_u24_e32 v18, 0x508, v85
	s_movk_i32 s4, 0x100
	v_lshlrev_b32_e32 v19, 2, v84
	v_add3_u32 v18, s4, v18, v19
	v_and_b32_e32 v20, 0x3f0, v16
	v_add_u32_e32 v21, v18, v20
	s_barrier
	v_add_u32_e32 v19, 64, v18
	ds_write2_b32 v21, v8, v9 offset0:16 offset1:17
	v_or_b32_e32 v9, 12, v16
	v_add_u32_e32 v8, v19, v20
	v_and_b32_e32 v9, 0x3fc, v9
	ds_write_b32 v8, v10 offset:8
	v_add_u32_e32 v10, v18, v9
	ds_write_b32 v10, v11 offset:64
	ds_write2_b32 v8, v4, v5 offset0:16 offset1:17
	ds_write_b32 v8, v6 offset:72
	v_add_u32_e32 v4, v19, v9
	v_cmp_gt_u32_e32 vcc, 4, v17
	ds_write_b32 v4, v7 offset:64
	ds_write2_b32 v8, v0, v1 offset0:32 offset1:33
	ds_write_b32 v8, v2 offset:136
	ds_write_b32 v4, v3 offset:128
	ds_write2_b32 v8, v12, v13 offset0:48 offset1:49
	ds_write_b32 v8, v14 offset:200
	ds_write_b32 v4, v15 offset:192
	s_waitcnt lgkmcnt(0)
	s_barrier
	s_and_saveexec_b64 s[0:1], vcc
	s_cbranch_execz .LBB88_43
; %bb.41:
	v_mov_b32_e32 v0, 0x100
	v_lshl_add_u32 v0, v17, 2, v0
	ds_read_b32 v0, v0
	v_or_b32_e32 v1, s9, v17
	v_cmp_gt_i32_e64 s[0:1], s13, v1
	s_waitcnt lgkmcnt(0)
	v_cmp_lt_i32_e32 vcc, -1, v0
	s_and_b64 s[0:1], vcc, s[0:1]
	s_and_b64 exec, exec, s[0:1]
	s_cbranch_execz .LBB88_43
; %bb.42:
	v_lshlrev_b32_e32 v2, 2, v16
	v_mul_u32_u24_e32 v3, 0x508, v17
	v_add3_u32 v6, s4, v2, v3
	ds_read2_b32 v[2:3], v6 offset0:16 offset1:80
	s_mul_hi_i32 s1, s26, s8
	s_mul_i32 s0, s26, s8
	ds_read2_b32 v[4:5], v6 offset0:144 offset1:208
	s_lshl_b64 s[0:1], s[0:1], 2
	s_mul_hi_i32 s7, s9, s17
	s_mul_i32 s6, s9, s17
	s_add_u32 s2, s2, s0
	ds_read_b32 v6, v6 offset:1088
	s_waitcnt lgkmcnt(2)
	v_add_f32_e32 v2, 0, v2
	v_add_u32_e32 v1, s23, v16
	s_addc_u32 s3, s3, s1
	s_lshl_b64 s[0:1], s[6:7], 2
	v_add_f32_e32 v2, v2, v3
	v_mul_lo_u32 v0, v0, s22
	v_mul_lo_u32 v3, v17, s17
	s_add_u32 s0, s2, s0
	v_add3_u32 v0, v1, v3, v0
	v_mov_b32_e32 v1, 0
	s_addc_u32 s1, s3, s1
	s_waitcnt lgkmcnt(1)
	v_add_f32_e32 v2, v2, v4
	v_lshlrev_b64 v[0:1], 2, v[0:1]
	v_add_f32_e32 v2, v2, v5
	v_mov_b32_e32 v3, s1
	v_add_co_u32_e32 v0, vcc, s0, v0
	s_waitcnt lgkmcnt(0)
	v_add_f32_e32 v2, v2, v6
	v_addc_co_u32_e32 v1, vcc, v3, v1, vcc
	global_store_dword v[0:1], v2, off
.LBB88_43:
	s_endpgm
	.section	.rodata,"a",@progbits
	.p2align	6, 0x0
	.amdhsa_kernel _ZL9mul_mat_fIfLi64ELi4ELi5ELb1EEvPKT_PKfPKiPfiiiiiiiiiiiiiiii
		.amdhsa_group_segment_fixed_size 256
		.amdhsa_private_segment_fixed_size 0
		.amdhsa_kernarg_size 352
		.amdhsa_user_sgpr_count 6
		.amdhsa_user_sgpr_private_segment_buffer 1
		.amdhsa_user_sgpr_dispatch_ptr 0
		.amdhsa_user_sgpr_queue_ptr 0
		.amdhsa_user_sgpr_kernarg_segment_ptr 1
		.amdhsa_user_sgpr_dispatch_id 0
		.amdhsa_user_sgpr_flat_scratch_init 0
		.amdhsa_user_sgpr_kernarg_preload_length 0
		.amdhsa_user_sgpr_kernarg_preload_offset 0
		.amdhsa_user_sgpr_private_segment_size 0
		.amdhsa_uses_dynamic_stack 0
		.amdhsa_system_sgpr_private_segment_wavefront_offset 0
		.amdhsa_system_sgpr_workgroup_id_x 1
		.amdhsa_system_sgpr_workgroup_id_y 1
		.amdhsa_system_sgpr_workgroup_id_z 1
		.amdhsa_system_sgpr_workgroup_info 0
		.amdhsa_system_vgpr_workitem_id 2
		.amdhsa_next_free_vgpr 101
		.amdhsa_next_free_sgpr 93
		.amdhsa_accum_offset 104
		.amdhsa_reserve_vcc 1
		.amdhsa_reserve_flat_scratch 0
		.amdhsa_float_round_mode_32 0
		.amdhsa_float_round_mode_16_64 0
		.amdhsa_float_denorm_mode_32 3
		.amdhsa_float_denorm_mode_16_64 3
		.amdhsa_dx10_clamp 1
		.amdhsa_ieee_mode 1
		.amdhsa_fp16_overflow 0
		.amdhsa_tg_split 0
		.amdhsa_exception_fp_ieee_invalid_op 0
		.amdhsa_exception_fp_denorm_src 0
		.amdhsa_exception_fp_ieee_div_zero 0
		.amdhsa_exception_fp_ieee_overflow 0
		.amdhsa_exception_fp_ieee_underflow 0
		.amdhsa_exception_fp_ieee_inexact 0
		.amdhsa_exception_int_div_zero 0
	.end_amdhsa_kernel
	.section	.text._ZL9mul_mat_fIfLi64ELi4ELi5ELb1EEvPKT_PKfPKiPfiiiiiiiiiiiiiiii,"axG",@progbits,_ZL9mul_mat_fIfLi64ELi4ELi5ELb1EEvPKT_PKfPKiPfiiiiiiiiiiiiiiii,comdat
.Lfunc_end88:
	.size	_ZL9mul_mat_fIfLi64ELi4ELi5ELb1EEvPKT_PKfPKiPfiiiiiiiiiiiiiiii, .Lfunc_end88-_ZL9mul_mat_fIfLi64ELi4ELi5ELb1EEvPKT_PKfPKiPfiiiiiiiiiiiiiiii
                                        ; -- End function
	.section	.AMDGPU.csdata,"",@progbits
; Kernel info:
; codeLenInByte = 6452
; NumSgprs: 97
; NumVgprs: 101
; NumAgprs: 0
; TotalNumVgprs: 101
; ScratchSize: 0
; MemoryBound: 0
; FloatMode: 240
; IeeeMode: 1
; LDSByteSize: 256 bytes/workgroup (compile time only)
; SGPRBlocks: 12
; VGPRBlocks: 12
; NumSGPRsForWavesPerEU: 97
; NumVGPRsForWavesPerEU: 101
; AccumOffset: 104
; Occupancy: 4
; WaveLimiterHint : 0
; COMPUTE_PGM_RSRC2:SCRATCH_EN: 0
; COMPUTE_PGM_RSRC2:USER_SGPR: 6
; COMPUTE_PGM_RSRC2:TRAP_HANDLER: 0
; COMPUTE_PGM_RSRC2:TGID_X_EN: 1
; COMPUTE_PGM_RSRC2:TGID_Y_EN: 1
; COMPUTE_PGM_RSRC2:TGID_Z_EN: 1
; COMPUTE_PGM_RSRC2:TIDIG_COMP_CNT: 2
; COMPUTE_PGM_RSRC3_GFX90A:ACCUM_OFFSET: 25
; COMPUTE_PGM_RSRC3_GFX90A:TG_SPLIT: 0
	.section	.text._ZL9mul_mat_fIfLi64ELi4ELi5ELb0EEvPKT_PKfPKiPfiiiiiiiiiiiiiiii,"axG",@progbits,_ZL9mul_mat_fIfLi64ELi4ELi5ELb0EEvPKT_PKfPKiPfiiiiiiiiiiiiiiii,comdat
	.globl	_ZL9mul_mat_fIfLi64ELi4ELi5ELb0EEvPKT_PKfPKiPfiiiiiiiiiiiiiiii ; -- Begin function _ZL9mul_mat_fIfLi64ELi4ELi5ELb0EEvPKT_PKfPKiPfiiiiiiiiiiiiiiii
	.p2align	8
	.type	_ZL9mul_mat_fIfLi64ELi4ELi5ELb0EEvPKT_PKfPKiPfiiiiiiiiiiiiiiii,@function
_ZL9mul_mat_fIfLi64ELi4ELi5ELb0EEvPKT_PKfPKiPfiiiiiiiiiiiiiiii: ; @_ZL9mul_mat_fIfLi64ELi4ELi5ELb0EEvPKT_PKfPKiPfiiiiiiiiiiiiiiii
; %bb.0:
	s_load_dwordx8 s[12:19], s[4:5], 0x40
	s_load_dword s9, s[4:5], 0x20
	s_load_dwordx4 s[0:3], s[4:5], 0x2c
	v_bfe_u32 v25, v0, 10, 10
	v_lshlrev_b32_e32 v91, 6, v25
	v_and_b32_e32 v90, 0x3ff, v0
	s_waitcnt lgkmcnt(0)
	s_abs_i32 s27, s12
	s_abs_i32 s26, s16
	v_cvt_f32_u32_e32 v1, s27
	v_cvt_f32_u32_e32 v2, s26
	v_add_u32_e32 v93, v91, v90
	s_mov_b32 s22, 0
	v_rcp_iflag_f32_e32 v1, v1
	v_rcp_iflag_f32_e32 v2, v2
	s_ashr_i32 s28, s8, 31
	v_cmp_le_i32_e32 vcc, s9, v93
	v_mul_f32_e32 v1, 0x4f7ffffe, v1
	v_mul_f32_e32 v2, 0x4f7ffffe, v2
	v_cvt_u32_f32_e32 v1, v1
	v_cvt_u32_f32_e32 v2, v2
	v_and_b32_e32 v92, 15, v90
	v_readfirstlane_b32 s21, v1
	v_readfirstlane_b32 s20, v2
	s_and_saveexec_b64 s[10:11], vcc
	s_xor_b64 s[10:11], exec, s[10:11]
; %bb.1:
	v_and_b32_e32 v92, 15, v90
                                        ; implicit-def: $vgpr93
; %bb.2:
	s_or_saveexec_b64 s[24:25], s[10:11]
	s_load_dwordx2 s[10:11], s[4:5], 0x18
	s_lshl_b32 s3, s6, 6
	v_mov_b32_e32 v3, s22
	v_lshlrev_b32_e32 v16, 2, v90
	v_mov_b32_e32 v2, s22
	v_mov_b32_e32 v1, s22
	;; [unrolled: 1-line block ×15, first 2 shown]
	s_xor_b64 exec, exec, s[24:25]
	s_cbranch_execz .LBB89_6
; %bb.3:
	s_sub_i32 s6, 0, s27
	s_sub_i32 s22, 0, s26
	s_mul_i32 s6, s6, s21
	s_mul_i32 s22, s22, s20
	s_mul_hi_u32 s6, s21, s6
	s_mul_hi_u32 s22, s20, s22
	s_abs_i32 s29, s7
	s_add_i32 s6, s21, s6
	s_add_i32 s31, s20, s22
	s_load_dwordx4 s[20:23], s[4:5], 0x0
	s_mul_hi_u32 s4, s29, s6
	s_ashr_i32 s6, s7, 31
	s_ashr_i32 s12, s12, 31
	s_xor_b32 s6, s6, s12
	s_mul_i32 s12, s4, s27
	s_abs_i32 s30, s8
	s_sub_i32 s12, s29, s12
	s_mul_hi_u32 s5, s30, s31
	s_ashr_i32 s16, s16, 31
	s_add_i32 s29, s4, 1
	s_sub_i32 s31, s12, s27
	s_cmp_ge_u32 s12, s27
	s_cselect_b32 s4, s29, s4
	s_cselect_b32 s12, s31, s12
	s_add_i32 s29, s4, 1
	s_cmp_ge_u32 s12, s27
	s_cselect_b32 s4, s29, s4
	s_mul_i32 s12, s5, s26
	s_xor_b32 s4, s4, s6
	s_sub_i32 s12, s30, s12
	s_sub_i32 s6, s4, s6
	s_xor_b32 s4, s28, s16
	s_add_i32 s16, s5, 1
	s_sub_i32 s27, s12, s26
	s_cmp_ge_u32 s12, s26
	s_cselect_b32 s5, s16, s5
	s_cselect_b32 s12, s27, s12
	s_add_i32 s16, s5, 1
	s_cmp_ge_u32 s12, s26
	s_cselect_b32 s5, s16, s5
	s_xor_b32 s5, s5, s4
	s_sub_i32 s4, s5, s4
	s_mul_i32 s12, s6, s13
	s_mul_i32 s16, s3, s0
	s_mul_hi_i32 s5, s4, s17
	s_mul_i32 s4, s4, s17
	s_ashr_i32 s13, s12, 31
	s_ashr_i32 s17, s16, 31
	s_lshl_b64 s[30:31], s[4:5], 2
	s_lshl_b64 s[4:5], s[16:17], 2
	;; [unrolled: 1-line block ×3, first 2 shown]
	s_waitcnt lgkmcnt(0)
	s_add_u32 s6, s20, s12
	s_addc_u32 s12, s21, s13
	s_add_u32 s6, s6, s4
	s_mul_i32 s28, s7, s14
	s_addc_u32 s14, s12, s5
	s_add_u32 s4, s6, s30
	s_mul_hi_i32 s27, s18, s8
	s_mul_i32 s26, s18, s8
	s_addc_u32 s73, s14, s31
	s_ashr_i32 s29, s28, 31
	s_lshl_b64 s[12:13], s[26:27], 2
	s_lshl_b64 s[16:17], s[28:29], 2
	s_add_u32 s18, s22, s16
	s_addc_u32 s22, s23, s17
	s_add_u32 s5, s18, s12
	s_movk_i32 s16, 0x1080
	v_lshrrev_b32_e32 v2, 1, v90
	s_addc_u32 s74, s22, s13
	v_mad_u32_u24 v0, v25, s16, 0
	v_mul_u32_u24_e32 v1, 0x108, v92
	v_and_b32_e32 v2, 0x1f8, v2
	s_ashr_i32 s17, s0, 31
	s_mov_b32 s16, s0
	v_add_u32_e32 v94, v0, v16
	v_add3_u32 v95, v0, v1, v2
	s_ashr_i32 s21, s1, 31
	v_lshlrev_b32_e32 v0, 8, v25
	s_lshl_b64 s[16:17], s[16:17], 2
	v_mov_b32_e32 v1, s31
	v_add_co_u32_e32 v2, vcc, s30, v0
	s_add_u32 s16, s6, s16
	v_addc_co_u32_e32 v1, vcc, 0, v1, vcc
	s_addc_u32 s17, s14, s17
	v_mov_b32_e32 v3, s17
	v_add_co_u32_e32 v18, vcc, s16, v2
	v_addc_co_u32_e32 v17, vcc, v3, v1, vcc
	v_mov_b32_e32 v3, s14
	v_add_co_u32_e32 v20, vcc, s6, v2
	s_mov_b32 s20, s1
	v_addc_co_u32_e32 v19, vcc, v3, v1, vcc
	v_mov_b32_e32 v1, s13
	v_add_co_u32_e32 v0, vcc, s12, v0
	s_lshl_b64 s[12:13], s[20:21], 2
	s_add_u32 s6, s18, s12
	v_addc_co_u32_e32 v1, vcc, 0, v1, vcc
	s_addc_u32 s12, s22, s13
	v_mov_b32_e32 v2, s12
	v_add_co_u32_e32 v22, vcc, s6, v0
	v_addc_co_u32_e32 v21, vcc, v2, v1, vcc
	v_mov_b32_e32 v96, 0
	v_mov_b32_e32 v2, s22
	v_add_co_u32_e32 v24, vcc, s18, v0
	v_addc_co_u32_e32 v23, vcc, v2, v1, vcc
	s_lshl_b32 s6, s1, 1
	s_mul_i32 s12, s1, 3
	s_lshl_b32 s13, s0, 1
	s_mul_i32 s14, s0, 3
	;; [unrolled: 2-line block ×3, first 2 shown]
	s_mul_i32 s18, s0, 6
	s_mul_i32 s20, s0, 7
	s_lshl_b32 s21, s0, 3
	s_mul_i32 s22, s0, 9
	s_mul_i32 s23, s0, 10
	;; [unrolled: 1-line block ×7, first 2 shown]
	s_lshl_b32 s31, s0, 4
	s_mul_i32 s33, s0, 17
	s_mul_i32 s34, s0, 18
	;; [unrolled: 1-line block ×15, first 2 shown]
	s_lshl_b32 s48, s0, 5
	s_mul_i32 s49, s0, 33
	s_mul_i32 s50, s0, 34
	;; [unrolled: 1-line block ×24, first 2 shown]
	v_mov_b32_e32 v97, s73
	s_mul_i32 s73, s0, 57
	v_mov_b32_e32 v98, s74
	s_mul_i32 s74, s0, 58
	v_mov_b32_e32 v4, 0
	v_mov_b32_e32 v5, v96
	;; [unrolled: 1-line block ×16, first 2 shown]
	s_mul_i32 s75, s0, 59
	s_mul_i32 s76, s0, 60
	;; [unrolled: 1-line block ×5, first 2 shown]
	s_movk_i32 s80, 0x500
	s_mov_b64 s[0:1], 0
.LBB89_4:                               ; =>This Inner Loop Header: Depth=1
	v_add_co_u32_e32 v26, vcc, v20, v16
	v_addc_co_u32_e32 v27, vcc, 0, v19, vcc
	global_load_dword v26, v[26:27], off
	v_add_u32_e32 v42, s31, v93
	v_ashrrev_i32_e32 v43, 31, v42
	v_lshlrev_b64 v[42:43], 2, v[42:43]
	v_add_u32_e32 v58, s48, v93
	v_ashrrev_i32_e32 v59, 31, v58
	v_lshlrev_b64 v[58:59], 2, v[58:59]
	;; [unrolled: 3-line block ×3, first 2 shown]
	s_waitcnt vmcnt(0)
	ds_write_b32 v94, v26
	v_add_co_u32_e32 v26, vcc, v18, v16
	v_addc_co_u32_e32 v27, vcc, 0, v17, vcc
	global_load_dword v26, v[26:27], off
	s_waitcnt vmcnt(0)
	ds_write_b32 v94, v26 offset:264
	v_add_u32_e32 v26, s13, v93
	v_ashrrev_i32_e32 v27, 31, v26
	v_lshlrev_b64 v[26:27], 2, v[26:27]
	v_add_co_u32_e32 v26, vcc, s4, v26
	v_addc_co_u32_e32 v27, vcc, v97, v27, vcc
	global_load_dword v26, v[26:27], off
	s_waitcnt vmcnt(0)
	ds_write_b32 v94, v26 offset:528
	v_add_u32_e32 v26, s14, v93
	v_ashrrev_i32_e32 v27, 31, v26
	v_lshlrev_b64 v[26:27], 2, v[26:27]
	;; [unrolled: 8-line block ×14, first 2 shown]
	v_add_co_u32_e32 v26, vcc, s4, v26
	v_addc_co_u32_e32 v27, vcc, v97, v27, vcc
	global_load_dword v26, v[26:27], off
	v_add_co_u32_e32 v42, vcc, s4, v42
	v_addc_co_u32_e32 v43, vcc, v97, v43, vcc
	s_waitcnt vmcnt(0)
	ds_write_b32 v94, v26 offset:3960
	ds_read_b64 v[40:41], v95
	ds_read_b64 v[38:39], v95 offset:32
	ds_read_b64 v[36:37], v95 offset:64
	;; [unrolled: 1-line block ×7, first 2 shown]
	global_load_dword v42, v[42:43], off
	s_waitcnt vmcnt(0)
	ds_write_b32 v94, v42
	v_add_u32_e32 v42, s33, v93
	v_ashrrev_i32_e32 v43, 31, v42
	v_lshlrev_b64 v[42:43], 2, v[42:43]
	v_add_co_u32_e32 v42, vcc, s4, v42
	v_addc_co_u32_e32 v43, vcc, v97, v43, vcc
	global_load_dword v42, v[42:43], off
	s_waitcnt vmcnt(0)
	ds_write_b32 v94, v42 offset:264
	v_add_u32_e32 v42, s34, v93
	v_ashrrev_i32_e32 v43, 31, v42
	v_lshlrev_b64 v[42:43], 2, v[42:43]
	v_add_co_u32_e32 v42, vcc, s4, v42
	v_addc_co_u32_e32 v43, vcc, v97, v43, vcc
	global_load_dword v42, v[42:43], off
	s_waitcnt vmcnt(0)
	ds_write_b32 v94, v42 offset:528
	;; [unrolled: 8-line block ×14, first 2 shown]
	v_add_u32_e32 v42, s47, v93
	v_ashrrev_i32_e32 v43, 31, v42
	v_lshlrev_b64 v[42:43], 2, v[42:43]
	v_add_co_u32_e32 v42, vcc, s4, v42
	v_addc_co_u32_e32 v43, vcc, v97, v43, vcc
	global_load_dword v42, v[42:43], off
	v_add_co_u32_e32 v58, vcc, s4, v58
	v_addc_co_u32_e32 v59, vcc, v97, v59, vcc
	s_waitcnt vmcnt(0)
	ds_write_b32 v94, v42 offset:3960
	ds_read_b64 v[56:57], v95
	ds_read_b64 v[54:55], v95 offset:32
	ds_read_b64 v[52:53], v95 offset:64
	;; [unrolled: 1-line block ×7, first 2 shown]
	global_load_dword v58, v[58:59], off
	s_waitcnt vmcnt(0)
	ds_write_b32 v94, v58
	v_add_u32_e32 v58, s49, v93
	v_ashrrev_i32_e32 v59, 31, v58
	v_lshlrev_b64 v[58:59], 2, v[58:59]
	v_add_co_u32_e32 v58, vcc, s4, v58
	v_addc_co_u32_e32 v59, vcc, v97, v59, vcc
	global_load_dword v58, v[58:59], off
	s_waitcnt vmcnt(0)
	ds_write_b32 v94, v58 offset:264
	v_add_u32_e32 v58, s50, v93
	v_ashrrev_i32_e32 v59, 31, v58
	v_lshlrev_b64 v[58:59], 2, v[58:59]
	v_add_co_u32_e32 v58, vcc, s4, v58
	v_addc_co_u32_e32 v59, vcc, v97, v59, vcc
	global_load_dword v58, v[58:59], off
	s_waitcnt vmcnt(0)
	ds_write_b32 v94, v58 offset:528
	;; [unrolled: 8-line block ×14, first 2 shown]
	v_add_u32_e32 v58, s63, v93
	v_ashrrev_i32_e32 v59, 31, v58
	v_lshlrev_b64 v[58:59], 2, v[58:59]
	v_add_co_u32_e32 v58, vcc, s4, v58
	v_addc_co_u32_e32 v59, vcc, v97, v59, vcc
	global_load_dword v58, v[58:59], off
	v_add_co_u32_e32 v74, vcc, s4, v74
	v_addc_co_u32_e32 v75, vcc, v97, v75, vcc
	s_waitcnt vmcnt(0)
	ds_write_b32 v94, v58 offset:3960
	ds_read_b64 v[72:73], v95
	ds_read_b64 v[70:71], v95 offset:32
	ds_read_b64 v[68:69], v95 offset:64
	ds_read_b64 v[66:67], v95 offset:96
	ds_read_b64 v[64:65], v95 offset:128
	ds_read_b64 v[62:63], v95 offset:160
	ds_read_b64 v[60:61], v95 offset:192
	ds_read_b64 v[58:59], v95 offset:224
	global_load_dword v74, v[74:75], off
	s_waitcnt vmcnt(0)
	ds_write_b32 v94, v74
	v_add_u32_e32 v74, s65, v93
	v_ashrrev_i32_e32 v75, 31, v74
	v_lshlrev_b64 v[74:75], 2, v[74:75]
	v_add_co_u32_e32 v74, vcc, s4, v74
	v_addc_co_u32_e32 v75, vcc, v97, v75, vcc
	global_load_dword v74, v[74:75], off
	s_waitcnt vmcnt(0)
	ds_write_b32 v94, v74 offset:264
	v_add_u32_e32 v74, s66, v93
	v_ashrrev_i32_e32 v75, 31, v74
	v_lshlrev_b64 v[74:75], 2, v[74:75]
	v_add_co_u32_e32 v74, vcc, s4, v74
	v_addc_co_u32_e32 v75, vcc, v97, v75, vcc
	global_load_dword v74, v[74:75], off
	s_waitcnt vmcnt(0)
	ds_write_b32 v94, v74 offset:528
	;; [unrolled: 8-line block ×14, first 2 shown]
	v_add_u32_e32 v74, s79, v93
	v_ashrrev_i32_e32 v75, 31, v74
	v_lshlrev_b64 v[74:75], 2, v[74:75]
	v_add_co_u32_e32 v74, vcc, s4, v74
	v_addc_co_u32_e32 v75, vcc, v97, v75, vcc
	global_load_dword v74, v[74:75], off
	v_add_co_u32_e32 v100, vcc, v24, v16
	v_addc_co_u32_e32 v101, vcc, 0, v23, vcc
	s_waitcnt vmcnt(0)
	ds_write_b32 v94, v74 offset:3960
	ds_read_b64 v[88:89], v95
	ds_read_b64 v[86:87], v95 offset:32
	ds_read_b64 v[84:85], v95 offset:64
	;; [unrolled: 1-line block ×7, first 2 shown]
	global_load_dword v99, v[100:101], off
	v_add_co_u32_e32 v100, vcc, v22, v16
	v_addc_co_u32_e32 v101, vcc, 0, v21, vcc
	s_waitcnt vmcnt(0)
	ds_write_b32 v94, v99
	global_load_dword v99, v[100:101], off
	v_add_u32_e32 v100, s6, v93
	v_ashrrev_i32_e32 v101, 31, v100
	v_lshlrev_b64 v[100:101], 2, v[100:101]
	v_add_co_u32_e32 v100, vcc, s5, v100
	v_addc_co_u32_e32 v101, vcc, v98, v101, vcc
	s_waitcnt vmcnt(0)
	ds_write_b32 v94, v99 offset:264
	global_load_dword v99, v[100:101], off
	v_add_u32_e32 v100, s12, v93
	v_ashrrev_i32_e32 v101, 31, v100
	v_lshlrev_b64 v[100:101], 2, v[100:101]
	v_add_co_u32_e32 v100, vcc, s5, v100
	v_addc_co_u32_e32 v101, vcc, v98, v101, vcc
	v_add_co_u32_e32 v18, vcc, s80, v18
	v_addc_co_u32_e32 v17, vcc, 0, v17, vcc
	;; [unrolled: 2-line block ×4, first 2 shown]
	v_add_co_u32_e32 v24, vcc, 0x500, v24
	v_add_u32_e32 v93, 0x140, v93
	v_addc_co_u32_e32 v23, vcc, 0, v23, vcc
	v_cmp_le_i32_e32 vcc, s9, v93
	s_or_b64 s[0:1], vcc, s[0:1]
	s_waitcnt vmcnt(0)
	ds_write_b32 v94, v99 offset:528
	global_load_dword v99, v[100:101], off
	s_waitcnt vmcnt(0)
	ds_write_b32 v94, v99 offset:792
	ds_write_b32 v94, v96 offset:1056
	;; [unrolled: 1-line block ×13, first 2 shown]
	ds_read_b64 v[100:101], v95
	ds_read_b64 v[102:103], v95 offset:32
	s_waitcnt lgkmcnt(1)
	v_mfma_f32_16x16x4f32 v[0:3], v40, v100, v[0:3]
	v_mfma_f32_16x16x4f32 v[12:15], v56, v100, v[12:15]
	v_mfma_f32_16x16x4f32 v[8:11], v72, v100, v[8:11]
	v_mfma_f32_16x16x4f32 v[4:7], v88, v100, v[4:7]
	v_mfma_f32_16x16x4f32 v[0:3], v41, v101, v[0:3]
	v_mfma_f32_16x16x4f32 v[12:15], v57, v101, v[12:15]
	v_mfma_f32_16x16x4f32 v[8:11], v73, v101, v[8:11]
	v_mfma_f32_16x16x4f32 v[4:7], v89, v101, v[4:7]
	s_waitcnt lgkmcnt(0)
	v_mfma_f32_16x16x4f32 v[0:3], v38, v102, v[0:3]
	v_mfma_f32_16x16x4f32 v[12:15], v54, v102, v[12:15]
	v_mfma_f32_16x16x4f32 v[8:11], v70, v102, v[8:11]
	v_mfma_f32_16x16x4f32 v[4:7], v86, v102, v[4:7]
	v_mfma_f32_16x16x4f32 v[0:3], v39, v103, v[0:3]
	ds_read_b64 v[38:39], v95 offset:64
	v_mfma_f32_16x16x4f32 v[12:15], v55, v103, v[12:15]
	v_mfma_f32_16x16x4f32 v[8:11], v71, v103, v[8:11]
	v_mfma_f32_16x16x4f32 v[4:7], v87, v103, v[4:7]
	s_waitcnt lgkmcnt(0)
	v_mfma_f32_16x16x4f32 v[0:3], v36, v38, v[0:3]
	v_mfma_f32_16x16x4f32 v[12:15], v52, v38, v[12:15]
	v_mfma_f32_16x16x4f32 v[8:11], v68, v38, v[8:11]
	v_mfma_f32_16x16x4f32 v[4:7], v84, v38, v[4:7]
	v_mfma_f32_16x16x4f32 v[0:3], v37, v39, v[0:3]
	ds_read_b64 v[36:37], v95 offset:96
	v_mfma_f32_16x16x4f32 v[12:15], v53, v39, v[12:15]
	v_mfma_f32_16x16x4f32 v[8:11], v69, v39, v[8:11]
	v_mfma_f32_16x16x4f32 v[4:7], v85, v39, v[4:7]
	;; [unrolled: 10-line block ×6, first 2 shown]
	s_waitcnt lgkmcnt(0)
	v_mfma_f32_16x16x4f32 v[0:3], v26, v28, v[0:3]
	v_mfma_f32_16x16x4f32 v[12:15], v42, v28, v[12:15]
	;; [unrolled: 1-line block ×8, first 2 shown]
	s_andn2_b64 exec, exec, s[0:1]
	s_cbranch_execnz .LBB89_4
; %bb.5:
	s_or_b64 exec, exec, s[0:1]
.LBB89_6:
	s_or_b64 exec, exec, s[24:25]
	v_mul_u32_u24_e32 v17, 0x508, v92
	v_lshlrev_b32_e32 v18, 2, v91
	v_add3_u32 v17, 0, v17, v18
	v_and_b32_e32 v18, 0x3f0, v90
	v_add_u32_e32 v18, v17, v18
	s_waitcnt lgkmcnt(0)
	s_barrier
	ds_write2_b32 v18, v0, v1 offset1:1
	ds_write_b32 v18, v2 offset:8
	v_or_b32_e32 v0, 12, v90
	v_and_b32_e32 v0, 0x3fc, v0
	v_add_u32_e32 v0, v17, v0
	v_cmp_gt_u32_e32 vcc, 4, v25
	ds_write_b32 v0, v3
	ds_write2_b32 v18, v12, v13 offset0:16 offset1:17
	ds_write_b32 v18, v14 offset:72
	ds_write_b32 v0, v15 offset:64
	ds_write2_b32 v18, v8, v9 offset0:32 offset1:33
	ds_write_b32 v18, v10 offset:136
	ds_write_b32 v0, v11 offset:128
	;; [unrolled: 3-line block ×3, first 2 shown]
	s_waitcnt lgkmcnt(0)
	s_barrier
	s_and_saveexec_b64 s[0:1], vcc
	s_cbranch_execz .LBB89_8
; %bb.7:
	v_mul_u32_u24_e32 v0, 0x508, v25
	v_add3_u32 v4, 0, v16, v0
	ds_read2st64_b32 v[0:1], v4 offset1:1
	ds_read2st64_b32 v[2:3], v4 offset0:2 offset1:3
	ds_read_b32 v4, v4 offset:1024
	s_mul_hi_i32 s1, s19, s8
	s_mul_i32 s0, s19, s8
	s_waitcnt lgkmcnt(2)
	v_add_f32_e32 v0, 0, v0
	s_lshl_b64 s[0:1], s[0:1], 2
	v_add_f32_e32 v0, v0, v1
	s_mul_i32 s4, s7, s15
	s_add_u32 s6, s10, s0
	s_waitcnt lgkmcnt(1)
	v_add_f32_e32 v0, v0, v2
	s_addc_u32 s7, s11, s1
	s_ashr_i32 s5, s4, 31
	v_add_f32_e32 v0, v0, v3
	s_lshl_b64 s[0:1], s[4:5], 2
	s_waitcnt lgkmcnt(0)
	v_add_f32_e32 v2, v0, v4
	v_mul_lo_u32 v0, v25, s2
	s_add_u32 s0, s6, s0
	v_add3_u32 v0, s3, v90, v0
	v_mov_b32_e32 v1, 0
	s_addc_u32 s1, s7, s1
	v_lshlrev_b64 v[0:1], 2, v[0:1]
	v_mov_b32_e32 v3, s1
	v_add_co_u32_e32 v0, vcc, s0, v0
	v_addc_co_u32_e32 v1, vcc, v3, v1, vcc
	global_store_dword v[0:1], v2, off
.LBB89_8:
	s_endpgm
	.section	.rodata,"a",@progbits
	.p2align	6, 0x0
	.amdhsa_kernel _ZL9mul_mat_fIfLi64ELi4ELi5ELb0EEvPKT_PKfPKiPfiiiiiiiiiiiiiiii
		.amdhsa_group_segment_fixed_size 0
		.amdhsa_private_segment_fixed_size 0
		.amdhsa_kernarg_size 96
		.amdhsa_user_sgpr_count 6
		.amdhsa_user_sgpr_private_segment_buffer 1
		.amdhsa_user_sgpr_dispatch_ptr 0
		.amdhsa_user_sgpr_queue_ptr 0
		.amdhsa_user_sgpr_kernarg_segment_ptr 1
		.amdhsa_user_sgpr_dispatch_id 0
		.amdhsa_user_sgpr_flat_scratch_init 0
		.amdhsa_user_sgpr_kernarg_preload_length 0
		.amdhsa_user_sgpr_kernarg_preload_offset 0
		.amdhsa_user_sgpr_private_segment_size 0
		.amdhsa_uses_dynamic_stack 0
		.amdhsa_system_sgpr_private_segment_wavefront_offset 0
		.amdhsa_system_sgpr_workgroup_id_x 1
		.amdhsa_system_sgpr_workgroup_id_y 1
		.amdhsa_system_sgpr_workgroup_id_z 1
		.amdhsa_system_sgpr_workgroup_info 0
		.amdhsa_system_vgpr_workitem_id 1
		.amdhsa_next_free_vgpr 104
		.amdhsa_next_free_sgpr 81
		.amdhsa_accum_offset 104
		.amdhsa_reserve_vcc 1
		.amdhsa_reserve_flat_scratch 0
		.amdhsa_float_round_mode_32 0
		.amdhsa_float_round_mode_16_64 0
		.amdhsa_float_denorm_mode_32 3
		.amdhsa_float_denorm_mode_16_64 3
		.amdhsa_dx10_clamp 1
		.amdhsa_ieee_mode 1
		.amdhsa_fp16_overflow 0
		.amdhsa_tg_split 0
		.amdhsa_exception_fp_ieee_invalid_op 0
		.amdhsa_exception_fp_denorm_src 0
		.amdhsa_exception_fp_ieee_div_zero 0
		.amdhsa_exception_fp_ieee_overflow 0
		.amdhsa_exception_fp_ieee_underflow 0
		.amdhsa_exception_fp_ieee_inexact 0
		.amdhsa_exception_int_div_zero 0
	.end_amdhsa_kernel
	.section	.text._ZL9mul_mat_fIfLi64ELi4ELi5ELb0EEvPKT_PKfPKiPfiiiiiiiiiiiiiiii,"axG",@progbits,_ZL9mul_mat_fIfLi64ELi4ELi5ELb0EEvPKT_PKfPKiPfiiiiiiiiiiiiiiii,comdat
.Lfunc_end89:
	.size	_ZL9mul_mat_fIfLi64ELi4ELi5ELb0EEvPKT_PKfPKiPfiiiiiiiiiiiiiiii, .Lfunc_end89-_ZL9mul_mat_fIfLi64ELi4ELi5ELb0EEvPKT_PKfPKiPfiiiiiiiiiiiiiiii
                                        ; -- End function
	.section	.AMDGPU.csdata,"",@progbits
; Kernel info:
; codeLenInByte = 5304
; NumSgprs: 85
; NumVgprs: 104
; NumAgprs: 0
; TotalNumVgprs: 104
; ScratchSize: 0
; MemoryBound: 0
; FloatMode: 240
; IeeeMode: 1
; LDSByteSize: 0 bytes/workgroup (compile time only)
; SGPRBlocks: 10
; VGPRBlocks: 12
; NumSGPRsForWavesPerEU: 85
; NumVGPRsForWavesPerEU: 104
; AccumOffset: 104
; Occupancy: 4
; WaveLimiterHint : 0
; COMPUTE_PGM_RSRC2:SCRATCH_EN: 0
; COMPUTE_PGM_RSRC2:USER_SGPR: 6
; COMPUTE_PGM_RSRC2:TRAP_HANDLER: 0
; COMPUTE_PGM_RSRC2:TGID_X_EN: 1
; COMPUTE_PGM_RSRC2:TGID_Y_EN: 1
; COMPUTE_PGM_RSRC2:TGID_Z_EN: 1
; COMPUTE_PGM_RSRC2:TIDIG_COMP_CNT: 1
; COMPUTE_PGM_RSRC3_GFX90A:ACCUM_OFFSET: 25
; COMPUTE_PGM_RSRC3_GFX90A:TG_SPLIT: 0
	.section	.text._ZL13mul_mat_f_idsIfLi64ELi4ELi6EEvPKT_PKfPKiS6_S6_Pfiiiiiiiiiiiiii15HIP_vector_typeIjLj3EES9_,"axG",@progbits,_ZL13mul_mat_f_idsIfLi64ELi4ELi6EEvPKT_PKfPKiS6_S6_Pfiiiiiiiiiiiiii15HIP_vector_typeIjLj3EES9_,comdat
	.globl	_ZL13mul_mat_f_idsIfLi64ELi4ELi6EEvPKT_PKfPKiS6_S6_Pfiiiiiiiiiiiiii15HIP_vector_typeIjLj3EES9_ ; -- Begin function _ZL13mul_mat_f_idsIfLi64ELi4ELi6EEvPKT_PKfPKiS6_S6_Pfiiiiiiiiiiiiii15HIP_vector_typeIjLj3EES9_
	.p2align	8
	.type	_ZL13mul_mat_f_idsIfLi64ELi4ELi6EEvPKT_PKfPKiS6_S6_Pfiiiiiiiiiiiiii15HIP_vector_typeIjLj3EES9_,@function
_ZL13mul_mat_f_idsIfLi64ELi4ELi6EEvPKT_PKfPKiS6_S6_Pfiiiiiiiiiiiiii15HIP_vector_typeIjLj3EES9_: ; @_ZL13mul_mat_f_idsIfLi64ELi4ELi6EEvPKT_PKfPKiS6_S6_Pfiiiiiiiiiiiiii15HIP_vector_typeIjLj3EES9_
; %bb.0:
	s_load_dwordx2 s[0:1], s[4:5], 0x20
	s_mov_b32 s34, s7
	s_ashr_i32 s35, s7, 31
	s_lshl_b64 s[2:3], s[34:35], 2
	s_waitcnt lgkmcnt(0)
	s_add_u32 s0, s0, s2
	s_addc_u32 s1, s1, s3
	s_load_dwordx2 s[26:27], s[0:1], 0x0
	s_waitcnt lgkmcnt(0)
	s_sub_i32 s33, s27, s26
	s_add_i32 s0, s33, 3
	s_ashr_i32 s1, s0, 31
	s_lshr_b32 s1, s1, 30
	s_add_i32 s0, s0, s1
	s_ashr_i32 s0, s0, 2
	s_cmp_ge_i32 s8, s0
	s_cbranch_scc1 .LBB90_23
; %bb.1:
	v_bfe_u32 v83, v0, 10, 10
	v_lshlrev_b32_e32 v84, 6, v83
	v_and_b32_e32 v82, 0x3ff, v0
	s_load_dwordx4 s[12:15], s[4:5], 0x30
	s_load_dwordx2 s[20:21], s[4:5], 0x40
	s_load_dwordx4 s[0:3], s[4:5], 0x4c
	s_load_dwordx4 s[16:19], s[4:5], 0x68
	s_load_dwordx2 s[24:25], s[4:5], 0x78
	v_add_u32_e32 v86, v84, v82
	s_ashr_i32 s27, s26, 31
	s_waitcnt lgkmcnt(0)
	v_cmp_le_i32_e32 vcc, s12, v86
	v_and_b32_e32 v85, 15, v82
                                        ; implicit-def: $sgpr3
	s_and_saveexec_b64 s[10:11], vcc
	s_xor_b64 s[10:11], exec, s[10:11]
; %bb.2:
	v_and_b32_e32 v85, 15, v82
	s_mov_b32 s3, 0
                                        ; implicit-def: $vgpr86
; %bb.3:
	s_or_saveexec_b64 s[22:23], s[10:11]
	s_load_dwordx2 s[10:11], s[4:5], 0x18
                                        ; implicit-def: $vgpr100 : SGPR spill to VGPR lane
	s_lshl_b32 s7, s6, 6
	s_lshl_b32 s6, s8, 2
	v_mov_b32_e32 v15, s3
	v_mov_b32_e32 v14, s3
	s_waitcnt lgkmcnt(0)
	v_writelane_b32 v100, s10, 0
	v_writelane_b32 v100, s11, 1
	s_load_dwordx2 s[10:11], s[4:5], 0x28
	v_mov_b32_e32 v13, s3
	v_mov_b32_e32 v12, s3
	;; [unrolled: 1-line block ×4, first 2 shown]
	s_waitcnt lgkmcnt(0)
	v_writelane_b32 v100, s10, 2
	v_writelane_b32 v100, s11, 3
	v_mov_b32_e32 v5, s3
	v_mov_b32_e32 v4, s3
	;; [unrolled: 1-line block ×10, first 2 shown]
	v_writelane_b32 v100, s22, 4
	v_writelane_b32 v100, s23, 5
	s_xor_b64 exec, exec, s[22:23]
	s_cbranch_execz .LBB90_19
; %bb.4:
	v_writelane_b32 v100, s24, 6
	v_writelane_b32 v100, s25, 7
	s_load_dwordx4 s[8:11], s[4:5], 0x0
	s_load_dwordx2 s[22:23], s[4:5], 0x10
	s_mul_i32 s4, s34, s0
	s_mul_i32 s24, s7, s15
	s_ashr_i32 s5, s4, 31
	s_ashr_i32 s25, s24, 31
	s_lshl_b64 s[24:25], s[24:25], 2
	s_lshl_b64 s[4:5], s[4:5], 2
	s_add_u32 s3, s4, s24
	s_addc_u32 s24, s5, s25
	s_waitcnt lgkmcnt(0)
	s_add_u32 s0, s3, s8
	s_addc_u32 s25, s24, s9
	s_lshl_b64 s[4:5], s[26:27], 2
	s_add_u32 s28, s22, s4
	s_addc_u32 s29, s23, s5
	s_movk_i32 s4, 0x1080
	s_cmp_lt_i32 s6, s33
	v_writelane_b32 v100, s7, 8
	v_mad_u32_u24 v0, v83, s4, 0
	s_cselect_b64 s[4:5], -1, 0
	s_ashr_i32 s7, s6, 31
	s_lshl_b64 s[22:23], s[6:7], 2
	s_add_u32 s34, s28, s22
	v_lshrrev_b32_e32 v3, 1, v82
	s_addc_u32 s35, s29, s23
	s_or_b32 s7, s6, 1
	v_lshlrev_b32_e32 v1, 2, v82
	v_mul_u32_u24_e32 v2, 0x108, v85
	v_and_b32_e32 v3, 0x1f8, v3
	s_cmp_lt_i32 s7, s33
	v_add_u32_e32 v87, v0, v1
	v_add3_u32 v88, v0, v2, v3
	s_cselect_b64 s[36:37], -1, 0
	s_or_b32 s7, s6, 2
	v_lshlrev_b32_e32 v0, 8, v83
	s_cmp_lt_i32 s7, s33
	v_mov_b32_e32 v2, s24
	v_add_co_u32_e32 v0, vcc, s3, v0
	s_cselect_b64 s[38:39], -1, 0
	s_or_b32 s7, s6, 3
	v_addc_co_u32_e32 v2, vcc, 0, v2, vcc
	s_cmp_lt_i32 s7, s33
	v_add_co_u32_e32 v0, vcc, v0, v1
	s_cselect_b64 s[40:41], -1, 0
	s_ashr_i32 s23, s15, 31
	s_mov_b32 s22, s15
	v_addc_co_u32_e32 v1, vcc, 0, v2, vcc
	s_lshl_b64 s[42:43], s[22:23], 2
	v_mov_b32_e32 v2, s9
	v_add_co_u32_e32 v16, vcc, s8, v0
	v_mov_b32_e32 v0, 0
	v_addc_co_u32_e32 v17, vcc, v2, v1, vcc
	s_lshl_b32 s7, s15, 1
	s_mul_i32 s44, s15, 3
	s_lshl_b32 s45, s15, 2
	s_mul_i32 s46, s15, 5
	s_mul_i32 s47, s15, 6
	;; [unrolled: 1-line block ×3, first 2 shown]
	s_lshl_b32 s49, s15, 3
	s_mul_i32 s50, s15, 9
	s_mul_i32 s51, s15, 10
	;; [unrolled: 1-line block ×7, first 2 shown]
	s_lshl_b32 s57, s15, 4
	s_mul_i32 s58, s15, 17
	s_mul_i32 s59, s15, 18
	;; [unrolled: 1-line block ×15, first 2 shown]
	s_lshl_b32 s73, s15, 5
	s_mul_i32 s74, s15, 33
	s_mul_i32 s75, s15, 34
	;; [unrolled: 1-line block ×15, first 2 shown]
	v_mov_b32_e32 v89, s25
	s_mul_i32 s89, s15, 48
	v_mov_b32_e32 v90, s43
	v_mov_b32_e32 v91, 0
	;; [unrolled: 1-line block ×17, first 2 shown]
	s_mul_i32 s43, s15, 49
	s_mul_i32 s90, s15, 50
	;; [unrolled: 1-line block ×15, first 2 shown]
	s_mov_b64 s[8:9], 0
	s_branch .LBB90_6
.LBB90_5:                               ;   in Loop: Header=BB90_6 Depth=1
	s_waitcnt vmcnt(0)
	ds_write2_b32 v87, v92, v94 offset1:66
	ds_write2_b32 v87, v93, v95 offset0:132 offset1:198
	v_add_u32_e32 v92, 0x400, v87
	ds_write2_b32 v92, v91, v91 offset0:8 offset1:74
	ds_write2_b32 v92, v91, v91 offset0:140 offset1:206
	v_add_u32_e32 v92, 0x800, v87
	ds_write2_b32 v92, v91, v91 offset0:16 offset1:82
	;; [unrolled: 3-line block ×3, first 2 shown]
	ds_write2_b32 v92, v91, v91 offset0:156 offset1:222
	ds_read2_b64 v[92:95], v88 offset1:4
	v_add_co_u32_e32 v16, vcc, 0x600, v16
	s_waitcnt lgkmcnt(0)
	v_mfma_f32_16x16x4f32 v[0:3], v46, v92, v[0:3]
	v_add_u32_e32 v86, 0x180, v86
	v_addc_co_u32_e32 v17, vcc, 0, v17, vcc
	v_cmp_le_i32_e32 vcc, s12, v86
	s_or_b64 s[8:9], vcc, s[8:9]
	v_mfma_f32_16x16x4f32 v[8:11], v58, v92, v[8:11]
	v_mfma_f32_16x16x4f32 v[4:7], v64, v92, v[4:7]
	;; [unrolled: 1-line block ×14, first 2 shown]
	ds_read2_b64 v[62:65], v88 offset0:8 offset1:12
	v_mfma_f32_16x16x4f32 v[12:15], v79, v95, v[12:15]
	s_waitcnt lgkmcnt(0)
	v_mfma_f32_16x16x4f32 v[0:3], v34, v62, v[0:3]
	v_mfma_f32_16x16x4f32 v[8:11], v50, v62, v[8:11]
	;; [unrolled: 1-line block ×14, first 2 shown]
	ds_read2_b64 v[44:47], v88 offset0:16 offset1:20
	v_mfma_f32_16x16x4f32 v[4:7], v57, v65, v[4:7]
	v_mfma_f32_16x16x4f32 v[12:15], v75, v65, v[12:15]
	s_waitcnt lgkmcnt(0)
	v_mfma_f32_16x16x4f32 v[0:3], v26, v44, v[0:3]
	v_mfma_f32_16x16x4f32 v[8:11], v38, v44, v[8:11]
	;; [unrolled: 1-line block ×14, first 2 shown]
	ds_read2_b64 v[30:33], v88 offset0:24 offset1:28
	v_mfma_f32_16x16x4f32 v[4:7], v49, v47, v[4:7]
	v_mfma_f32_16x16x4f32 v[12:15], v71, v47, v[12:15]
	s_waitcnt lgkmcnt(0)
	v_mfma_f32_16x16x4f32 v[0:3], v20, v30, v[0:3]
	v_mfma_f32_16x16x4f32 v[8:11], v28, v30, v[8:11]
	;; [unrolled: 1-line block ×16, first 2 shown]
	s_andn2_b64 exec, exec, s[8:9]
	s_cbranch_execz .LBB90_18
.LBB90_6:                               ; =>This Inner Loop Header: Depth=1
	v_add_co_u32_e32 v18, vcc, s42, v16
	v_addc_co_u32_e32 v19, vcc, v17, v90, vcc
	global_load_dword v30, v[16:17], off
	global_load_dword v31, v[18:19], off
	v_add_u32_e32 v18, s7, v86
	v_ashrrev_i32_e32 v19, 31, v18
	v_lshlrev_b64 v[18:19], 2, v[18:19]
	v_add_u32_e32 v20, s44, v86
	v_add_co_u32_e32 v18, vcc, s0, v18
	v_ashrrev_i32_e32 v21, 31, v20
	v_addc_co_u32_e32 v19, vcc, v89, v19, vcc
	v_lshlrev_b64 v[20:21], 2, v[20:21]
	v_add_u32_e32 v22, s45, v86
	v_add_co_u32_e32 v20, vcc, s0, v20
	v_ashrrev_i32_e32 v23, 31, v22
	v_addc_co_u32_e32 v21, vcc, v89, v21, vcc
	;; [unrolled: 5-line block ×5, first 2 shown]
	v_lshlrev_b64 v[28:29], 2, v[28:29]
	v_add_co_u32_e32 v28, vcc, s0, v28
	v_addc_co_u32_e32 v29, vcc, v89, v29, vcc
	global_load_dword v32, v[18:19], off
	global_load_dword v33, v[20:21], off
	global_load_dword v34, v[22:23], off
	s_nop 0
	global_load_dword v24, v[24:25], off
	s_nop 0
	global_load_dword v25, v[26:27], off
	;; [unrolled: 2-line block ×3, first 2 shown]
	v_add_u32_e32 v18, s49, v86
	v_ashrrev_i32_e32 v19, 31, v18
	v_add_u32_e32 v20, s50, v86
	v_lshlrev_b64 v[18:19], 2, v[18:19]
	v_ashrrev_i32_e32 v21, 31, v20
	v_add_co_u32_e32 v18, vcc, s0, v18
	v_add_u32_e32 v22, s51, v86
	v_lshlrev_b64 v[20:21], 2, v[20:21]
	v_addc_co_u32_e32 v19, vcc, v89, v19, vcc
	v_ashrrev_i32_e32 v23, 31, v22
	v_add_co_u32_e32 v20, vcc, s0, v20
	v_lshlrev_b64 v[22:23], 2, v[22:23]
	v_addc_co_u32_e32 v21, vcc, v89, v21, vcc
	global_load_dword v18, v[18:19], off
	s_nop 0
	global_load_dword v19, v[20:21], off
	v_add_u32_e32 v20, s52, v86
	v_add_co_u32_e32 v22, vcc, s0, v22
	v_ashrrev_i32_e32 v21, 31, v20
	v_addc_co_u32_e32 v23, vcc, v89, v23, vcc
	v_lshlrev_b64 v[20:21], 2, v[20:21]
	v_add_u32_e32 v38, s64, v86
	v_ashrrev_i32_e32 v39, 31, v38
	v_lshlrev_b64 v[38:39], 2, v[38:39]
	v_add_u32_e32 v40, s65, v86
	v_ashrrev_i32_e32 v41, 31, v40
	;; [unrolled: 3-line block ×5, first 2 shown]
	v_lshlrev_b64 v[58:59], 2, v[58:59]
	s_waitcnt vmcnt(9)
	ds_write_b32 v87, v30
	s_waitcnt vmcnt(8)
	ds_write_b32 v87, v31 offset:264
	s_waitcnt vmcnt(7)
	ds_write_b32 v87, v32 offset:528
	;; [unrolled: 2-line block ×7, first 2 shown]
	v_add_co_u32_e32 v24, vcc, s0, v20
	v_add_u32_e32 v20, s53, v86
	v_addc_co_u32_e32 v25, vcc, v89, v21, vcc
	v_ashrrev_i32_e32 v21, 31, v20
	v_lshlrev_b64 v[20:21], 2, v[20:21]
	v_add_co_u32_e32 v26, vcc, s0, v20
	v_add_u32_e32 v20, s54, v86
	v_addc_co_u32_e32 v27, vcc, v89, v21, vcc
	v_ashrrev_i32_e32 v21, 31, v20
	v_lshlrev_b64 v[20:21], 2, v[20:21]
	;; [unrolled: 5-line block ×6, first 2 shown]
	v_add_co_u32_e32 v36, vcc, s0, v20
	v_addc_co_u32_e32 v37, vcc, v89, v21, vcc
	global_load_dword v20, v[22:23], off
	global_load_dword v21, v[24:25], off
	s_nop 0
	global_load_dword v22, v[26:27], off
	global_load_dword v23, v[28:29], off
	s_nop 0
	global_load_dword v26, v[30:31], off
	global_load_dword v27, v[32:33], off
	;; [unrolled: 1-line block ×4, first 2 shown]
	v_add_u32_e32 v28, s59, v86
	v_ashrrev_i32_e32 v29, 31, v28
	v_lshlrev_b64 v[28:29], 2, v[28:29]
	v_add_u32_e32 v30, s60, v86
	v_add_co_u32_e32 v28, vcc, s0, v28
	v_ashrrev_i32_e32 v31, 31, v30
	v_addc_co_u32_e32 v29, vcc, v89, v29, vcc
	v_lshlrev_b64 v[30:31], 2, v[30:31]
	v_add_u32_e32 v32, s61, v86
	v_add_co_u32_e32 v30, vcc, s0, v30
	v_ashrrev_i32_e32 v33, 31, v32
	v_addc_co_u32_e32 v31, vcc, v89, v31, vcc
	;; [unrolled: 5-line block ×4, first 2 shown]
	v_lshlrev_b64 v[36:37], 2, v[36:37]
	v_add_co_u32_e32 v36, vcc, s0, v36
	v_addc_co_u32_e32 v37, vcc, v89, v37, vcc
	v_add_co_u32_e32 v38, vcc, s0, v38
	v_addc_co_u32_e32 v39, vcc, v89, v39, vcc
	;; [unrolled: 2-line block ×4, first 2 shown]
	global_load_dword v28, v[28:29], off
	s_nop 0
	global_load_dword v29, v[30:31], off
	s_nop 0
	;; [unrolled: 2-line block ×6, first 2 shown]
	global_load_dword v38, v[40:41], off
	global_load_dword v39, v[42:43], off
	v_add_u32_e32 v30, s67, v86
	v_ashrrev_i32_e32 v31, 31, v30
	v_lshlrev_b64 v[30:31], 2, v[30:31]
	v_add_u32_e32 v34, s68, v86
	v_add_co_u32_e32 v30, vcc, s0, v30
	v_ashrrev_i32_e32 v35, 31, v34
	v_addc_co_u32_e32 v31, vcc, v89, v31, vcc
	v_lshlrev_b64 v[34:35], 2, v[34:35]
	v_add_u32_e32 v40, s69, v86
	v_add_co_u32_e32 v34, vcc, s0, v34
	v_ashrrev_i32_e32 v41, 31, v40
	v_addc_co_u32_e32 v35, vcc, v89, v35, vcc
	;; [unrolled: 5-line block ×3, first 2 shown]
	v_lshlrev_b64 v[42:43], 2, v[42:43]
	v_add_co_u32_e32 v42, vcc, s0, v42
	v_addc_co_u32_e32 v43, vcc, v89, v43, vcc
	v_add_co_u32_e32 v46, vcc, s0, v44
	v_add_u32_e32 v44, s72, v86
	v_addc_co_u32_e32 v47, vcc, v89, v45, vcc
	v_ashrrev_i32_e32 v45, 31, v44
	v_lshlrev_b64 v[44:45], 2, v[44:45]
	v_add_co_u32_e32 v52, vcc, s0, v44
	v_add_u32_e32 v44, s73, v86
	v_addc_co_u32_e32 v53, vcc, v89, v45, vcc
	v_ashrrev_i32_e32 v45, 31, v44
	v_lshlrev_b64 v[44:45], 2, v[44:45]
	;; [unrolled: 5-line block ×3, first 2 shown]
	v_add_co_u32_e32 v56, vcc, s0, v44
	v_addc_co_u32_e32 v57, vcc, v89, v45, vcc
	global_load_dword v44, v[30:31], off
	global_load_dword v45, v[34:35], off
	;; [unrolled: 1-line block ×6, first 2 shown]
	s_nop 0
	global_load_dword v42, v[54:55], off
	global_load_dword v43, v[56:57], off
	v_add_u32_e32 v30, s75, v86
	v_ashrrev_i32_e32 v31, 31, v30
	v_lshlrev_b64 v[30:31], 2, v[30:31]
	v_add_u32_e32 v34, s76, v86
	v_add_co_u32_e32 v30, vcc, s0, v30
	v_ashrrev_i32_e32 v35, 31, v34
	v_addc_co_u32_e32 v31, vcc, v89, v31, vcc
	v_lshlrev_b64 v[34:35], 2, v[34:35]
	v_add_u32_e32 v40, s77, v86
	v_add_co_u32_e32 v34, vcc, s0, v34
	v_ashrrev_i32_e32 v41, 31, v40
	v_addc_co_u32_e32 v35, vcc, v89, v35, vcc
	;; [unrolled: 5-line block ×6, first 2 shown]
	v_lshlrev_b64 v[56:57], 2, v[56:57]
	v_add_co_u32_e32 v56, vcc, s0, v56
	v_addc_co_u32_e32 v57, vcc, v89, v57, vcc
	v_add_co_u32_e32 v58, vcc, s0, v58
	v_addc_co_u32_e32 v59, vcc, v89, v59, vcc
	global_load_dword v60, v[30:31], off
	global_load_dword v61, v[34:35], off
	;; [unrolled: 1-line block ×8, first 2 shown]
	v_add_u32_e32 v30, s83, v86
	v_ashrrev_i32_e32 v31, 31, v30
	v_lshlrev_b64 v[30:31], 2, v[30:31]
	v_add_u32_e32 v34, s84, v86
	v_add_co_u32_e32 v30, vcc, s0, v30
	v_ashrrev_i32_e32 v35, 31, v34
	v_addc_co_u32_e32 v31, vcc, v89, v31, vcc
	v_lshlrev_b64 v[34:35], 2, v[34:35]
	v_add_u32_e32 v40, s85, v86
	v_add_co_u32_e32 v34, vcc, s0, v34
	v_ashrrev_i32_e32 v41, 31, v40
	v_addc_co_u32_e32 v35, vcc, v89, v35, vcc
	;; [unrolled: 5-line block ×7, first 2 shown]
	v_lshlrev_b64 v[58:59], 2, v[58:59]
	v_add_co_u32_e32 v58, vcc, s0, v58
	v_addc_co_u32_e32 v59, vcc, v89, v59, vcc
	global_load_dword v68, v[30:31], off
	global_load_dword v69, v[34:35], off
	;; [unrolled: 1-line block ×8, first 2 shown]
	v_add_u32_e32 v30, s90, v86
	v_ashrrev_i32_e32 v31, 31, v30
	v_lshlrev_b64 v[30:31], 2, v[30:31]
	v_add_u32_e32 v34, s91, v86
	v_add_co_u32_e32 v30, vcc, s0, v30
	v_ashrrev_i32_e32 v35, 31, v34
	v_addc_co_u32_e32 v31, vcc, v89, v31, vcc
	v_lshlrev_b64 v[34:35], 2, v[34:35]
	v_add_u32_e32 v40, s92, v86
	v_add_co_u32_e32 v34, vcc, s0, v34
	v_ashrrev_i32_e32 v41, 31, v40
	v_addc_co_u32_e32 v35, vcc, v89, v35, vcc
	;; [unrolled: 5-line block ×7, first 2 shown]
	v_lshlrev_b64 v[58:59], 2, v[58:59]
	v_add_co_u32_e32 v58, vcc, s0, v58
	v_addc_co_u32_e32 v59, vcc, v89, v59, vcc
	global_load_dword v76, v[30:31], off
	global_load_dword v77, v[34:35], off
	;; [unrolled: 1-line block ×8, first 2 shown]
	v_add_u32_e32 v30, s22, v86
	v_ashrrev_i32_e32 v31, 31, v30
	v_lshlrev_b64 v[30:31], 2, v[30:31]
	v_add_u32_e32 v34, s23, v86
	v_add_co_u32_e32 v30, vcc, s0, v30
	v_ashrrev_i32_e32 v35, 31, v34
	v_addc_co_u32_e32 v31, vcc, v89, v31, vcc
	v_lshlrev_b64 v[34:35], 2, v[34:35]
	v_add_u32_e32 v40, s28, v86
	v_add_co_u32_e32 v34, vcc, s0, v34
	v_ashrrev_i32_e32 v41, 31, v40
	v_addc_co_u32_e32 v35, vcc, v89, v35, vcc
	;; [unrolled: 5-line block ×5, first 2 shown]
	v_lshlrev_b64 v[54:55], 2, v[54:55]
	v_add_co_u32_e32 v54, vcc, s0, v54
	v_addc_co_u32_e32 v55, vcc, v89, v55, vcc
	global_load_dword v94, v[30:31], off
	global_load_dword v95, v[34:35], off
	;; [unrolled: 1-line block ×6, first 2 shown]
	s_waitcnt vmcnt(55)
	ds_write_b32 v87, v18 offset:2112
	s_waitcnt vmcnt(54)
	ds_write_b32 v87, v19 offset:2376
	s_waitcnt vmcnt(53)
	ds_write_b32 v87, v20 offset:2640
	s_waitcnt vmcnt(52)
	ds_write_b32 v87, v21 offset:2904
	s_waitcnt vmcnt(51)
	ds_write_b32 v87, v22 offset:3168
	s_waitcnt vmcnt(50)
	ds_write_b32 v87, v23 offset:3432
	s_waitcnt vmcnt(49)
	ds_write_b32 v87, v26 offset:3696
	s_waitcnt vmcnt(48)
	ds_write_b32 v87, v27 offset:3960
	ds_read_b64 v[46:47], v88
	ds_read_b64 v[40:41], v88 offset:32
	ds_read_b64 v[34:35], v88 offset:64
	ds_read_b64 v[30:31], v88 offset:96
	ds_read_b64 v[26:27], v88 offset:128
	ds_read_b64 v[22:23], v88 offset:160
	ds_read_b64 v[20:21], v88 offset:192
	ds_read_b64 v[18:19], v88 offset:224
	s_waitcnt vmcnt(47)
	ds_write_b32 v87, v24
	s_waitcnt vmcnt(46)
	ds_write_b32 v87, v25 offset:264
	s_waitcnt vmcnt(45)
	ds_write_b32 v87, v28 offset:528
	s_waitcnt vmcnt(44)
	ds_write_b32 v87, v29 offset:792
	s_waitcnt vmcnt(43)
	ds_write_b32 v87, v32 offset:1056
	s_waitcnt vmcnt(42)
	ds_write_b32 v87, v33 offset:1320
	s_waitcnt vmcnt(41)
	ds_write_b32 v87, v36 offset:1584
	s_waitcnt vmcnt(40)
	ds_write_b32 v87, v37 offset:1848
	s_waitcnt vmcnt(39)
	ds_write_b32 v87, v38 offset:2112
	s_waitcnt vmcnt(38)
	ds_write_b32 v87, v39 offset:2376
	s_waitcnt vmcnt(37)
	ds_write_b32 v87, v44 offset:2640
	s_waitcnt vmcnt(36)
	ds_write_b32 v87, v45 offset:2904
	s_waitcnt vmcnt(35)
	ds_write_b32 v87, v48 offset:3168
	s_waitcnt vmcnt(34)
	ds_write_b32 v87, v49 offset:3432
	s_waitcnt vmcnt(33)
	ds_write_b32 v87, v50 offset:3696
	s_waitcnt vmcnt(32)
	ds_write_b32 v87, v51 offset:3960
	ds_read_b64 v[58:59], v88
	ds_read_b64 v[54:55], v88 offset:32
	ds_read_b64 v[50:51], v88 offset:64
	ds_read_b64 v[44:45], v88 offset:96
	ds_read_b64 v[38:39], v88 offset:128
	ds_read_b64 v[32:33], v88 offset:160
	ds_read_b64 v[28:29], v88 offset:192
	ds_read_b64 v[24:25], v88 offset:224
	s_waitcnt vmcnt(31)
	ds_write_b32 v87, v42
	s_waitcnt vmcnt(30)
	ds_write_b32 v87, v43 offset:264
	s_waitcnt vmcnt(29)
	ds_write_b32 v87, v60 offset:528
	s_waitcnt vmcnt(28)
	ds_write_b32 v87, v61 offset:792
	s_waitcnt vmcnt(27)
	ds_write_b32 v87, v62 offset:1056
	s_waitcnt vmcnt(26)
	ds_write_b32 v87, v63 offset:1320
	s_waitcnt vmcnt(25)
	ds_write_b32 v87, v64 offset:1584
	s_waitcnt vmcnt(24)
	ds_write_b32 v87, v65 offset:1848
	s_waitcnt vmcnt(23)
	ds_write_b32 v87, v66 offset:2112
	s_waitcnt vmcnt(22)
	ds_write_b32 v87, v67 offset:2376
	s_waitcnt vmcnt(21)
	ds_write_b32 v87, v68 offset:2640
	s_waitcnt vmcnt(20)
	ds_write_b32 v87, v69 offset:2904
	s_waitcnt vmcnt(19)
	ds_write_b32 v87, v70 offset:3168
	s_waitcnt vmcnt(18)
	ds_write_b32 v87, v71 offset:3432
	s_waitcnt vmcnt(17)
	ds_write_b32 v87, v72 offset:3696
	s_waitcnt vmcnt(16)
	ds_write_b32 v87, v73 offset:3960
	ds_read_b64 v[64:65], v88
	ds_read_b64 v[62:63], v88 offset:32
	ds_read_b64 v[60:61], v88 offset:64
	ds_read_b64 v[56:57], v88 offset:96
	ds_read_b64 v[52:53], v88 offset:128
	ds_read_b64 v[48:49], v88 offset:160
	ds_read_b64 v[42:43], v88 offset:192
	ds_read_b64 v[36:37], v88 offset:224
	s_waitcnt vmcnt(15)
	ds_write_b32 v87, v74
	s_waitcnt vmcnt(14)
	ds_write_b32 v87, v75 offset:264
	s_waitcnt vmcnt(13)
	ds_write_b32 v87, v76 offset:528
	s_waitcnt vmcnt(12)
	ds_write_b32 v87, v77 offset:792
	s_waitcnt vmcnt(11)
	ds_write_b32 v87, v78 offset:1056
	s_waitcnt vmcnt(10)
	ds_write_b32 v87, v79 offset:1320
	s_waitcnt vmcnt(9)
	ds_write_b32 v87, v80 offset:1584
	s_waitcnt vmcnt(8)
	ds_write_b32 v87, v81 offset:1848
	s_waitcnt vmcnt(7)
	ds_write_b32 v87, v92 offset:2112
	s_waitcnt vmcnt(6)
	ds_write_b32 v87, v93 offset:2376
	;; [unrolled: 2-line block ×8, first 2 shown]
	ds_read_b64 v[80:81], v88
	ds_read_b64 v[78:79], v88 offset:32
	ds_read_b64 v[76:77], v88 offset:64
	;; [unrolled: 1-line block ×7, first 2 shown]
	s_andn2_b64 vcc, exec, s[4:5]
	v_mov_b32_e32 v92, 0
	s_cbranch_vccnz .LBB90_9
; %bb.7:                                ;   in Loop: Header=BB90_6 Depth=1
	s_load_dword vcc_lo, s[34:35], 0x0
	v_mov_b32_e32 v92, 0
	s_waitcnt lgkmcnt(0)
	s_mul_hi_u32 vcc_hi, vcc_lo, s16
	s_add_i32 vcc_hi, vcc_lo, vcc_hi
	s_lshr_b32 s30, vcc_hi, s17
	s_cmp_ge_i32 s30, s13
	s_cbranch_scc1 .LBB90_9
; %bb.8:                                ;   in Loop: Header=BB90_6 Depth=1
	s_mul_i32 vcc_hi, s30, s18
	s_sub_i32 s31, vcc_lo, vcc_hi
	s_mul_i32 s31, s31, s1
	s_mul_i32 s30, s30, s20
	s_add_i32 s30, s30, s31
	v_add_u32_e32 v92, s30, v86
	v_ashrrev_i32_e32 v93, 31, v92
	v_lshlrev_b64 v[92:93], 2, v[92:93]
	v_mov_b32_e32 v94, s11
	v_add_co_u32_e32 v92, vcc, s10, v92
	v_addc_co_u32_e32 v93, vcc, v94, v93, vcc
	global_load_dword v92, v[92:93], off
.LBB90_9:                               ;   in Loop: Header=BB90_6 Depth=1
	s_andn2_b64 vcc, exec, s[36:37]
	v_mov_b32_e32 v93, 0
	v_mov_b32_e32 v94, 0
	s_cbranch_vccnz .LBB90_12
; %bb.10:                               ;   in Loop: Header=BB90_6 Depth=1
	s_load_dword vcc_lo, s[34:35], 0x4
	v_mov_b32_e32 v94, 0
	s_waitcnt lgkmcnt(0)
	s_mul_hi_u32 s30, vcc_lo, s16
	s_add_i32 s30, vcc_lo, s30
	s_lshr_b32 vcc_hi, s30, s17
	s_cmp_ge_i32 vcc_hi, s13
	s_cbranch_scc1 .LBB90_12
; %bb.11:                               ;   in Loop: Header=BB90_6 Depth=1
	s_mul_i32 s30, vcc_hi, s18
	s_sub_i32 s30, vcc_lo, s30
	s_mul_i32 s30, s30, s1
	s_mul_i32 s31, vcc_hi, s20
	s_add_i32 s31, s31, s30
	v_add_u32_e32 v94, s31, v86
	v_ashrrev_i32_e32 v95, 31, v94
	v_lshlrev_b64 v[94:95], 2, v[94:95]
	v_mov_b32_e32 v96, s11
	v_add_co_u32_e32 v94, vcc, s10, v94
	v_addc_co_u32_e32 v95, vcc, v96, v95, vcc
	global_load_dword v94, v[94:95], off
.LBB90_12:                              ;   in Loop: Header=BB90_6 Depth=1
	s_andn2_b64 vcc, exec, s[38:39]
	s_cbranch_vccnz .LBB90_15
; %bb.13:                               ;   in Loop: Header=BB90_6 Depth=1
	s_load_dword vcc_lo, s[34:35], 0x8
	v_mov_b32_e32 v93, 0
	s_waitcnt lgkmcnt(0)
	s_mul_hi_u32 s30, vcc_lo, s16
	s_add_i32 s30, vcc_lo, s30
	s_lshr_b32 vcc_hi, s30, s17
	s_cmp_ge_i32 vcc_hi, s13
	s_cbranch_scc1 .LBB90_15
; %bb.14:                               ;   in Loop: Header=BB90_6 Depth=1
	s_mul_i32 s30, vcc_hi, s18
	s_sub_i32 s30, vcc_lo, s30
	s_mul_i32 s30, s30, s1
	s_mul_i32 s31, vcc_hi, s20
	s_add_i32 s31, s31, s30
	v_add_u32_e32 v96, s31, v86
	v_ashrrev_i32_e32 v97, 31, v96
	v_lshlrev_b64 v[96:97], 2, v[96:97]
	v_mov_b32_e32 v93, s11
	v_add_co_u32_e32 v96, vcc, s10, v96
	v_addc_co_u32_e32 v97, vcc, v93, v97, vcc
	global_load_dword v93, v[96:97], off
.LBB90_15:                              ;   in Loop: Header=BB90_6 Depth=1
	s_andn2_b64 vcc, exec, s[40:41]
	v_mov_b32_e32 v95, 0
	s_cbranch_vccnz .LBB90_5
; %bb.16:                               ;   in Loop: Header=BB90_6 Depth=1
	s_load_dword vcc_lo, s[34:35], 0xc
	v_mov_b32_e32 v95, 0
	s_waitcnt lgkmcnt(0)
	s_mul_hi_u32 s30, vcc_lo, s16
	s_add_i32 s30, vcc_lo, s30
	s_lshr_b32 vcc_hi, s30, s17
	s_cmp_ge_i32 vcc_hi, s13
	s_cbranch_scc1 .LBB90_5
; %bb.17:                               ;   in Loop: Header=BB90_6 Depth=1
	s_mul_i32 s30, vcc_hi, s18
	s_sub_i32 s30, vcc_lo, s30
	s_mul_i32 s30, s30, s1
	s_mul_i32 s31, vcc_hi, s20
	s_add_i32 s31, s31, s30
	v_add_u32_e32 v96, s31, v86
	v_ashrrev_i32_e32 v97, 31, v96
	v_lshlrev_b64 v[96:97], 2, v[96:97]
	v_mov_b32_e32 v95, s11
	v_add_co_u32_e32 v96, vcc, s10, v96
	v_addc_co_u32_e32 v97, vcc, v95, v97, vcc
	global_load_dword v95, v[96:97], off
	s_branch .LBB90_5
.LBB90_18:
	s_or_b64 exec, exec, s[8:9]
	v_readlane_b32 s24, v100, 6
	v_readlane_b32 s25, v100, 7
	;; [unrolled: 1-line block ×3, first 2 shown]
.LBB90_19:
	v_readlane_b32 s0, v100, 4
	v_readlane_b32 s1, v100, 5
	s_or_b64 exec, exec, s[0:1]
	v_mul_u32_u24_e32 v16, 0x608, v85
	v_lshlrev_b32_e32 v17, 2, v84
	v_add3_u32 v16, 0, v16, v17
	v_and_b32_e32 v17, 0x3f0, v82
	v_add_u32_e32 v17, v16, v17
	s_barrier
	ds_write2_b32 v17, v0, v1 offset1:1
	ds_write_b32 v17, v2 offset:8
	v_or_b32_e32 v0, 12, v82
	v_and_b32_e32 v0, 0x3fc, v0
	v_add_u32_e32 v0, v16, v0
	v_cmp_gt_u32_e32 vcc, 4, v83
	ds_write_b32 v0, v3
	ds_write2_b32 v17, v8, v9 offset0:16 offset1:17
	ds_write_b32 v17, v10 offset:72
	ds_write_b32 v0, v11 offset:64
	ds_write2_b32 v17, v4, v5 offset0:32 offset1:33
	ds_write_b32 v17, v6 offset:136
	ds_write_b32 v0, v7 offset:128
	;; [unrolled: 3-line block ×3, first 2 shown]
	s_waitcnt lgkmcnt(0)
	s_barrier
	s_and_saveexec_b64 s[0:1], vcc
	s_cbranch_execz .LBB90_23
; %bb.20:
	s_cmp_gt_i32 s14, 0
	v_or_b32_e32 v0, s6, v83
	s_cselect_b64 s[0:1], -1, 0
	v_cmp_gt_i32_e32 vcc, s33, v0
	s_and_b64 s[0:1], s[0:1], vcc
	s_and_b64 exec, exec, s[0:1]
	s_cbranch_execz .LBB90_23
; %bb.21:
	s_lshl_b64 s[0:1], s[26:27], 2
	v_readlane_b32 s4, v100, 0
	v_readlane_b32 s5, v100, 1
	s_add_u32 s0, s4, s0
	v_ashrrev_i32_e32 v1, 31, v0
	s_addc_u32 s1, s5, s1
	v_lshlrev_b64 v[0:1], 2, v[0:1]
	v_mov_b32_e32 v2, s1
	v_add_co_u32_e32 v0, vcc, s0, v0
	v_addc_co_u32_e32 v1, vcc, v2, v1, vcc
	global_load_dword v0, v[0:1], off
	s_waitcnt vmcnt(0)
	v_mul_hi_u32 v1, v0, s19
	v_add_u32_e32 v1, v0, v1
	v_lshrrev_b32_e32 v1, s24, v1
	v_cmp_gt_i32_e32 vcc, s13, v1
	s_and_b64 exec, exec, vcc
	s_cbranch_execz .LBB90_23
; %bb.22:
	v_lshlrev_b32_e32 v2, 2, v82
	v_mul_u32_u24_e32 v3, 0x608, v83
	v_add3_u32 v6, 0, v2, v3
	ds_read2st64_b32 v[2:3], v6 offset1:1
	ds_read2st64_b32 v[4:5], v6 offset0:2 offset1:3
	ds_read2st64_b32 v[6:7], v6 offset0:4 offset1:5
	v_add_u32_e32 v8, s7, v82
	v_readlane_b32 s0, v100, 2
	s_waitcnt lgkmcnt(2)
	v_add_f32_e32 v2, 0, v2
	v_add_f32_e32 v2, v2, v3
	v_mul_lo_u32 v3, v1, s25
	v_sub_u32_e32 v0, v0, v3
	v_mul_lo_u32 v0, v0, s2
	v_mul_lo_u32 v1, v1, s21
	s_waitcnt lgkmcnt(1)
	v_add_f32_e32 v2, v2, v4
	v_add3_u32 v0, v8, v1, v0
	v_mov_b32_e32 v1, 0
	v_add_f32_e32 v2, v2, v5
	v_lshlrev_b64 v[0:1], 2, v[0:1]
	v_readlane_b32 s1, v100, 3
	s_waitcnt lgkmcnt(0)
	v_add_f32_e32 v2, v2, v6
	v_mov_b32_e32 v3, s1
	v_add_co_u32_e32 v0, vcc, s0, v0
	v_add_f32_e32 v2, v2, v7
	v_addc_co_u32_e32 v1, vcc, v3, v1, vcc
	global_store_dword v[0:1], v2, off
.LBB90_23:
	s_endpgm
	.section	.rodata,"a",@progbits
	.p2align	6, 0x0
	.amdhsa_kernel _ZL13mul_mat_f_idsIfLi64ELi4ELi6EEvPKT_PKfPKiS6_S6_Pfiiiiiiiiiiiiii15HIP_vector_typeIjLj3EES9_
		.amdhsa_group_segment_fixed_size 0
		.amdhsa_private_segment_fixed_size 0
		.amdhsa_kernarg_size 128
		.amdhsa_user_sgpr_count 6
		.amdhsa_user_sgpr_private_segment_buffer 1
		.amdhsa_user_sgpr_dispatch_ptr 0
		.amdhsa_user_sgpr_queue_ptr 0
		.amdhsa_user_sgpr_kernarg_segment_ptr 1
		.amdhsa_user_sgpr_dispatch_id 0
		.amdhsa_user_sgpr_flat_scratch_init 0
		.amdhsa_user_sgpr_kernarg_preload_length 0
		.amdhsa_user_sgpr_kernarg_preload_offset 0
		.amdhsa_user_sgpr_private_segment_size 0
		.amdhsa_uses_dynamic_stack 0
		.amdhsa_system_sgpr_private_segment_wavefront_offset 0
		.amdhsa_system_sgpr_workgroup_id_x 1
		.amdhsa_system_sgpr_workgroup_id_y 1
		.amdhsa_system_sgpr_workgroup_id_z 1
		.amdhsa_system_sgpr_workgroup_info 0
		.amdhsa_system_vgpr_workitem_id 1
		.amdhsa_next_free_vgpr 101
		.amdhsa_next_free_sgpr 96
		.amdhsa_accum_offset 104
		.amdhsa_reserve_vcc 1
		.amdhsa_reserve_flat_scratch 0
		.amdhsa_float_round_mode_32 0
		.amdhsa_float_round_mode_16_64 0
		.amdhsa_float_denorm_mode_32 3
		.amdhsa_float_denorm_mode_16_64 3
		.amdhsa_dx10_clamp 1
		.amdhsa_ieee_mode 1
		.amdhsa_fp16_overflow 0
		.amdhsa_tg_split 0
		.amdhsa_exception_fp_ieee_invalid_op 0
		.amdhsa_exception_fp_denorm_src 0
		.amdhsa_exception_fp_ieee_div_zero 0
		.amdhsa_exception_fp_ieee_overflow 0
		.amdhsa_exception_fp_ieee_underflow 0
		.amdhsa_exception_fp_ieee_inexact 0
		.amdhsa_exception_int_div_zero 0
	.end_amdhsa_kernel
	.section	.text._ZL13mul_mat_f_idsIfLi64ELi4ELi6EEvPKT_PKfPKiS6_S6_Pfiiiiiiiiiiiiii15HIP_vector_typeIjLj3EES9_,"axG",@progbits,_ZL13mul_mat_f_idsIfLi64ELi4ELi6EEvPKT_PKfPKiS6_S6_Pfiiiiiiiiiiiiii15HIP_vector_typeIjLj3EES9_,comdat
.Lfunc_end90:
	.size	_ZL13mul_mat_f_idsIfLi64ELi4ELi6EEvPKT_PKfPKiS6_S6_Pfiiiiiiiiiiiiii15HIP_vector_typeIjLj3EES9_, .Lfunc_end90-_ZL13mul_mat_f_idsIfLi64ELi4ELi6EEvPKT_PKfPKiS6_S6_Pfiiiiiiiiiiiiii15HIP_vector_typeIjLj3EES9_
                                        ; -- End function
	.section	.AMDGPU.csdata,"",@progbits
; Kernel info:
; codeLenInByte = 5612
; NumSgprs: 100
; NumVgprs: 101
; NumAgprs: 0
; TotalNumVgprs: 101
; ScratchSize: 0
; MemoryBound: 0
; FloatMode: 240
; IeeeMode: 1
; LDSByteSize: 0 bytes/workgroup (compile time only)
; SGPRBlocks: 12
; VGPRBlocks: 12
; NumSGPRsForWavesPerEU: 100
; NumVGPRsForWavesPerEU: 101
; AccumOffset: 104
; Occupancy: 4
; WaveLimiterHint : 1
; COMPUTE_PGM_RSRC2:SCRATCH_EN: 0
; COMPUTE_PGM_RSRC2:USER_SGPR: 6
; COMPUTE_PGM_RSRC2:TRAP_HANDLER: 0
; COMPUTE_PGM_RSRC2:TGID_X_EN: 1
; COMPUTE_PGM_RSRC2:TGID_Y_EN: 1
; COMPUTE_PGM_RSRC2:TGID_Z_EN: 1
; COMPUTE_PGM_RSRC2:TIDIG_COMP_CNT: 1
; COMPUTE_PGM_RSRC3_GFX90A:ACCUM_OFFSET: 25
; COMPUTE_PGM_RSRC3_GFX90A:TG_SPLIT: 0
	.section	.text._ZL9mul_mat_fIfLi64ELi4ELi6ELb1EEvPKT_PKfPKiPfiiiiiiiiiiiiiiii,"axG",@progbits,_ZL9mul_mat_fIfLi64ELi4ELi6ELb1EEvPKT_PKfPKiPfiiiiiiiiiiiiiiii,comdat
	.globl	_ZL9mul_mat_fIfLi64ELi4ELi6ELb1EEvPKT_PKfPKiPfiiiiiiiiiiiiiiii ; -- Begin function _ZL9mul_mat_fIfLi64ELi4ELi6ELb1EEvPKT_PKfPKiPfiiiiiiiiiiiiiiii
	.p2align	8
	.type	_ZL9mul_mat_fIfLi64ELi4ELi6ELb1EEvPKT_PKfPKiPfiiiiiiiiiiiiiiii,@function
_ZL9mul_mat_fIfLi64ELi4ELi6ELb1EEvPKT_PKfPKiPfiiiiiiiiiiiiiiii: ; @_ZL9mul_mat_fIfLi64ELi4ELi6ELb1EEvPKT_PKfPKiPfiiiiiiiiiiiiiiii
; %bb.0:
	s_load_dwordx8 s[12:19], s[4:5], 0x20
	v_and_b32_e32 v16, 0x3ff, v0
	v_bfe_u32 v17, v0, 10, 10
	v_cmp_eq_u32_e32 vcc, 0, v16
	s_waitcnt lgkmcnt(0)
	s_add_i32 s0, s13, 3
	s_ashr_i32 s1, s0, 31
	s_lshr_b32 s1, s1, 30
	s_add_i32 s0, s0, s1
	s_ashr_i32 s0, s0, 2
	v_cvt_f32_u32_e32 v1, s0
	s_load_dwordx4 s[20:23], s[4:5], 0x44
	s_load_dword s1, s[4:5], 0x64
	s_sub_i32 s2, 0, s0
	s_add_u32 s10, s4, 0x60
	v_rcp_iflag_f32_e32 v1, v1
	s_addc_u32 s11, s5, 0
	v_mul_f32_e32 v1, 0x4f7ffffe, v1
	v_cvt_u32_f32_e32 v1, v1
	v_readfirstlane_b32 s3, v1
	s_mul_i32 s2, s2, s3
	s_mul_hi_u32 s2, s3, s2
	s_add_i32 s3, s3, s2
	s_waitcnt lgkmcnt(0)
	s_mul_hi_u32 s2, s1, s3
	s_mul_i32 s3, s2, s0
	s_sub_i32 s1, s1, s3
	s_add_i32 s9, s2, 1
	s_sub_i32 s3, s1, s0
	s_cmp_ge_u32 s1, s0
	s_cselect_b32 s2, s9, s2
	s_cselect_b32 s1, s3, s1
	s_add_i32 s3, s2, 1
	s_cmp_ge_u32 s1, s0
	s_cselect_b32 s2, s3, s2
	v_cvt_f32_u32_e32 v1, s2
	s_abs_i32 s33, s23
	v_cvt_f32_u32_e32 v2, s33
	s_sub_i32 s0, 0, s2
	v_rcp_iflag_f32_e32 v1, v1
	s_sub_i32 s1, 0, s33
	v_rcp_iflag_f32_e32 v2, v2
	v_mul_f32_e32 v1, 0x4f7ffffe, v1
	v_cvt_u32_f32_e32 v1, v1
	v_mul_f32_e32 v2, 0x4f7ffffe, v2
	v_cvt_u32_f32_e32 v2, v2
	v_readfirstlane_b32 s3, v1
	s_mul_i32 s0, s0, s3
	v_readfirstlane_b32 s34, v2
	s_mul_hi_u32 s0, s3, s0
	s_mul_i32 s1, s1, s34
	s_add_i32 s3, s3, s0
	s_mul_hi_u32 s9, s34, s1
	s_mul_hi_u32 s3, s7, s3
	s_and_saveexec_b64 s[0:1], vcc
	s_cbranch_execz .LBB91_2
; %bb.1:
	v_mov_b32_e32 v1, 0x100
	v_lshl_add_u32 v1, v17, 2, v1
	v_mov_b32_e32 v2, -1
	ds_write_b32 v1, v2
.LBB91_2:
	s_or_b64 exec, exec, s[0:1]
	s_mul_i32 s0, s3, s2
	s_load_dwordx4 s[24:27], s[4:5], 0x54
	s_sub_i32 s0, s7, s0
	s_waitcnt lgkmcnt(0)
	s_abs_i32 s27, s8
	s_add_i32 s34, s34, s9
	s_add_i32 s1, s3, 1
	s_sub_i32 s9, s0, s2
	s_cmp_ge_u32 s0, s2
	s_cselect_b32 s1, s1, s3
	s_cselect_b32 s0, s9, s0
	s_add_i32 s3, s1, 1
	s_cmp_ge_u32 s0, s2
	s_cselect_b32 s0, s3, s1
	s_lshl_b32 s9, s0, 2
	s_mul_i32 s1, s0, s2
	v_add_u32_e32 v1, s9, v17
	s_sub_i32 s7, s7, s1
	v_cmp_gt_i32_e32 vcc, s13, v1
	v_mov_b32_e32 v1, 0
	s_and_saveexec_b64 s[2:3], vcc
	s_cbranch_execz .LBB91_10
; %bb.3:
	v_cmp_gt_i32_e32 vcc, s14, v16
	v_mov_b32_e32 v1, 0
	s_and_saveexec_b64 s[28:29], vcc
	s_cbranch_execz .LBB91_9
; %bb.4:
	s_load_dwordx2 s[0:1], s[4:5], 0x10
	s_mul_hi_i32 s31, s9, s19
	s_mul_i32 s30, s9, s19
	v_mul_lo_u32 v2, v17, s19
	s_lshl_b64 s[30:31], s[30:31], 2
	s_waitcnt lgkmcnt(0)
	s_add_u32 s0, s0, s30
	v_ashrrev_i32_e32 v3, 31, v2
	s_addc_u32 s1, s1, s31
	v_lshlrev_b64 v[2:3], 2, v[2:3]
	v_mov_b32_e32 v4, s1
	v_add_co_u32_e32 v1, vcc, s0, v2
	v_mov_b32_e32 v2, 0x100
	v_addc_co_u32_e32 v4, vcc, v4, v3, vcc
	v_lshl_add_u32 v5, v17, 2, v2
	v_mul_lo_u32 v2, v16, s18
	s_lshl_b32 s35, s18, 6
	s_mov_b64 s[18:19], 0
	v_mov_b32_e32 v6, 0
	v_mov_b32_e32 v7, v16
	s_branch .LBB91_6
.LBB91_5:                               ;   in Loop: Header=BB91_6 Depth=1
	s_or_b64 exec, exec, s[30:31]
	v_add_u32_e32 v7, 64, v7
	v_cmp_le_i32_e64 s[0:1], s14, v7
	s_xor_b64 s[30:31], vcc, -1
	s_or_b64 s[0:1], s[30:31], s[0:1]
	s_and_b64 s[0:1], exec, s[0:1]
	s_or_b64 s[18:19], s[0:1], s[18:19]
	v_add_u32_e32 v2, s35, v2
	s_andn2_b64 exec, exec, s[18:19]
	s_cbranch_execz .LBB91_8
.LBB91_6:                               ; =>This Inner Loop Header: Depth=1
	v_ashrrev_i32_e32 v3, 31, v2
	v_lshlrev_b64 v[8:9], 2, v[2:3]
	v_add_co_u32_e32 v8, vcc, v1, v8
	v_addc_co_u32_e32 v9, vcc, v4, v9, vcc
	global_load_dword v3, v[8:9], off
	s_waitcnt vmcnt(0)
	v_cmp_ne_u32_e32 vcc, s7, v3
	v_cmp_eq_u32_e64 s[0:1], s7, v3
	s_and_saveexec_b64 s[30:31], s[0:1]
	s_cbranch_execz .LBB91_5
; %bb.7:                                ;   in Loop: Header=BB91_6 Depth=1
	v_mov_b32_e32 v6, 1
	ds_write_b32 v5, v7
	s_branch .LBB91_5
.LBB91_8:
	s_or_b64 exec, exec, s[18:19]
	v_cmp_ne_u32_e32 vcc, 0, v6
	v_cndmask_b32_e64 v1, 0, 1, vcc
.LBB91_9:
	s_or_b64 exec, exec, s[28:29]
.LBB91_10:
	s_or_b64 exec, exec, s[2:3]
	s_load_dwordx2 s[0:1], s[10:11], 0xc
	s_load_dwordx4 s[28:31], s[4:5], 0x0
	s_load_dwordx2 s[2:3], s[4:5], 0x18
	v_or_b32_dpp v1, v1, v1 row_shl:1 row_mask:0xf bank_mask:0xf bound_ctrl:1
	s_mul_hi_u32 s4, s27, s34
	s_waitcnt lgkmcnt(0)
	s_and_b32 s5, s1, 0xffff
	s_lshr_b32 s1, s0, 16
	s_and_b32 s0, s0, 0xffff
	v_or_b32_dpp v1, v1, v1 row_shl:2 row_mask:0xf bank_mask:0xf bound_ctrl:1
	s_mul_i32 s10, s1, s0
	s_bfe_i32 s10, s10, 0x180000
	v_or_b32_dpp v1, v1, v1 row_shl:4 row_mask:0xf bank_mask:0xf bound_ctrl:1
	s_mul_i32 s5, s10, s5
	s_add_i32 s10, s5, 63
	v_or_b32_dpp v1, v1, v1 row_shl:8 row_mask:0xf bank_mask:0xf bound_ctrl:1
	s_bitcmp1_b32 exec_hi, 0
	s_nop 0
	v_mov_b32_dpp v2, v1 wave_shl:1 row_mask:0xf bank_mask:0xf bound_ctrl:1
	s_nop 1
	v_or_b32_dpp v1, v2, v1 row_mirror row_mask:0xf bank_mask:0xf bound_ctrl:1
	v_readlane_b32 s5, v1, 32
	s_cselect_b32 s5, s5, 0
	v_readlane_b32 s11, v1, 0
	s_or_b32 s5, s5, s11
	s_andn2_b32 s10, s10, 63
	s_cmp_lg_u32 s10, 64
	v_mov_b32_e32 v1, s5
	s_cbranch_scc0 .LBB91_17
; %bb.11:
	v_bfe_u32 v0, v0, 20, 10
	v_mbcnt_lo_u32_b32 v1, -1, 0
	v_mad_u32_u24 v0, v0, s1, v17
	v_mbcnt_hi_u32_b32 v2, -1, v1
	v_mad_u64_u32 v[0:1], s[0:1], v0, s0, v[16:17]
	v_lshrrev_b32_e32 v1, 6, v0
	v_or_b32_e32 v1, v2, v1
	v_cmp_eq_u32_e32 vcc, 0, v1
	s_and_saveexec_b64 s[0:1], vcc
	s_cbranch_execz .LBB91_13
; %bb.12:
	v_mov_b32_e32 v1, 0
	v_mov_b32_e32 v3, s5
	ds_write_b32 v1, v3
.LBB91_13:
	s_or_b64 exec, exec, s[0:1]
	v_cmp_eq_u32_e32 vcc, 0, v2
	v_cmp_lt_u32_e64 s[0:1], 63, v0
	s_and_b64 s[10:11], s[0:1], vcc
	s_waitcnt lgkmcnt(0)
	s_barrier
	s_and_saveexec_b64 s[0:1], s[10:11]
	s_cbranch_execz .LBB91_16
; %bb.14:
	v_mbcnt_lo_u32_b32 v0, exec_lo, 0
	v_mbcnt_hi_u32_b32 v0, exec_hi, v0
	v_cmp_eq_u32_e32 vcc, 0, v0
	s_and_b64 exec, exec, vcc
	s_cbranch_execz .LBB91_16
; %bb.15:
	v_mov_b32_e32 v0, 0
	v_mov_b32_e32 v1, s5
	ds_or_b32 v0, v1
.LBB91_16:
	s_or_b64 exec, exec, s[0:1]
	v_mov_b32_e32 v0, 0
	s_waitcnt lgkmcnt(0)
	s_barrier
	ds_read_b32 v1, v0
	s_waitcnt lgkmcnt(0)
	s_barrier
.LBB91_17:
	v_cmp_ne_u32_e32 vcc, 0, v1
	s_ashr_i32 s5, s8, 31
	s_ashr_i32 s10, s23, 31
	s_cbranch_vccz .LBB91_43
; %bb.18:
	v_lshlrev_b32_e32 v84, 6, v17
	v_add_u32_e32 v86, v84, v16
	v_cmp_le_i32_e32 vcc, s12, v86
	v_and_b32_e32 v85, 15, v16
                                        ; implicit-def: $sgpr11
	s_and_saveexec_b64 s[0:1], vcc
	s_xor_b64 s[0:1], exec, s[0:1]
; %bb.19:
	v_and_b32_e32 v85, 15, v16
	s_mov_b32 s11, 0
                                        ; implicit-def: $vgpr86
; %bb.20:
	s_or_saveexec_b64 s[0:1], s[0:1]
	s_lshl_b32 s23, s6, 6
	v_mov_b32_e32 v11, s11
	v_mov_b32_e32 v10, s11
	;; [unrolled: 1-line block ×16, first 2 shown]
	s_xor_b64 exec, exec, s[0:1]
	s_cbranch_execz .LBB91_40
; %bb.21:
	s_mul_i32 s6, s4, s33
	s_sub_i32 s6, s27, s6
	s_xor_b32 s5, s5, s10
	s_add_i32 s10, s4, 1
	s_sub_i32 s11, s6, s33
	s_cmp_ge_u32 s6, s33
	s_cselect_b32 s4, s10, s4
	s_cselect_b32 s6, s11, s6
	s_add_i32 s10, s4, 1
	s_cmp_ge_u32 s6, s33
	s_cselect_b32 s4, s10, s4
	s_xor_b32 s4, s4, s5
	s_sub_i32 s4, s4, s5
	s_mul_hi_i32 s5, s4, s24
	s_mul_i32 s4, s4, s24
	s_mul_i32 s6, s7, s20
	s_ashr_i32 s7, s6, 31
	s_lshl_b64 s[34:35], s[4:5], 2
	s_add_u32 s4, s28, s34
	s_addc_u32 s5, s29, s35
	s_lshl_b64 s[36:37], s[6:7], 2
	s_mul_i32 s10, s23, s15
	s_add_u32 s4, s4, s36
	s_addc_u32 s5, s5, s37
	s_ashr_i32 s11, s10, 31
	s_lshl_b64 s[38:39], s[10:11], 2
	s_add_u32 s20, s4, s38
	s_movk_i32 s4, 0x1080
	v_mov_b32_e32 v87, 0x100
	s_addc_u32 s14, s5, s39
	v_mad_u32_u24 v0, v17, s4, v87
	s_mul_hi_i32 s5, s25, s8
	s_mul_i32 s4, s25, s8
	s_lshl_b64 s[4:5], s[4:5], 2
	s_mul_hi_i32 s7, s9, s16
	s_mul_i32 s6, s9, s16
	s_add_u32 s10, s30, s4
	s_addc_u32 s11, s31, s5
	s_lshl_b64 s[4:5], s[6:7], 2
	s_add_u32 s27, s10, s4
	s_addc_u32 s30, s11, s5
	s_cmp_lt_i32 s9, s13
	s_cselect_b64 s[4:5], -1, 0
	s_or_b32 s6, s9, 1
	s_cmp_lt_i32 s6, s13
	s_cselect_b64 s[6:7], -1, 0
	s_or_b32 s10, s9, 2
	s_cmp_lt_i32 s10, s13
	s_cselect_b64 s[10:11], -1, 0
	s_lshl_b32 s31, s16, 1
	s_or_b32 s18, s9, 3
	s_cmp_lt_i32 s18, s13
	s_cselect_b64 s[18:19], -1, 0
	s_ashr_i32 s25, s15, 31
	s_mov_b32 s24, s15
	s_lshl_b64 s[24:25], s[24:25], 2
	s_add_u32 s34, s34, s38
	s_addc_u32 s35, s35, s39
	s_add_u32 s34, s34, s36
	v_lshrrev_b32_e32 v2, 1, v16
	s_addc_u32 s35, s35, s37
	v_mul_u32_u24_e32 v1, 0x108, v85
	v_and_b32_e32 v2, 0x1f8, v2
	s_add_u32 s28, s28, s34
	v_lshl_add_u32 v88, v16, 2, v0
	v_add3_u32 v89, v0, v1, v2
	v_lshlrev_b32_e32 v0, 2, v86
	s_addc_u32 s29, s29, s35
	v_mov_b32_e32 v1, s29
	v_add_co_u32_e32 v18, vcc, s28, v0
	v_mov_b32_e32 v12, 0
	s_mul_i32 s33, s16, 3
	v_mov_b32_e32 v90, 0
	v_addc_co_u32_e32 v19, vcc, 0, v1, vcc
	s_lshl_b32 s28, s15, 1
	s_mul_i32 s29, s15, 3
	s_lshl_b32 s34, s15, 2
	s_mul_i32 s35, s15, 5
	s_mul_i32 s36, s15, 6
	;; [unrolled: 1-line block ×3, first 2 shown]
	s_lshl_b32 s38, s15, 3
	s_mul_i32 s39, s15, 9
	s_mul_i32 s40, s15, 10
	;; [unrolled: 1-line block ×7, first 2 shown]
	s_lshl_b32 s46, s15, 4
	s_mul_i32 s47, s15, 17
	s_mul_i32 s48, s15, 18
	;; [unrolled: 1-line block ×15, first 2 shown]
	s_lshl_b32 s62, s15, 5
	s_mul_i32 s63, s15, 33
	s_mul_i32 s64, s15, 34
	;; [unrolled: 1-line block ×12, first 2 shown]
	v_mov_b32_e32 v91, s14
	s_mul_i32 s75, s15, 45
	v_mov_b32_e32 v92, s25
	v_mov_b32_e32 v13, v12
	;; [unrolled: 1-line block ×16, first 2 shown]
	s_mul_i32 s25, s15, 46
	s_mul_i32 s76, s15, 47
	;; [unrolled: 1-line block ×18, first 2 shown]
	s_mov_b64 s[14:15], 0
	s_branch .LBB91_24
.LBB91_22:                              ;   in Loop: Header=BB91_24 Depth=1
	v_mul_lo_u32 v93, v93, s21
	v_add_u32_e32 v93, s33, v93
	v_add_u32_e32 v94, v93, v86
	v_ashrrev_i32_e32 v95, 31, v94
	v_lshlrev_b64 v[94:95], 2, v[94:95]
	v_mov_b32_e32 v93, s30
	v_add_co_u32_e32 v94, vcc, s27, v94
	v_addc_co_u32_e32 v95, vcc, v93, v95, vcc
	global_load_dword v93, v[94:95], off
.LBB91_23:                              ;   in Loop: Header=BB91_24 Depth=1
	v_add_u32_e32 v94, 0x200, v88
	s_waitcnt vmcnt(0)
	ds_write2_b32 v94, v93, v90 offset0:86 offset1:152
	v_add_u32_e32 v93, 0x400, v88
	ds_write2_b32 v93, v90, v90 offset0:90 offset1:156
	v_add_u32_e32 v93, 0x600, v88
	;; [unrolled: 2-line block ×5, first 2 shown]
	ds_write2_b32 v93, v90, v90 offset0:106 offset1:172
	ds_write_b32 v88, v90 offset:4024
	ds_read2_b64 v[94:97], v89 offset0:8 offset1:12
	s_waitcnt lgkmcnt(0)
	v_mfma_f32_16x16x4f32 v[8:11], v48, v94, v[8:11]
	v_add_co_u32_e32 v18, vcc, 0x600, v18
	v_add_u32_e32 v86, 0x180, v86
	v_addc_co_u32_e32 v19, vcc, 0, v19, vcc
	v_cmp_le_i32_e32 vcc, s12, v86
	s_or_b64 s[14:15], vcc, s[14:15]
	v_mfma_f32_16x16x4f32 v[4:7], v60, v94, v[4:7]
	v_mfma_f32_16x16x4f32 v[0:3], v66, v94, v[0:3]
	;; [unrolled: 1-line block ×14, first 2 shown]
	ds_read2_b64 v[64:67], v89 offset0:16 offset1:20
	v_mfma_f32_16x16x4f32 v[12:15], v81, v97, v[12:15]
	s_waitcnt lgkmcnt(0)
	v_mfma_f32_16x16x4f32 v[8:11], v36, v64, v[8:11]
	v_mfma_f32_16x16x4f32 v[4:7], v52, v64, v[4:7]
	;; [unrolled: 1-line block ×14, first 2 shown]
	ds_read2_b64 v[46:49], v89 offset0:24 offset1:28
	v_mfma_f32_16x16x4f32 v[0:3], v59, v67, v[0:3]
	v_mfma_f32_16x16x4f32 v[12:15], v77, v67, v[12:15]
	s_waitcnt lgkmcnt(0)
	v_mfma_f32_16x16x4f32 v[8:11], v28, v46, v[8:11]
	v_mfma_f32_16x16x4f32 v[4:7], v40, v46, v[4:7]
	v_mfma_f32_16x16x4f32 v[0:3], v54, v46, v[0:3]
	v_mfma_f32_16x16x4f32 v[12:15], v74, v46, v[12:15]
	v_mfma_f32_16x16x4f32 v[8:11], v29, v47, v[8:11]
	v_mfma_f32_16x16x4f32 v[4:7], v41, v47, v[4:7]
	v_mfma_f32_16x16x4f32 v[0:3], v55, v47, v[0:3]
	v_mfma_f32_16x16x4f32 v[12:15], v75, v47, v[12:15]
	v_mfma_f32_16x16x4f32 v[8:11], v24, v48, v[8:11]
	v_mfma_f32_16x16x4f32 v[4:7], v34, v48, v[4:7]
	v_mfma_f32_16x16x4f32 v[0:3], v50, v48, v[0:3]
	v_mfma_f32_16x16x4f32 v[12:15], v72, v48, v[12:15]
	v_mfma_f32_16x16x4f32 v[8:11], v25, v49, v[8:11]
	v_mfma_f32_16x16x4f32 v[4:7], v35, v49, v[4:7]
	ds_read2_b64 v[32:35], v89 offset0:32 offset1:36
	v_mfma_f32_16x16x4f32 v[0:3], v51, v49, v[0:3]
	v_mfma_f32_16x16x4f32 v[12:15], v73, v49, v[12:15]
	s_waitcnt lgkmcnt(0)
	v_mfma_f32_16x16x4f32 v[8:11], v22, v32, v[8:11]
	v_mfma_f32_16x16x4f32 v[4:7], v30, v32, v[4:7]
	;; [unrolled: 1-line block ×16, first 2 shown]
	s_andn2_b64 exec, exec, s[14:15]
	s_cbranch_execz .LBB91_39
.LBB91_24:                              ; =>This Inner Loop Header: Depth=1
	v_add_co_u32_e32 v20, vcc, s24, v18
	v_addc_co_u32_e32 v21, vcc, v19, v92, vcc
	global_load_dword v32, v[18:19], off
	global_load_dword v33, v[20:21], off
	v_add_u32_e32 v20, s28, v86
	v_ashrrev_i32_e32 v21, 31, v20
	v_lshlrev_b64 v[20:21], 2, v[20:21]
	v_add_u32_e32 v22, s29, v86
	v_add_co_u32_e32 v20, vcc, s20, v20
	v_ashrrev_i32_e32 v23, 31, v22
	v_addc_co_u32_e32 v21, vcc, v91, v21, vcc
	v_lshlrev_b64 v[22:23], 2, v[22:23]
	v_add_u32_e32 v24, s34, v86
	v_add_co_u32_e32 v22, vcc, s20, v22
	v_ashrrev_i32_e32 v25, 31, v24
	v_addc_co_u32_e32 v23, vcc, v91, v23, vcc
	;; [unrolled: 5-line block ×5, first 2 shown]
	v_lshlrev_b64 v[30:31], 2, v[30:31]
	v_add_co_u32_e32 v30, vcc, s20, v30
	v_addc_co_u32_e32 v31, vcc, v91, v31, vcc
	global_load_dword v34, v[20:21], off
	global_load_dword v35, v[22:23], off
	;; [unrolled: 1-line block ×3, first 2 shown]
	s_nop 0
	global_load_dword v26, v[26:27], off
	s_nop 0
	global_load_dword v27, v[28:29], off
	;; [unrolled: 2-line block ×3, first 2 shown]
	v_add_u32_e32 v20, s38, v86
	v_ashrrev_i32_e32 v21, 31, v20
	v_add_u32_e32 v22, s39, v86
	v_lshlrev_b64 v[20:21], 2, v[20:21]
	v_ashrrev_i32_e32 v23, 31, v22
	v_add_co_u32_e32 v20, vcc, s20, v20
	v_add_u32_e32 v24, s40, v86
	v_lshlrev_b64 v[22:23], 2, v[22:23]
	v_addc_co_u32_e32 v21, vcc, v91, v21, vcc
	v_ashrrev_i32_e32 v25, 31, v24
	v_add_co_u32_e32 v22, vcc, s20, v22
	v_lshlrev_b64 v[24:25], 2, v[24:25]
	v_addc_co_u32_e32 v23, vcc, v91, v23, vcc
	global_load_dword v20, v[20:21], off
	s_nop 0
	global_load_dword v21, v[22:23], off
	v_add_u32_e32 v22, s41, v86
	v_add_co_u32_e32 v24, vcc, s20, v24
	v_ashrrev_i32_e32 v23, 31, v22
	v_addc_co_u32_e32 v25, vcc, v91, v25, vcc
	v_lshlrev_b64 v[22:23], 2, v[22:23]
	v_add_u32_e32 v40, s53, v86
	v_ashrrev_i32_e32 v41, 31, v40
	v_lshlrev_b64 v[40:41], 2, v[40:41]
	v_add_u32_e32 v42, s54, v86
	v_ashrrev_i32_e32 v43, 31, v42
	;; [unrolled: 3-line block ×5, first 2 shown]
	v_lshlrev_b64 v[60:61], 2, v[60:61]
	s_waitcnt vmcnt(9)
	ds_write_b32 v88, v32 offset:64
	s_waitcnt vmcnt(8)
	ds_write_b32 v88, v33 offset:328
	s_waitcnt vmcnt(7)
	ds_write_b32 v88, v34 offset:592
	s_waitcnt vmcnt(6)
	ds_write_b32 v88, v35 offset:856
	s_waitcnt vmcnt(5)
	ds_write_b32 v88, v36 offset:1120
	s_waitcnt vmcnt(4)
	ds_write_b32 v88, v26 offset:1384
	s_waitcnt vmcnt(3)
	ds_write_b32 v88, v27 offset:1648
	s_waitcnt vmcnt(2)
	ds_write_b32 v88, v28 offset:1912
	v_add_co_u32_e32 v26, vcc, s20, v22
	v_add_u32_e32 v22, s42, v86
	v_addc_co_u32_e32 v27, vcc, v91, v23, vcc
	v_ashrrev_i32_e32 v23, 31, v22
	v_lshlrev_b64 v[22:23], 2, v[22:23]
	v_add_co_u32_e32 v28, vcc, s20, v22
	v_add_u32_e32 v22, s43, v86
	v_addc_co_u32_e32 v29, vcc, v91, v23, vcc
	v_ashrrev_i32_e32 v23, 31, v22
	v_lshlrev_b64 v[22:23], 2, v[22:23]
	;; [unrolled: 5-line block ×6, first 2 shown]
	v_add_co_u32_e32 v38, vcc, s20, v22
	v_addc_co_u32_e32 v39, vcc, v91, v23, vcc
	global_load_dword v22, v[24:25], off
	global_load_dword v23, v[26:27], off
	s_nop 0
	global_load_dword v24, v[28:29], off
	global_load_dword v25, v[30:31], off
	s_nop 0
	global_load_dword v28, v[32:33], off
	global_load_dword v29, v[34:35], off
	;; [unrolled: 1-line block ×4, first 2 shown]
	v_add_u32_e32 v30, s48, v86
	v_ashrrev_i32_e32 v31, 31, v30
	v_lshlrev_b64 v[30:31], 2, v[30:31]
	v_add_u32_e32 v32, s49, v86
	v_add_co_u32_e32 v30, vcc, s20, v30
	v_ashrrev_i32_e32 v33, 31, v32
	v_addc_co_u32_e32 v31, vcc, v91, v31, vcc
	v_lshlrev_b64 v[32:33], 2, v[32:33]
	v_add_u32_e32 v34, s50, v86
	v_add_co_u32_e32 v32, vcc, s20, v32
	v_ashrrev_i32_e32 v35, 31, v34
	v_addc_co_u32_e32 v33, vcc, v91, v33, vcc
	;; [unrolled: 5-line block ×4, first 2 shown]
	v_lshlrev_b64 v[38:39], 2, v[38:39]
	v_add_co_u32_e32 v38, vcc, s20, v38
	v_addc_co_u32_e32 v39, vcc, v91, v39, vcc
	v_add_co_u32_e32 v40, vcc, s20, v40
	v_addc_co_u32_e32 v41, vcc, v91, v41, vcc
	v_add_co_u32_e32 v42, vcc, s20, v42
	v_addc_co_u32_e32 v43, vcc, v91, v43, vcc
	v_add_co_u32_e32 v44, vcc, s20, v44
	v_addc_co_u32_e32 v45, vcc, v91, v45, vcc
	global_load_dword v30, v[30:31], off
	s_nop 0
	global_load_dword v31, v[32:33], off
	s_nop 0
	;; [unrolled: 2-line block ×6, first 2 shown]
	global_load_dword v40, v[42:43], off
	global_load_dword v41, v[44:45], off
	v_add_u32_e32 v32, s56, v86
	v_ashrrev_i32_e32 v33, 31, v32
	v_lshlrev_b64 v[32:33], 2, v[32:33]
	v_add_u32_e32 v36, s57, v86
	v_add_co_u32_e32 v32, vcc, s20, v32
	v_ashrrev_i32_e32 v37, 31, v36
	v_addc_co_u32_e32 v33, vcc, v91, v33, vcc
	v_lshlrev_b64 v[36:37], 2, v[36:37]
	v_add_u32_e32 v42, s58, v86
	v_add_co_u32_e32 v36, vcc, s20, v36
	v_ashrrev_i32_e32 v43, 31, v42
	v_addc_co_u32_e32 v37, vcc, v91, v37, vcc
	;; [unrolled: 5-line block ×3, first 2 shown]
	v_lshlrev_b64 v[44:45], 2, v[44:45]
	v_add_co_u32_e32 v44, vcc, s20, v44
	v_addc_co_u32_e32 v45, vcc, v91, v45, vcc
	v_add_co_u32_e32 v48, vcc, s20, v46
	v_add_u32_e32 v46, s61, v86
	v_addc_co_u32_e32 v49, vcc, v91, v47, vcc
	v_ashrrev_i32_e32 v47, 31, v46
	v_lshlrev_b64 v[46:47], 2, v[46:47]
	v_add_co_u32_e32 v54, vcc, s20, v46
	v_add_u32_e32 v46, s62, v86
	v_addc_co_u32_e32 v55, vcc, v91, v47, vcc
	v_ashrrev_i32_e32 v47, 31, v46
	v_lshlrev_b64 v[46:47], 2, v[46:47]
	;; [unrolled: 5-line block ×3, first 2 shown]
	v_add_co_u32_e32 v58, vcc, s20, v46
	v_addc_co_u32_e32 v59, vcc, v91, v47, vcc
	global_load_dword v46, v[32:33], off
	global_load_dword v47, v[36:37], off
	;; [unrolled: 1-line block ×6, first 2 shown]
	s_nop 0
	global_load_dword v44, v[56:57], off
	global_load_dword v45, v[58:59], off
	v_add_u32_e32 v32, s64, v86
	v_ashrrev_i32_e32 v33, 31, v32
	v_lshlrev_b64 v[32:33], 2, v[32:33]
	v_add_u32_e32 v36, s65, v86
	v_add_co_u32_e32 v32, vcc, s20, v32
	v_ashrrev_i32_e32 v37, 31, v36
	v_addc_co_u32_e32 v33, vcc, v91, v33, vcc
	v_lshlrev_b64 v[36:37], 2, v[36:37]
	v_add_u32_e32 v42, s66, v86
	v_add_co_u32_e32 v36, vcc, s20, v36
	v_ashrrev_i32_e32 v43, 31, v42
	v_addc_co_u32_e32 v37, vcc, v91, v37, vcc
	;; [unrolled: 5-line block ×6, first 2 shown]
	v_lshlrev_b64 v[58:59], 2, v[58:59]
	v_add_co_u32_e32 v58, vcc, s20, v58
	v_addc_co_u32_e32 v59, vcc, v91, v59, vcc
	v_add_co_u32_e32 v60, vcc, s20, v60
	v_addc_co_u32_e32 v61, vcc, v91, v61, vcc
	global_load_dword v62, v[32:33], off
	global_load_dword v63, v[36:37], off
	;; [unrolled: 1-line block ×8, first 2 shown]
	v_add_u32_e32 v32, s72, v86
	v_ashrrev_i32_e32 v33, 31, v32
	v_lshlrev_b64 v[32:33], 2, v[32:33]
	v_add_u32_e32 v36, s73, v86
	v_add_co_u32_e32 v32, vcc, s20, v32
	v_ashrrev_i32_e32 v37, 31, v36
	v_addc_co_u32_e32 v33, vcc, v91, v33, vcc
	v_lshlrev_b64 v[36:37], 2, v[36:37]
	v_add_u32_e32 v42, s74, v86
	v_add_co_u32_e32 v36, vcc, s20, v36
	v_ashrrev_i32_e32 v43, 31, v42
	v_addc_co_u32_e32 v37, vcc, v91, v37, vcc
	v_lshlrev_b64 v[42:43], 2, v[42:43]
	v_add_u32_e32 v48, s75, v86
	v_add_co_u32_e32 v42, vcc, s20, v42
	v_ashrrev_i32_e32 v49, 31, v48
	v_addc_co_u32_e32 v43, vcc, v91, v43, vcc
	v_lshlrev_b64 v[48:49], 2, v[48:49]
	v_add_u32_e32 v54, s25, v86
	v_add_co_u32_e32 v48, vcc, s20, v48
	v_ashrrev_i32_e32 v55, 31, v54
	v_addc_co_u32_e32 v49, vcc, v91, v49, vcc
	v_lshlrev_b64 v[54:55], 2, v[54:55]
	v_add_u32_e32 v56, s76, v86
	v_add_co_u32_e32 v54, vcc, s20, v54
	v_ashrrev_i32_e32 v57, 31, v56
	v_addc_co_u32_e32 v55, vcc, v91, v55, vcc
	v_lshlrev_b64 v[56:57], 2, v[56:57]
	v_add_u32_e32 v58, s77, v86
	v_add_co_u32_e32 v56, vcc, s20, v56
	v_ashrrev_i32_e32 v59, 31, v58
	v_addc_co_u32_e32 v57, vcc, v91, v57, vcc
	v_lshlrev_b64 v[58:59], 2, v[58:59]
	v_add_u32_e32 v60, s78, v86
	v_add_co_u32_e32 v58, vcc, s20, v58
	v_ashrrev_i32_e32 v61, 31, v60
	v_addc_co_u32_e32 v59, vcc, v91, v59, vcc
	v_lshlrev_b64 v[60:61], 2, v[60:61]
	v_add_co_u32_e32 v60, vcc, s20, v60
	v_addc_co_u32_e32 v61, vcc, v91, v61, vcc
	global_load_dword v70, v[32:33], off
	global_load_dword v71, v[36:37], off
	;; [unrolled: 1-line block ×8, first 2 shown]
	v_add_u32_e32 v32, s79, v86
	v_ashrrev_i32_e32 v33, 31, v32
	v_lshlrev_b64 v[32:33], 2, v[32:33]
	v_add_u32_e32 v36, s80, v86
	v_add_co_u32_e32 v32, vcc, s20, v32
	v_ashrrev_i32_e32 v37, 31, v36
	v_addc_co_u32_e32 v33, vcc, v91, v33, vcc
	v_lshlrev_b64 v[36:37], 2, v[36:37]
	v_add_u32_e32 v42, s81, v86
	v_add_co_u32_e32 v36, vcc, s20, v36
	v_ashrrev_i32_e32 v43, 31, v42
	v_addc_co_u32_e32 v37, vcc, v91, v37, vcc
	;; [unrolled: 5-line block ×7, first 2 shown]
	v_lshlrev_b64 v[60:61], 2, v[60:61]
	v_add_co_u32_e32 v60, vcc, s20, v60
	v_addc_co_u32_e32 v61, vcc, v91, v61, vcc
	global_load_dword v78, v[32:33], off
	global_load_dword v79, v[36:37], off
	;; [unrolled: 1-line block ×8, first 2 shown]
	v_add_u32_e32 v32, s87, v86
	v_ashrrev_i32_e32 v33, 31, v32
	v_lshlrev_b64 v[32:33], 2, v[32:33]
	v_add_u32_e32 v36, s88, v86
	v_add_co_u32_e32 v32, vcc, s20, v32
	v_ashrrev_i32_e32 v37, 31, v36
	v_addc_co_u32_e32 v33, vcc, v91, v33, vcc
	v_lshlrev_b64 v[36:37], 2, v[36:37]
	v_add_u32_e32 v42, s89, v86
	v_add_co_u32_e32 v36, vcc, s20, v36
	v_ashrrev_i32_e32 v43, 31, v42
	v_addc_co_u32_e32 v37, vcc, v91, v37, vcc
	;; [unrolled: 5-line block ×5, first 2 shown]
	v_lshlrev_b64 v[56:57], 2, v[56:57]
	v_add_co_u32_e32 v56, vcc, s20, v56
	v_addc_co_u32_e32 v57, vcc, v91, v57, vcc
	global_load_dword v95, v[32:33], off
	global_load_dword v96, v[36:37], off
	;; [unrolled: 1-line block ×6, first 2 shown]
	s_waitcnt vmcnt(55)
	ds_write_b32 v88, v20 offset:2176
	s_waitcnt vmcnt(54)
	ds_write_b32 v88, v21 offset:2440
	s_waitcnt vmcnt(53)
	ds_write_b32 v88, v22 offset:2704
	s_waitcnt vmcnt(52)
	ds_write_b32 v88, v23 offset:2968
	s_waitcnt vmcnt(51)
	ds_write_b32 v88, v24 offset:3232
	s_waitcnt vmcnt(50)
	ds_write_b32 v88, v25 offset:3496
	s_waitcnt vmcnt(49)
	ds_write_b32 v88, v28 offset:3760
	s_waitcnt vmcnt(48)
	ds_write_b32 v88, v29 offset:4024
	ds_read_b64 v[48:49], v89 offset:64
	ds_read_b64 v[42:43], v89 offset:96
	ds_read_b64 v[36:37], v89 offset:128
	ds_read_b64 v[32:33], v89 offset:160
	ds_read_b64 v[28:29], v89 offset:192
	ds_read_b64 v[24:25], v89 offset:224
	ds_read_b64 v[22:23], v89 offset:256
	ds_read_b64 v[20:21], v89 offset:288
	s_waitcnt vmcnt(47)
	ds_write_b32 v88, v26 offset:64
	s_waitcnt vmcnt(46)
	ds_write_b32 v88, v27 offset:328
	s_waitcnt vmcnt(45)
	ds_write_b32 v88, v30 offset:592
	s_waitcnt vmcnt(44)
	ds_write_b32 v88, v31 offset:856
	s_waitcnt vmcnt(43)
	ds_write_b32 v88, v34 offset:1120
	s_waitcnt vmcnt(42)
	ds_write_b32 v88, v35 offset:1384
	s_waitcnt vmcnt(41)
	ds_write_b32 v88, v38 offset:1648
	s_waitcnt vmcnt(40)
	ds_write_b32 v88, v39 offset:1912
	s_waitcnt vmcnt(39)
	ds_write_b32 v88, v40 offset:2176
	s_waitcnt vmcnt(38)
	ds_write_b32 v88, v41 offset:2440
	s_waitcnt vmcnt(37)
	ds_write_b32 v88, v46 offset:2704
	s_waitcnt vmcnt(36)
	ds_write_b32 v88, v47 offset:2968
	s_waitcnt vmcnt(35)
	ds_write_b32 v88, v50 offset:3232
	s_waitcnt vmcnt(34)
	ds_write_b32 v88, v51 offset:3496
	s_waitcnt vmcnt(33)
	ds_write_b32 v88, v52 offset:3760
	s_waitcnt vmcnt(32)
	ds_write_b32 v88, v53 offset:4024
	ds_read_b64 v[60:61], v89 offset:64
	ds_read_b64 v[56:57], v89 offset:96
	ds_read_b64 v[52:53], v89 offset:128
	ds_read_b64 v[46:47], v89 offset:160
	ds_read_b64 v[40:41], v89 offset:192
	ds_read_b64 v[34:35], v89 offset:224
	ds_read_b64 v[30:31], v89 offset:256
	ds_read_b64 v[26:27], v89 offset:288
	s_waitcnt vmcnt(31)
	ds_write_b32 v88, v44 offset:64
	s_waitcnt vmcnt(30)
	ds_write_b32 v88, v45 offset:328
	s_waitcnt vmcnt(29)
	ds_write_b32 v88, v62 offset:592
	s_waitcnt vmcnt(28)
	ds_write_b32 v88, v63 offset:856
	s_waitcnt vmcnt(27)
	ds_write_b32 v88, v64 offset:1120
	s_waitcnt vmcnt(26)
	ds_write_b32 v88, v65 offset:1384
	s_waitcnt vmcnt(25)
	ds_write_b32 v88, v66 offset:1648
	s_waitcnt vmcnt(24)
	ds_write_b32 v88, v67 offset:1912
	;; [unrolled: 40-line block ×3, first 2 shown]
	s_waitcnt vmcnt(7)
	ds_write_b32 v88, v93 offset:2176
	s_waitcnt vmcnt(6)
	ds_write_b32 v88, v94 offset:2440
	;; [unrolled: 2-line block ×8, first 2 shown]
	ds_read_b64 v[82:83], v89 offset:64
	ds_read_b64 v[80:81], v89 offset:96
	;; [unrolled: 1-line block ×8, first 2 shown]
	s_andn2_b64 vcc, exec, s[4:5]
	v_mov_b32_e32 v93, 0
	s_cbranch_vccnz .LBB91_28
; %bb.25:                               ;   in Loop: Header=BB91_24 Depth=1
	ds_read_b32 v93, v87
	s_waitcnt lgkmcnt(0)
	v_cmp_gt_i32_e32 vcc, 0, v93
	s_cbranch_vccnz .LBB91_27
; %bb.26:                               ;   in Loop: Header=BB91_24 Depth=1
	v_mul_lo_u32 v93, v93, s21
	v_add_u32_e32 v94, v86, v93
	v_ashrrev_i32_e32 v95, 31, v94
	v_lshlrev_b64 v[94:95], 2, v[94:95]
	v_mov_b32_e32 v93, s30
	v_add_co_u32_e32 v94, vcc, s27, v94
	v_addc_co_u32_e32 v95, vcc, v93, v95, vcc
	global_load_dword v93, v[94:95], off
	s_branch .LBB91_28
.LBB91_27:                              ;   in Loop: Header=BB91_24 Depth=1
	v_mov_b32_e32 v93, 0
.LBB91_28:                              ;   in Loop: Header=BB91_24 Depth=1
	s_waitcnt vmcnt(0)
	ds_write_b32 v88, v93 offset:64
	s_andn2_b64 vcc, exec, s[6:7]
	v_mov_b32_e32 v93, 0
	v_mov_b32_e32 v94, 0
	s_cbranch_vccz .LBB91_31
; %bb.29:                               ;   in Loop: Header=BB91_24 Depth=1
	s_andn2_b64 vcc, exec, s[10:11]
	ds_write_b32 v88, v94 offset:328
	s_cbranch_vccz .LBB91_34
.LBB91_30:                              ;   in Loop: Header=BB91_24 Depth=1
	ds_write_b32 v88, v93 offset:592
	s_andn2_b64 vcc, exec, s[18:19]
	v_mov_b32_e32 v93, 0
	s_cbranch_vccnz .LBB91_23
	s_branch .LBB91_37
.LBB91_31:                              ;   in Loop: Header=BB91_24 Depth=1
	ds_read_b32 v94, v87 offset:4
	s_waitcnt lgkmcnt(0)
	v_cmp_gt_i32_e32 vcc, 0, v94
	s_cbranch_vccnz .LBB91_33
; %bb.32:                               ;   in Loop: Header=BB91_24 Depth=1
	v_mul_lo_u32 v94, v94, s21
	v_add_u32_e32 v94, s16, v94
	v_add_u32_e32 v94, v94, v86
	v_ashrrev_i32_e32 v95, 31, v94
	v_lshlrev_b64 v[94:95], 2, v[94:95]
	v_mov_b32_e32 v96, s30
	v_add_co_u32_e32 v94, vcc, s27, v94
	v_addc_co_u32_e32 v95, vcc, v96, v95, vcc
	global_load_dword v94, v[94:95], off
	s_andn2_b64 vcc, exec, s[10:11]
	s_waitcnt vmcnt(0)
	ds_write_b32 v88, v94 offset:328
	s_cbranch_vccnz .LBB91_30
	s_branch .LBB91_34
.LBB91_33:                              ;   in Loop: Header=BB91_24 Depth=1
	v_mov_b32_e32 v94, 0
	s_andn2_b64 vcc, exec, s[10:11]
	ds_write_b32 v88, v94 offset:328
	s_cbranch_vccnz .LBB91_30
.LBB91_34:                              ;   in Loop: Header=BB91_24 Depth=1
	ds_read_b32 v93, v87 offset:8
	s_waitcnt lgkmcnt(0)
	v_cmp_gt_i32_e32 vcc, 0, v93
	s_cbranch_vccnz .LBB91_36
; %bb.35:                               ;   in Loop: Header=BB91_24 Depth=1
	v_mul_lo_u32 v93, v93, s21
	v_add_u32_e32 v93, s31, v93
	v_add_u32_e32 v94, v93, v86
	v_ashrrev_i32_e32 v95, 31, v94
	v_lshlrev_b64 v[94:95], 2, v[94:95]
	v_mov_b32_e32 v93, s30
	v_add_co_u32_e32 v94, vcc, s27, v94
	v_addc_co_u32_e32 v95, vcc, v93, v95, vcc
	global_load_dword v93, v[94:95], off
	s_waitcnt vmcnt(0)
	ds_write_b32 v88, v93 offset:592
	s_andn2_b64 vcc, exec, s[18:19]
	v_mov_b32_e32 v93, 0
	s_cbranch_vccnz .LBB91_23
	s_branch .LBB91_37
.LBB91_36:                              ;   in Loop: Header=BB91_24 Depth=1
	v_mov_b32_e32 v93, 0
	ds_write_b32 v88, v93 offset:592
	s_andn2_b64 vcc, exec, s[18:19]
	v_mov_b32_e32 v93, 0
	s_cbranch_vccnz .LBB91_23
.LBB91_37:                              ;   in Loop: Header=BB91_24 Depth=1
	ds_read_b32 v93, v87 offset:12
	s_waitcnt lgkmcnt(0)
	v_cmp_gt_i32_e32 vcc, 0, v93
	s_cbranch_vccz .LBB91_22
; %bb.38:                               ;   in Loop: Header=BB91_24 Depth=1
	v_mov_b32_e32 v93, 0
	s_branch .LBB91_23
.LBB91_39:
	s_or_b64 exec, exec, s[14:15]
.LBB91_40:
	s_or_b64 exec, exec, s[0:1]
	v_mul_u32_u24_e32 v18, 0x608, v85
	s_movk_i32 s4, 0x100
	v_lshlrev_b32_e32 v19, 2, v84
	v_add3_u32 v18, s4, v18, v19
	v_and_b32_e32 v20, 0x3f0, v16
	v_add_u32_e32 v21, v18, v20
	s_barrier
	v_add_u32_e32 v19, 64, v18
	ds_write2_b32 v21, v8, v9 offset0:16 offset1:17
	v_or_b32_e32 v9, 12, v16
	v_add_u32_e32 v8, v19, v20
	v_and_b32_e32 v9, 0x3fc, v9
	ds_write_b32 v8, v10 offset:8
	v_add_u32_e32 v10, v18, v9
	ds_write_b32 v10, v11 offset:64
	ds_write2_b32 v8, v4, v5 offset0:16 offset1:17
	ds_write_b32 v8, v6 offset:72
	v_add_u32_e32 v4, v19, v9
	v_cmp_gt_u32_e32 vcc, 4, v17
	ds_write_b32 v4, v7 offset:64
	ds_write2_b32 v8, v0, v1 offset0:32 offset1:33
	ds_write_b32 v8, v2 offset:136
	ds_write_b32 v4, v3 offset:128
	ds_write2_b32 v8, v12, v13 offset0:48 offset1:49
	ds_write_b32 v8, v14 offset:200
	ds_write_b32 v4, v15 offset:192
	s_waitcnt lgkmcnt(0)
	s_barrier
	s_and_saveexec_b64 s[0:1], vcc
	s_cbranch_execz .LBB91_43
; %bb.41:
	v_mov_b32_e32 v0, 0x100
	v_lshl_add_u32 v0, v17, 2, v0
	ds_read_b32 v0, v0
	v_or_b32_e32 v1, s9, v17
	v_cmp_gt_i32_e64 s[0:1], s13, v1
	s_waitcnt lgkmcnt(0)
	v_cmp_lt_i32_e32 vcc, -1, v0
	s_and_b64 s[0:1], vcc, s[0:1]
	s_and_b64 exec, exec, s[0:1]
	s_cbranch_execz .LBB91_43
; %bb.42:
	v_lshlrev_b32_e32 v2, 2, v16
	v_mul_u32_u24_e32 v3, 0x608, v17
	v_add3_u32 v6, s4, v2, v3
	ds_read2_b32 v[2:3], v6 offset0:16 offset1:80
	ds_read2_b32 v[4:5], v6 offset0:144 offset1:208
	s_mul_hi_i32 s1, s26, s8
	s_mul_i32 s0, s26, s8
	v_add_u32_e32 v6, 64, v6
	s_lshl_b64 s[0:1], s[0:1], 2
	ds_read2st64_b32 v[6:7], v6 offset0:4 offset1:5
	s_mul_hi_i32 s7, s9, s17
	s_mul_i32 s6, s9, s17
	s_add_u32 s2, s2, s0
	s_waitcnt lgkmcnt(2)
	v_add_f32_e32 v2, 0, v2
	v_add_u32_e32 v1, s23, v16
	s_addc_u32 s3, s3, s1
	s_lshl_b64 s[0:1], s[6:7], 2
	v_add_f32_e32 v2, v2, v3
	v_mul_lo_u32 v0, v0, s22
	v_mul_lo_u32 v3, v17, s17
	s_add_u32 s0, s2, s0
	s_waitcnt lgkmcnt(1)
	v_add_f32_e32 v2, v2, v4
	v_add3_u32 v0, v1, v3, v0
	v_mov_b32_e32 v1, 0
	s_addc_u32 s1, s3, s1
	v_add_f32_e32 v2, v2, v5
	v_lshlrev_b64 v[0:1], 2, v[0:1]
	s_waitcnt lgkmcnt(0)
	v_add_f32_e32 v2, v2, v6
	v_mov_b32_e32 v3, s1
	v_add_co_u32_e32 v0, vcc, s0, v0
	v_add_f32_e32 v2, v2, v7
	v_addc_co_u32_e32 v1, vcc, v3, v1, vcc
	global_store_dword v[0:1], v2, off
.LBB91_43:
	s_endpgm
	.section	.rodata,"a",@progbits
	.p2align	6, 0x0
	.amdhsa_kernel _ZL9mul_mat_fIfLi64ELi4ELi6ELb1EEvPKT_PKfPKiPfiiiiiiiiiiiiiiii
		.amdhsa_group_segment_fixed_size 256
		.amdhsa_private_segment_fixed_size 0
		.amdhsa_kernarg_size 352
		.amdhsa_user_sgpr_count 6
		.amdhsa_user_sgpr_private_segment_buffer 1
		.amdhsa_user_sgpr_dispatch_ptr 0
		.amdhsa_user_sgpr_queue_ptr 0
		.amdhsa_user_sgpr_kernarg_segment_ptr 1
		.amdhsa_user_sgpr_dispatch_id 0
		.amdhsa_user_sgpr_flat_scratch_init 0
		.amdhsa_user_sgpr_kernarg_preload_length 0
		.amdhsa_user_sgpr_kernarg_preload_offset 0
		.amdhsa_user_sgpr_private_segment_size 0
		.amdhsa_uses_dynamic_stack 0
		.amdhsa_system_sgpr_private_segment_wavefront_offset 0
		.amdhsa_system_sgpr_workgroup_id_x 1
		.amdhsa_system_sgpr_workgroup_id_y 1
		.amdhsa_system_sgpr_workgroup_id_z 1
		.amdhsa_system_sgpr_workgroup_info 0
		.amdhsa_system_vgpr_workitem_id 2
		.amdhsa_next_free_vgpr 101
		.amdhsa_next_free_sgpr 93
		.amdhsa_accum_offset 104
		.amdhsa_reserve_vcc 1
		.amdhsa_reserve_flat_scratch 0
		.amdhsa_float_round_mode_32 0
		.amdhsa_float_round_mode_16_64 0
		.amdhsa_float_denorm_mode_32 3
		.amdhsa_float_denorm_mode_16_64 3
		.amdhsa_dx10_clamp 1
		.amdhsa_ieee_mode 1
		.amdhsa_fp16_overflow 0
		.amdhsa_tg_split 0
		.amdhsa_exception_fp_ieee_invalid_op 0
		.amdhsa_exception_fp_denorm_src 0
		.amdhsa_exception_fp_ieee_div_zero 0
		.amdhsa_exception_fp_ieee_overflow 0
		.amdhsa_exception_fp_ieee_underflow 0
		.amdhsa_exception_fp_ieee_inexact 0
		.amdhsa_exception_int_div_zero 0
	.end_amdhsa_kernel
	.section	.text._ZL9mul_mat_fIfLi64ELi4ELi6ELb1EEvPKT_PKfPKiPfiiiiiiiiiiiiiiii,"axG",@progbits,_ZL9mul_mat_fIfLi64ELi4ELi6ELb1EEvPKT_PKfPKiPfiiiiiiiiiiiiiiii,comdat
.Lfunc_end91:
	.size	_ZL9mul_mat_fIfLi64ELi4ELi6ELb1EEvPKT_PKfPKiPfiiiiiiiiiiiiiiii, .Lfunc_end91-_ZL9mul_mat_fIfLi64ELi4ELi6ELb1EEvPKT_PKfPKiPfiiiiiiiiiiiiiiii
                                        ; -- End function
	.section	.AMDGPU.csdata,"",@progbits
; Kernel info:
; codeLenInByte = 6460
; NumSgprs: 97
; NumVgprs: 101
; NumAgprs: 0
; TotalNumVgprs: 101
; ScratchSize: 0
; MemoryBound: 0
; FloatMode: 240
; IeeeMode: 1
; LDSByteSize: 256 bytes/workgroup (compile time only)
; SGPRBlocks: 12
; VGPRBlocks: 12
; NumSGPRsForWavesPerEU: 97
; NumVGPRsForWavesPerEU: 101
; AccumOffset: 104
; Occupancy: 4
; WaveLimiterHint : 0
; COMPUTE_PGM_RSRC2:SCRATCH_EN: 0
; COMPUTE_PGM_RSRC2:USER_SGPR: 6
; COMPUTE_PGM_RSRC2:TRAP_HANDLER: 0
; COMPUTE_PGM_RSRC2:TGID_X_EN: 1
; COMPUTE_PGM_RSRC2:TGID_Y_EN: 1
; COMPUTE_PGM_RSRC2:TGID_Z_EN: 1
; COMPUTE_PGM_RSRC2:TIDIG_COMP_CNT: 2
; COMPUTE_PGM_RSRC3_GFX90A:ACCUM_OFFSET: 25
; COMPUTE_PGM_RSRC3_GFX90A:TG_SPLIT: 0
	.section	.text._ZL9mul_mat_fIfLi64ELi4ELi6ELb0EEvPKT_PKfPKiPfiiiiiiiiiiiiiiii,"axG",@progbits,_ZL9mul_mat_fIfLi64ELi4ELi6ELb0EEvPKT_PKfPKiPfiiiiiiiiiiiiiiii,comdat
	.globl	_ZL9mul_mat_fIfLi64ELi4ELi6ELb0EEvPKT_PKfPKiPfiiiiiiiiiiiiiiii ; -- Begin function _ZL9mul_mat_fIfLi64ELi4ELi6ELb0EEvPKT_PKfPKiPfiiiiiiiiiiiiiiii
	.p2align	8
	.type	_ZL9mul_mat_fIfLi64ELi4ELi6ELb0EEvPKT_PKfPKiPfiiiiiiiiiiiiiiii,@function
_ZL9mul_mat_fIfLi64ELi4ELi6ELb0EEvPKT_PKfPKiPfiiiiiiiiiiiiiiii: ; @_ZL9mul_mat_fIfLi64ELi4ELi6ELb0EEvPKT_PKfPKiPfiiiiiiiiiiiiiiii
; %bb.0:
	s_load_dwordx8 s[12:19], s[4:5], 0x40
	s_load_dword s9, s[4:5], 0x20
	s_load_dwordx4 s[0:3], s[4:5], 0x2c
	v_bfe_u32 v25, v0, 10, 10
	v_lshlrev_b32_e32 v91, 6, v25
	v_and_b32_e32 v90, 0x3ff, v0
	s_waitcnt lgkmcnt(0)
	s_abs_i32 s27, s12
	s_abs_i32 s26, s16
	v_cvt_f32_u32_e32 v1, s27
	v_cvt_f32_u32_e32 v2, s26
	v_add_u32_e32 v93, v91, v90
	s_mov_b32 s22, 0
	v_rcp_iflag_f32_e32 v1, v1
	v_rcp_iflag_f32_e32 v2, v2
	s_ashr_i32 s28, s8, 31
	v_cmp_le_i32_e32 vcc, s9, v93
	v_mul_f32_e32 v1, 0x4f7ffffe, v1
	v_mul_f32_e32 v2, 0x4f7ffffe, v2
	v_cvt_u32_f32_e32 v1, v1
	v_cvt_u32_f32_e32 v2, v2
	v_and_b32_e32 v92, 15, v90
	v_readfirstlane_b32 s21, v1
	v_readfirstlane_b32 s20, v2
	s_and_saveexec_b64 s[10:11], vcc
	s_xor_b64 s[10:11], exec, s[10:11]
; %bb.1:
	v_and_b32_e32 v92, 15, v90
                                        ; implicit-def: $vgpr93
; %bb.2:
	s_or_saveexec_b64 s[24:25], s[10:11]
	s_load_dwordx2 s[10:11], s[4:5], 0x18
	s_lshl_b32 s3, s6, 6
	v_mov_b32_e32 v3, s22
	v_lshlrev_b32_e32 v16, 2, v90
	v_mov_b32_e32 v2, s22
	v_mov_b32_e32 v1, s22
	;; [unrolled: 1-line block ×15, first 2 shown]
	s_xor_b64 exec, exec, s[24:25]
	s_cbranch_execz .LBB92_6
; %bb.3:
	s_sub_i32 s6, 0, s27
	s_sub_i32 s22, 0, s26
	s_mul_i32 s6, s6, s21
	s_mul_i32 s22, s22, s20
	s_mul_hi_u32 s6, s21, s6
	s_mul_hi_u32 s22, s20, s22
	s_abs_i32 s29, s7
	s_add_i32 s6, s21, s6
	s_add_i32 s31, s20, s22
	s_load_dwordx4 s[20:23], s[4:5], 0x0
	s_mul_hi_u32 s4, s29, s6
	s_ashr_i32 s6, s7, 31
	s_ashr_i32 s12, s12, 31
	s_xor_b32 s6, s6, s12
	s_mul_i32 s12, s4, s27
	s_abs_i32 s30, s8
	s_sub_i32 s12, s29, s12
	s_mul_hi_u32 s5, s30, s31
	s_ashr_i32 s16, s16, 31
	s_add_i32 s29, s4, 1
	s_sub_i32 s31, s12, s27
	s_cmp_ge_u32 s12, s27
	s_cselect_b32 s4, s29, s4
	s_cselect_b32 s12, s31, s12
	s_add_i32 s29, s4, 1
	s_cmp_ge_u32 s12, s27
	s_cselect_b32 s4, s29, s4
	s_mul_i32 s12, s5, s26
	s_xor_b32 s4, s4, s6
	s_sub_i32 s12, s30, s12
	s_sub_i32 s6, s4, s6
	s_xor_b32 s4, s28, s16
	s_add_i32 s16, s5, 1
	s_sub_i32 s27, s12, s26
	s_cmp_ge_u32 s12, s26
	s_cselect_b32 s5, s16, s5
	s_cselect_b32 s12, s27, s12
	s_add_i32 s16, s5, 1
	s_cmp_ge_u32 s12, s26
	s_cselect_b32 s5, s16, s5
	s_xor_b32 s5, s5, s4
	s_sub_i32 s4, s5, s4
	s_mul_i32 s12, s6, s13
	s_mul_i32 s16, s3, s0
	s_mul_hi_i32 s5, s4, s17
	s_mul_i32 s4, s4, s17
	s_ashr_i32 s13, s12, 31
	s_ashr_i32 s17, s16, 31
	s_lshl_b64 s[30:31], s[4:5], 2
	s_lshl_b64 s[4:5], s[16:17], 2
	;; [unrolled: 1-line block ×3, first 2 shown]
	s_waitcnt lgkmcnt(0)
	s_add_u32 s6, s20, s12
	s_addc_u32 s12, s21, s13
	s_add_u32 s6, s6, s4
	s_mul_i32 s28, s7, s14
	s_addc_u32 s14, s12, s5
	s_add_u32 s4, s6, s30
	s_mul_hi_i32 s27, s18, s8
	s_mul_i32 s26, s18, s8
	s_addc_u32 s73, s14, s31
	s_ashr_i32 s29, s28, 31
	s_lshl_b64 s[12:13], s[26:27], 2
	s_lshl_b64 s[16:17], s[28:29], 2
	s_add_u32 s18, s22, s16
	s_addc_u32 s22, s23, s17
	s_add_u32 s5, s18, s12
	s_movk_i32 s16, 0x1080
	v_lshrrev_b32_e32 v2, 1, v90
	s_addc_u32 s74, s22, s13
	v_mad_u32_u24 v0, v25, s16, 0
	v_mul_u32_u24_e32 v1, 0x108, v92
	v_and_b32_e32 v2, 0x1f8, v2
	s_ashr_i32 s17, s0, 31
	s_mov_b32 s16, s0
	v_add_u32_e32 v94, v0, v16
	v_add3_u32 v95, v0, v1, v2
	s_ashr_i32 s21, s1, 31
	v_lshlrev_b32_e32 v0, 8, v25
	s_lshl_b64 s[16:17], s[16:17], 2
	v_mov_b32_e32 v1, s31
	v_add_co_u32_e32 v2, vcc, s30, v0
	s_add_u32 s16, s6, s16
	v_addc_co_u32_e32 v1, vcc, 0, v1, vcc
	s_addc_u32 s17, s14, s17
	v_mov_b32_e32 v3, s17
	v_add_co_u32_e32 v18, vcc, s16, v2
	v_addc_co_u32_e32 v17, vcc, v3, v1, vcc
	v_mov_b32_e32 v3, s14
	v_add_co_u32_e32 v20, vcc, s6, v2
	s_mov_b32 s20, s1
	v_addc_co_u32_e32 v19, vcc, v3, v1, vcc
	v_mov_b32_e32 v1, s13
	v_add_co_u32_e32 v0, vcc, s12, v0
	s_lshl_b64 s[12:13], s[20:21], 2
	s_add_u32 s6, s18, s12
	v_addc_co_u32_e32 v1, vcc, 0, v1, vcc
	s_addc_u32 s12, s22, s13
	v_mov_b32_e32 v2, s12
	v_add_co_u32_e32 v22, vcc, s6, v0
	v_addc_co_u32_e32 v21, vcc, v2, v1, vcc
	v_mov_b32_e32 v96, 0
	v_mov_b32_e32 v2, s22
	v_add_co_u32_e32 v24, vcc, s18, v0
	v_addc_co_u32_e32 v23, vcc, v2, v1, vcc
	s_lshl_b32 s6, s1, 1
	s_mul_i32 s12, s1, 3
	s_lshl_b32 s13, s0, 1
	s_mul_i32 s14, s0, 3
	;; [unrolled: 2-line block ×3, first 2 shown]
	s_mul_i32 s18, s0, 6
	s_mul_i32 s20, s0, 7
	s_lshl_b32 s21, s0, 3
	s_mul_i32 s22, s0, 9
	s_mul_i32 s23, s0, 10
	;; [unrolled: 1-line block ×7, first 2 shown]
	s_lshl_b32 s31, s0, 4
	s_mul_i32 s33, s0, 17
	s_mul_i32 s34, s0, 18
	;; [unrolled: 1-line block ×15, first 2 shown]
	s_lshl_b32 s48, s0, 5
	s_mul_i32 s49, s0, 33
	s_mul_i32 s50, s0, 34
	;; [unrolled: 1-line block ×24, first 2 shown]
	v_mov_b32_e32 v97, s73
	s_mul_i32 s73, s0, 57
	v_mov_b32_e32 v98, s74
	s_mul_i32 s74, s0, 58
	v_mov_b32_e32 v4, 0
	v_mov_b32_e32 v5, v96
	;; [unrolled: 1-line block ×16, first 2 shown]
	s_mul_i32 s75, s0, 59
	s_mul_i32 s76, s0, 60
	;; [unrolled: 1-line block ×5, first 2 shown]
	s_movk_i32 s80, 0x600
	s_mov_b64 s[0:1], 0
.LBB92_4:                               ; =>This Inner Loop Header: Depth=1
	v_add_co_u32_e32 v26, vcc, v20, v16
	v_addc_co_u32_e32 v27, vcc, 0, v19, vcc
	global_load_dword v26, v[26:27], off
	v_add_u32_e32 v42, s31, v93
	v_ashrrev_i32_e32 v43, 31, v42
	v_lshlrev_b64 v[42:43], 2, v[42:43]
	v_add_u32_e32 v58, s48, v93
	v_ashrrev_i32_e32 v59, 31, v58
	v_lshlrev_b64 v[58:59], 2, v[58:59]
	;; [unrolled: 3-line block ×3, first 2 shown]
	s_waitcnt vmcnt(0)
	ds_write_b32 v94, v26
	v_add_co_u32_e32 v26, vcc, v18, v16
	v_addc_co_u32_e32 v27, vcc, 0, v17, vcc
	global_load_dword v26, v[26:27], off
	s_waitcnt vmcnt(0)
	ds_write_b32 v94, v26 offset:264
	v_add_u32_e32 v26, s13, v93
	v_ashrrev_i32_e32 v27, 31, v26
	v_lshlrev_b64 v[26:27], 2, v[26:27]
	v_add_co_u32_e32 v26, vcc, s4, v26
	v_addc_co_u32_e32 v27, vcc, v97, v27, vcc
	global_load_dword v26, v[26:27], off
	s_waitcnt vmcnt(0)
	ds_write_b32 v94, v26 offset:528
	v_add_u32_e32 v26, s14, v93
	v_ashrrev_i32_e32 v27, 31, v26
	v_lshlrev_b64 v[26:27], 2, v[26:27]
	;; [unrolled: 8-line block ×14, first 2 shown]
	v_add_co_u32_e32 v26, vcc, s4, v26
	v_addc_co_u32_e32 v27, vcc, v97, v27, vcc
	global_load_dword v26, v[26:27], off
	v_add_co_u32_e32 v42, vcc, s4, v42
	v_addc_co_u32_e32 v43, vcc, v97, v43, vcc
	s_waitcnt vmcnt(0)
	ds_write_b32 v94, v26 offset:3960
	ds_read_b64 v[40:41], v95
	ds_read_b64 v[38:39], v95 offset:32
	ds_read_b64 v[36:37], v95 offset:64
	ds_read_b64 v[34:35], v95 offset:96
	ds_read_b64 v[32:33], v95 offset:128
	ds_read_b64 v[30:31], v95 offset:160
	ds_read_b64 v[28:29], v95 offset:192
	ds_read_b64 v[26:27], v95 offset:224
	global_load_dword v42, v[42:43], off
	s_waitcnt vmcnt(0)
	ds_write_b32 v94, v42
	v_add_u32_e32 v42, s33, v93
	v_ashrrev_i32_e32 v43, 31, v42
	v_lshlrev_b64 v[42:43], 2, v[42:43]
	v_add_co_u32_e32 v42, vcc, s4, v42
	v_addc_co_u32_e32 v43, vcc, v97, v43, vcc
	global_load_dword v42, v[42:43], off
	s_waitcnt vmcnt(0)
	ds_write_b32 v94, v42 offset:264
	v_add_u32_e32 v42, s34, v93
	v_ashrrev_i32_e32 v43, 31, v42
	v_lshlrev_b64 v[42:43], 2, v[42:43]
	v_add_co_u32_e32 v42, vcc, s4, v42
	v_addc_co_u32_e32 v43, vcc, v97, v43, vcc
	global_load_dword v42, v[42:43], off
	s_waitcnt vmcnt(0)
	ds_write_b32 v94, v42 offset:528
	;; [unrolled: 8-line block ×14, first 2 shown]
	v_add_u32_e32 v42, s47, v93
	v_ashrrev_i32_e32 v43, 31, v42
	v_lshlrev_b64 v[42:43], 2, v[42:43]
	v_add_co_u32_e32 v42, vcc, s4, v42
	v_addc_co_u32_e32 v43, vcc, v97, v43, vcc
	global_load_dword v42, v[42:43], off
	v_add_co_u32_e32 v58, vcc, s4, v58
	v_addc_co_u32_e32 v59, vcc, v97, v59, vcc
	s_waitcnt vmcnt(0)
	ds_write_b32 v94, v42 offset:3960
	ds_read_b64 v[56:57], v95
	ds_read_b64 v[54:55], v95 offset:32
	ds_read_b64 v[52:53], v95 offset:64
	;; [unrolled: 1-line block ×7, first 2 shown]
	global_load_dword v58, v[58:59], off
	s_waitcnt vmcnt(0)
	ds_write_b32 v94, v58
	v_add_u32_e32 v58, s49, v93
	v_ashrrev_i32_e32 v59, 31, v58
	v_lshlrev_b64 v[58:59], 2, v[58:59]
	v_add_co_u32_e32 v58, vcc, s4, v58
	v_addc_co_u32_e32 v59, vcc, v97, v59, vcc
	global_load_dword v58, v[58:59], off
	s_waitcnt vmcnt(0)
	ds_write_b32 v94, v58 offset:264
	v_add_u32_e32 v58, s50, v93
	v_ashrrev_i32_e32 v59, 31, v58
	v_lshlrev_b64 v[58:59], 2, v[58:59]
	v_add_co_u32_e32 v58, vcc, s4, v58
	v_addc_co_u32_e32 v59, vcc, v97, v59, vcc
	global_load_dword v58, v[58:59], off
	s_waitcnt vmcnt(0)
	ds_write_b32 v94, v58 offset:528
	;; [unrolled: 8-line block ×14, first 2 shown]
	v_add_u32_e32 v58, s63, v93
	v_ashrrev_i32_e32 v59, 31, v58
	v_lshlrev_b64 v[58:59], 2, v[58:59]
	v_add_co_u32_e32 v58, vcc, s4, v58
	v_addc_co_u32_e32 v59, vcc, v97, v59, vcc
	global_load_dword v58, v[58:59], off
	v_add_co_u32_e32 v74, vcc, s4, v74
	v_addc_co_u32_e32 v75, vcc, v97, v75, vcc
	s_waitcnt vmcnt(0)
	ds_write_b32 v94, v58 offset:3960
	ds_read_b64 v[72:73], v95
	ds_read_b64 v[70:71], v95 offset:32
	ds_read_b64 v[68:69], v95 offset:64
	;; [unrolled: 1-line block ×7, first 2 shown]
	global_load_dword v74, v[74:75], off
	s_waitcnt vmcnt(0)
	ds_write_b32 v94, v74
	v_add_u32_e32 v74, s65, v93
	v_ashrrev_i32_e32 v75, 31, v74
	v_lshlrev_b64 v[74:75], 2, v[74:75]
	v_add_co_u32_e32 v74, vcc, s4, v74
	v_addc_co_u32_e32 v75, vcc, v97, v75, vcc
	global_load_dword v74, v[74:75], off
	s_waitcnt vmcnt(0)
	ds_write_b32 v94, v74 offset:264
	v_add_u32_e32 v74, s66, v93
	v_ashrrev_i32_e32 v75, 31, v74
	v_lshlrev_b64 v[74:75], 2, v[74:75]
	v_add_co_u32_e32 v74, vcc, s4, v74
	v_addc_co_u32_e32 v75, vcc, v97, v75, vcc
	global_load_dword v74, v[74:75], off
	s_waitcnt vmcnt(0)
	ds_write_b32 v94, v74 offset:528
	;; [unrolled: 8-line block ×14, first 2 shown]
	v_add_u32_e32 v74, s79, v93
	v_ashrrev_i32_e32 v75, 31, v74
	v_lshlrev_b64 v[74:75], 2, v[74:75]
	v_add_co_u32_e32 v74, vcc, s4, v74
	v_addc_co_u32_e32 v75, vcc, v97, v75, vcc
	global_load_dword v74, v[74:75], off
	v_add_co_u32_e32 v100, vcc, v24, v16
	v_addc_co_u32_e32 v101, vcc, 0, v23, vcc
	s_waitcnt vmcnt(0)
	ds_write_b32 v94, v74 offset:3960
	ds_read_b64 v[88:89], v95
	ds_read_b64 v[86:87], v95 offset:32
	ds_read_b64 v[84:85], v95 offset:64
	;; [unrolled: 1-line block ×7, first 2 shown]
	global_load_dword v99, v[100:101], off
	v_add_co_u32_e32 v100, vcc, v22, v16
	v_addc_co_u32_e32 v101, vcc, 0, v21, vcc
	s_waitcnt vmcnt(0)
	ds_write_b32 v94, v99
	global_load_dword v99, v[100:101], off
	v_add_u32_e32 v100, s6, v93
	v_ashrrev_i32_e32 v101, 31, v100
	v_lshlrev_b64 v[100:101], 2, v[100:101]
	v_add_co_u32_e32 v100, vcc, s5, v100
	v_addc_co_u32_e32 v101, vcc, v98, v101, vcc
	s_waitcnt vmcnt(0)
	ds_write_b32 v94, v99 offset:264
	global_load_dword v99, v[100:101], off
	v_add_u32_e32 v100, s12, v93
	v_ashrrev_i32_e32 v101, 31, v100
	v_lshlrev_b64 v[100:101], 2, v[100:101]
	v_add_co_u32_e32 v100, vcc, s5, v100
	v_addc_co_u32_e32 v101, vcc, v98, v101, vcc
	v_add_co_u32_e32 v18, vcc, s80, v18
	v_addc_co_u32_e32 v17, vcc, 0, v17, vcc
	;; [unrolled: 2-line block ×4, first 2 shown]
	v_add_co_u32_e32 v24, vcc, 0x600, v24
	v_add_u32_e32 v93, 0x180, v93
	v_addc_co_u32_e32 v23, vcc, 0, v23, vcc
	v_cmp_le_i32_e32 vcc, s9, v93
	s_or_b64 s[0:1], vcc, s[0:1]
	s_waitcnt vmcnt(0)
	ds_write_b32 v94, v99 offset:528
	global_load_dword v99, v[100:101], off
	s_waitcnt vmcnt(0)
	ds_write_b32 v94, v99 offset:792
	ds_write_b32 v94, v96 offset:1056
	;; [unrolled: 1-line block ×13, first 2 shown]
	ds_read_b64 v[100:101], v95
	ds_read_b64 v[102:103], v95 offset:32
	s_waitcnt lgkmcnt(1)
	v_mfma_f32_16x16x4f32 v[0:3], v40, v100, v[0:3]
	v_mfma_f32_16x16x4f32 v[12:15], v56, v100, v[12:15]
	;; [unrolled: 1-line block ×8, first 2 shown]
	s_waitcnt lgkmcnt(0)
	v_mfma_f32_16x16x4f32 v[0:3], v38, v102, v[0:3]
	v_mfma_f32_16x16x4f32 v[12:15], v54, v102, v[12:15]
	v_mfma_f32_16x16x4f32 v[8:11], v70, v102, v[8:11]
	v_mfma_f32_16x16x4f32 v[4:7], v86, v102, v[4:7]
	v_mfma_f32_16x16x4f32 v[0:3], v39, v103, v[0:3]
	ds_read_b64 v[38:39], v95 offset:64
	v_mfma_f32_16x16x4f32 v[12:15], v55, v103, v[12:15]
	v_mfma_f32_16x16x4f32 v[8:11], v71, v103, v[8:11]
	v_mfma_f32_16x16x4f32 v[4:7], v87, v103, v[4:7]
	s_waitcnt lgkmcnt(0)
	v_mfma_f32_16x16x4f32 v[0:3], v36, v38, v[0:3]
	v_mfma_f32_16x16x4f32 v[12:15], v52, v38, v[12:15]
	v_mfma_f32_16x16x4f32 v[8:11], v68, v38, v[8:11]
	v_mfma_f32_16x16x4f32 v[4:7], v84, v38, v[4:7]
	v_mfma_f32_16x16x4f32 v[0:3], v37, v39, v[0:3]
	ds_read_b64 v[36:37], v95 offset:96
	v_mfma_f32_16x16x4f32 v[12:15], v53, v39, v[12:15]
	v_mfma_f32_16x16x4f32 v[8:11], v69, v39, v[8:11]
	v_mfma_f32_16x16x4f32 v[4:7], v85, v39, v[4:7]
	;; [unrolled: 10-line block ×6, first 2 shown]
	s_waitcnt lgkmcnt(0)
	v_mfma_f32_16x16x4f32 v[0:3], v26, v28, v[0:3]
	v_mfma_f32_16x16x4f32 v[12:15], v42, v28, v[12:15]
	;; [unrolled: 1-line block ×8, first 2 shown]
	s_andn2_b64 exec, exec, s[0:1]
	s_cbranch_execnz .LBB92_4
; %bb.5:
	s_or_b64 exec, exec, s[0:1]
.LBB92_6:
	s_or_b64 exec, exec, s[24:25]
	v_mul_u32_u24_e32 v17, 0x608, v92
	v_lshlrev_b32_e32 v18, 2, v91
	v_add3_u32 v17, 0, v17, v18
	v_and_b32_e32 v18, 0x3f0, v90
	v_add_u32_e32 v18, v17, v18
	s_waitcnt lgkmcnt(0)
	s_barrier
	ds_write2_b32 v18, v0, v1 offset1:1
	ds_write_b32 v18, v2 offset:8
	v_or_b32_e32 v0, 12, v90
	v_and_b32_e32 v0, 0x3fc, v0
	v_add_u32_e32 v0, v17, v0
	v_cmp_gt_u32_e32 vcc, 4, v25
	ds_write_b32 v0, v3
	ds_write2_b32 v18, v12, v13 offset0:16 offset1:17
	ds_write_b32 v18, v14 offset:72
	ds_write_b32 v0, v15 offset:64
	ds_write2_b32 v18, v8, v9 offset0:32 offset1:33
	ds_write_b32 v18, v10 offset:136
	ds_write_b32 v0, v11 offset:128
	;; [unrolled: 3-line block ×3, first 2 shown]
	s_waitcnt lgkmcnt(0)
	s_barrier
	s_and_saveexec_b64 s[0:1], vcc
	s_cbranch_execz .LBB92_8
; %bb.7:
	v_mul_u32_u24_e32 v0, 0x608, v25
	v_add3_u32 v4, 0, v16, v0
	ds_read2st64_b32 v[0:1], v4 offset1:1
	ds_read2st64_b32 v[2:3], v4 offset0:2 offset1:3
	ds_read2st64_b32 v[4:5], v4 offset0:4 offset1:5
	s_mul_hi_i32 s1, s19, s8
	s_mul_i32 s0, s19, s8
	s_waitcnt lgkmcnt(2)
	v_add_f32_e32 v0, 0, v0
	v_add_f32_e32 v0, v0, v1
	s_lshl_b64 s[0:1], s[0:1], 2
	s_waitcnt lgkmcnt(1)
	v_add_f32_e32 v0, v0, v2
	s_mul_i32 s4, s7, s15
	s_add_u32 s6, s10, s0
	v_add_f32_e32 v0, v0, v3
	s_addc_u32 s7, s11, s1
	s_ashr_i32 s5, s4, 31
	s_waitcnt lgkmcnt(0)
	v_add_f32_e32 v0, v0, v4
	s_lshl_b64 s[0:1], s[4:5], 2
	v_add_f32_e32 v2, v0, v5
	v_mul_lo_u32 v0, v25, s2
	s_add_u32 s0, s6, s0
	v_add3_u32 v0, s3, v90, v0
	v_mov_b32_e32 v1, 0
	s_addc_u32 s1, s7, s1
	v_lshlrev_b64 v[0:1], 2, v[0:1]
	v_mov_b32_e32 v3, s1
	v_add_co_u32_e32 v0, vcc, s0, v0
	v_addc_co_u32_e32 v1, vcc, v3, v1, vcc
	global_store_dword v[0:1], v2, off
.LBB92_8:
	s_endpgm
	.section	.rodata,"a",@progbits
	.p2align	6, 0x0
	.amdhsa_kernel _ZL9mul_mat_fIfLi64ELi4ELi6ELb0EEvPKT_PKfPKiPfiiiiiiiiiiiiiiii
		.amdhsa_group_segment_fixed_size 0
		.amdhsa_private_segment_fixed_size 0
		.amdhsa_kernarg_size 96
		.amdhsa_user_sgpr_count 6
		.amdhsa_user_sgpr_private_segment_buffer 1
		.amdhsa_user_sgpr_dispatch_ptr 0
		.amdhsa_user_sgpr_queue_ptr 0
		.amdhsa_user_sgpr_kernarg_segment_ptr 1
		.amdhsa_user_sgpr_dispatch_id 0
		.amdhsa_user_sgpr_flat_scratch_init 0
		.amdhsa_user_sgpr_kernarg_preload_length 0
		.amdhsa_user_sgpr_kernarg_preload_offset 0
		.amdhsa_user_sgpr_private_segment_size 0
		.amdhsa_uses_dynamic_stack 0
		.amdhsa_system_sgpr_private_segment_wavefront_offset 0
		.amdhsa_system_sgpr_workgroup_id_x 1
		.amdhsa_system_sgpr_workgroup_id_y 1
		.amdhsa_system_sgpr_workgroup_id_z 1
		.amdhsa_system_sgpr_workgroup_info 0
		.amdhsa_system_vgpr_workitem_id 1
		.amdhsa_next_free_vgpr 104
		.amdhsa_next_free_sgpr 81
		.amdhsa_accum_offset 104
		.amdhsa_reserve_vcc 1
		.amdhsa_reserve_flat_scratch 0
		.amdhsa_float_round_mode_32 0
		.amdhsa_float_round_mode_16_64 0
		.amdhsa_float_denorm_mode_32 3
		.amdhsa_float_denorm_mode_16_64 3
		.amdhsa_dx10_clamp 1
		.amdhsa_ieee_mode 1
		.amdhsa_fp16_overflow 0
		.amdhsa_tg_split 0
		.amdhsa_exception_fp_ieee_invalid_op 0
		.amdhsa_exception_fp_denorm_src 0
		.amdhsa_exception_fp_ieee_div_zero 0
		.amdhsa_exception_fp_ieee_overflow 0
		.amdhsa_exception_fp_ieee_underflow 0
		.amdhsa_exception_fp_ieee_inexact 0
		.amdhsa_exception_int_div_zero 0
	.end_amdhsa_kernel
	.section	.text._ZL9mul_mat_fIfLi64ELi4ELi6ELb0EEvPKT_PKfPKiPfiiiiiiiiiiiiiiii,"axG",@progbits,_ZL9mul_mat_fIfLi64ELi4ELi6ELb0EEvPKT_PKfPKiPfiiiiiiiiiiiiiiii,comdat
.Lfunc_end92:
	.size	_ZL9mul_mat_fIfLi64ELi4ELi6ELb0EEvPKT_PKfPKiPfiiiiiiiiiiiiiiii, .Lfunc_end92-_ZL9mul_mat_fIfLi64ELi4ELi6ELb0EEvPKT_PKfPKiPfiiiiiiiiiiiiiiii
                                        ; -- End function
	.section	.AMDGPU.csdata,"",@progbits
; Kernel info:
; codeLenInByte = 5308
; NumSgprs: 85
; NumVgprs: 104
; NumAgprs: 0
; TotalNumVgprs: 104
; ScratchSize: 0
; MemoryBound: 0
; FloatMode: 240
; IeeeMode: 1
; LDSByteSize: 0 bytes/workgroup (compile time only)
; SGPRBlocks: 10
; VGPRBlocks: 12
; NumSGPRsForWavesPerEU: 85
; NumVGPRsForWavesPerEU: 104
; AccumOffset: 104
; Occupancy: 4
; WaveLimiterHint : 0
; COMPUTE_PGM_RSRC2:SCRATCH_EN: 0
; COMPUTE_PGM_RSRC2:USER_SGPR: 6
; COMPUTE_PGM_RSRC2:TRAP_HANDLER: 0
; COMPUTE_PGM_RSRC2:TGID_X_EN: 1
; COMPUTE_PGM_RSRC2:TGID_Y_EN: 1
; COMPUTE_PGM_RSRC2:TGID_Z_EN: 1
; COMPUTE_PGM_RSRC2:TIDIG_COMP_CNT: 1
; COMPUTE_PGM_RSRC3_GFX90A:ACCUM_OFFSET: 25
; COMPUTE_PGM_RSRC3_GFX90A:TG_SPLIT: 0
	.section	.text._ZL13mul_mat_f_idsIfLi64ELi4ELi7EEvPKT_PKfPKiS6_S6_Pfiiiiiiiiiiiiii15HIP_vector_typeIjLj3EES9_,"axG",@progbits,_ZL13mul_mat_f_idsIfLi64ELi4ELi7EEvPKT_PKfPKiS6_S6_Pfiiiiiiiiiiiiii15HIP_vector_typeIjLj3EES9_,comdat
	.globl	_ZL13mul_mat_f_idsIfLi64ELi4ELi7EEvPKT_PKfPKiS6_S6_Pfiiiiiiiiiiiiii15HIP_vector_typeIjLj3EES9_ ; -- Begin function _ZL13mul_mat_f_idsIfLi64ELi4ELi7EEvPKT_PKfPKiS6_S6_Pfiiiiiiiiiiiiii15HIP_vector_typeIjLj3EES9_
	.p2align	8
	.type	_ZL13mul_mat_f_idsIfLi64ELi4ELi7EEvPKT_PKfPKiS6_S6_Pfiiiiiiiiiiiiii15HIP_vector_typeIjLj3EES9_,@function
_ZL13mul_mat_f_idsIfLi64ELi4ELi7EEvPKT_PKfPKiS6_S6_Pfiiiiiiiiiiiiii15HIP_vector_typeIjLj3EES9_: ; @_ZL13mul_mat_f_idsIfLi64ELi4ELi7EEvPKT_PKfPKiS6_S6_Pfiiiiiiiiiiiiii15HIP_vector_typeIjLj3EES9_
; %bb.0:
	s_load_dwordx2 s[0:1], s[4:5], 0x20
	s_mov_b32 s34, s7
	s_ashr_i32 s35, s7, 31
	s_lshl_b64 s[2:3], s[34:35], 2
	s_waitcnt lgkmcnt(0)
	s_add_u32 s0, s0, s2
	s_addc_u32 s1, s1, s3
	s_load_dwordx2 s[26:27], s[0:1], 0x0
	s_waitcnt lgkmcnt(0)
	s_sub_i32 s33, s27, s26
	s_add_i32 s0, s33, 3
	s_ashr_i32 s1, s0, 31
	s_lshr_b32 s1, s1, 30
	s_add_i32 s0, s0, s1
	s_ashr_i32 s0, s0, 2
	s_cmp_ge_i32 s8, s0
	s_cbranch_scc1 .LBB93_23
; %bb.1:
	v_bfe_u32 v83, v0, 10, 10
	v_lshlrev_b32_e32 v84, 6, v83
	v_and_b32_e32 v82, 0x3ff, v0
	s_load_dwordx4 s[12:15], s[4:5], 0x30
	s_load_dwordx2 s[20:21], s[4:5], 0x40
	s_load_dwordx4 s[0:3], s[4:5], 0x4c
	s_load_dwordx4 s[16:19], s[4:5], 0x68
	s_load_dwordx2 s[24:25], s[4:5], 0x78
	v_add_u32_e32 v86, v84, v82
	s_ashr_i32 s27, s26, 31
	s_waitcnt lgkmcnt(0)
	v_cmp_le_i32_e32 vcc, s12, v86
	v_and_b32_e32 v85, 15, v82
                                        ; implicit-def: $sgpr3
	s_and_saveexec_b64 s[10:11], vcc
	s_xor_b64 s[10:11], exec, s[10:11]
; %bb.2:
	v_and_b32_e32 v85, 15, v82
	s_mov_b32 s3, 0
                                        ; implicit-def: $vgpr86
; %bb.3:
	s_or_saveexec_b64 s[22:23], s[10:11]
	s_load_dwordx2 s[10:11], s[4:5], 0x18
                                        ; implicit-def: $vgpr100 : SGPR spill to VGPR lane
	s_lshl_b32 s7, s6, 6
	s_lshl_b32 s6, s8, 2
	v_mov_b32_e32 v15, s3
	v_mov_b32_e32 v14, s3
	s_waitcnt lgkmcnt(0)
	v_writelane_b32 v100, s10, 0
	v_writelane_b32 v100, s11, 1
	s_load_dwordx2 s[10:11], s[4:5], 0x28
	v_mov_b32_e32 v13, s3
	v_mov_b32_e32 v12, s3
	v_mov_b32_e32 v7, s3
	v_mov_b32_e32 v6, s3
	s_waitcnt lgkmcnt(0)
	v_writelane_b32 v100, s10, 2
	v_writelane_b32 v100, s11, 3
	v_mov_b32_e32 v5, s3
	v_mov_b32_e32 v4, s3
	;; [unrolled: 1-line block ×10, first 2 shown]
	v_writelane_b32 v100, s22, 4
	v_writelane_b32 v100, s23, 5
	s_xor_b64 exec, exec, s[22:23]
	s_cbranch_execz .LBB93_19
; %bb.4:
	v_writelane_b32 v100, s24, 6
	v_writelane_b32 v100, s25, 7
	s_load_dwordx4 s[8:11], s[4:5], 0x0
	s_load_dwordx2 s[22:23], s[4:5], 0x10
	s_mul_i32 s4, s34, s0
	s_mul_i32 s24, s7, s15
	s_ashr_i32 s5, s4, 31
	s_ashr_i32 s25, s24, 31
	s_lshl_b64 s[24:25], s[24:25], 2
	s_lshl_b64 s[4:5], s[4:5], 2
	s_add_u32 s3, s4, s24
	s_addc_u32 s24, s5, s25
	s_waitcnt lgkmcnt(0)
	s_add_u32 s0, s3, s8
	s_addc_u32 s31, s24, s9
	s_lshl_b64 s[4:5], s[26:27], 2
	s_add_u32 s25, s22, s4
	s_addc_u32 s28, s23, s5
	s_movk_i32 s4, 0x1080
	s_cmp_lt_i32 s6, s33
	v_writelane_b32 v100, s7, 8
	v_mad_u32_u24 v0, v83, s4, 0
	s_cselect_b64 s[4:5], -1, 0
	s_ashr_i32 s7, s6, 31
	s_lshl_b64 s[22:23], s[6:7], 2
	s_add_u32 s34, s25, s22
	v_lshrrev_b32_e32 v3, 1, v82
	s_addc_u32 s35, s28, s23
	s_or_b32 s7, s6, 1
	v_lshlrev_b32_e32 v1, 2, v82
	v_mul_u32_u24_e32 v2, 0x108, v85
	v_and_b32_e32 v3, 0x1f8, v3
	s_cmp_lt_i32 s7, s33
	v_add_u32_e32 v87, v0, v1
	v_add3_u32 v88, v0, v2, v3
	s_cselect_b64 s[36:37], -1, 0
	s_or_b32 s7, s6, 2
	v_lshlrev_b32_e32 v0, 8, v83
	s_cmp_lt_i32 s7, s33
	v_mov_b32_e32 v2, s24
	v_add_co_u32_e32 v0, vcc, s3, v0
	s_cselect_b64 s[38:39], -1, 0
	s_or_b32 s7, s6, 3
	v_addc_co_u32_e32 v2, vcc, 0, v2, vcc
	s_cmp_lt_i32 s7, s33
	v_add_co_u32_e32 v0, vcc, v0, v1
	s_cselect_b64 s[40:41], -1, 0
	s_ashr_i32 s23, s15, 31
	s_mov_b32 s22, s15
	v_addc_co_u32_e32 v1, vcc, 0, v2, vcc
	s_lshl_b64 s[42:43], s[22:23], 2
	v_mov_b32_e32 v2, s9
	v_add_co_u32_e32 v16, vcc, s8, v0
	v_mov_b32_e32 v0, 0
	v_addc_co_u32_e32 v17, vcc, v2, v1, vcc
	s_lshl_b32 s7, s15, 1
	s_mul_i32 s44, s15, 3
	s_lshl_b32 s45, s15, 2
	s_mul_i32 s46, s15, 5
	s_mul_i32 s47, s15, 6
	;; [unrolled: 1-line block ×3, first 2 shown]
	s_lshl_b32 s49, s15, 3
	s_mul_i32 s50, s15, 9
	s_mul_i32 s51, s15, 10
	;; [unrolled: 1-line block ×7, first 2 shown]
	s_lshl_b32 s57, s15, 4
	s_mul_i32 s58, s15, 17
	s_mul_i32 s59, s15, 18
	;; [unrolled: 1-line block ×15, first 2 shown]
	s_lshl_b32 s73, s15, 5
	s_mul_i32 s74, s15, 33
	s_mul_i32 s75, s15, 34
	;; [unrolled: 1-line block ×30, first 2 shown]
	v_mov_b32_e32 v89, s31
	s_mul_i32 s15, s15, 63
	v_mov_b32_e32 v90, s43
	v_mov_b32_e32 v91, 0
	;; [unrolled: 1-line block ×17, first 2 shown]
	s_mov_b64 s[8:9], 0
	s_branch .LBB93_6
.LBB93_5:                               ;   in Loop: Header=BB93_6 Depth=1
	s_waitcnt vmcnt(0)
	ds_write2_b32 v87, v92, v94 offset1:66
	ds_write2_b32 v87, v93, v95 offset0:132 offset1:198
	v_add_u32_e32 v92, 0x400, v87
	ds_write2_b32 v92, v91, v91 offset0:8 offset1:74
	ds_write2_b32 v92, v91, v91 offset0:140 offset1:206
	v_add_u32_e32 v92, 0x800, v87
	ds_write2_b32 v92, v91, v91 offset0:16 offset1:82
	;; [unrolled: 3-line block ×3, first 2 shown]
	ds_write2_b32 v92, v91, v91 offset0:156 offset1:222
	ds_read2_b64 v[92:95], v88 offset1:4
	v_add_co_u32_e32 v16, vcc, 0x700, v16
	s_waitcnt lgkmcnt(0)
	v_mfma_f32_16x16x4f32 v[0:3], v46, v92, v[0:3]
	v_add_u32_e32 v86, 0x1c0, v86
	v_addc_co_u32_e32 v17, vcc, 0, v17, vcc
	v_cmp_le_i32_e32 vcc, s12, v86
	s_or_b64 s[8:9], vcc, s[8:9]
	v_mfma_f32_16x16x4f32 v[8:11], v58, v92, v[8:11]
	v_mfma_f32_16x16x4f32 v[4:7], v64, v92, v[4:7]
	;; [unrolled: 1-line block ×14, first 2 shown]
	ds_read2_b64 v[62:65], v88 offset0:8 offset1:12
	v_mfma_f32_16x16x4f32 v[12:15], v79, v95, v[12:15]
	s_waitcnt lgkmcnt(0)
	v_mfma_f32_16x16x4f32 v[0:3], v34, v62, v[0:3]
	v_mfma_f32_16x16x4f32 v[8:11], v50, v62, v[8:11]
	;; [unrolled: 1-line block ×14, first 2 shown]
	ds_read2_b64 v[44:47], v88 offset0:16 offset1:20
	v_mfma_f32_16x16x4f32 v[4:7], v57, v65, v[4:7]
	v_mfma_f32_16x16x4f32 v[12:15], v75, v65, v[12:15]
	s_waitcnt lgkmcnt(0)
	v_mfma_f32_16x16x4f32 v[0:3], v26, v44, v[0:3]
	v_mfma_f32_16x16x4f32 v[8:11], v38, v44, v[8:11]
	v_mfma_f32_16x16x4f32 v[4:7], v52, v44, v[4:7]
	v_mfma_f32_16x16x4f32 v[12:15], v72, v44, v[12:15]
	v_mfma_f32_16x16x4f32 v[0:3], v27, v45, v[0:3]
	v_mfma_f32_16x16x4f32 v[8:11], v39, v45, v[8:11]
	v_mfma_f32_16x16x4f32 v[4:7], v53, v45, v[4:7]
	v_mfma_f32_16x16x4f32 v[12:15], v73, v45, v[12:15]
	v_mfma_f32_16x16x4f32 v[0:3], v22, v46, v[0:3]
	v_mfma_f32_16x16x4f32 v[8:11], v32, v46, v[8:11]
	v_mfma_f32_16x16x4f32 v[4:7], v48, v46, v[4:7]
	v_mfma_f32_16x16x4f32 v[12:15], v70, v46, v[12:15]
	v_mfma_f32_16x16x4f32 v[0:3], v23, v47, v[0:3]
	v_mfma_f32_16x16x4f32 v[8:11], v33, v47, v[8:11]
	ds_read2_b64 v[30:33], v88 offset0:24 offset1:28
	v_mfma_f32_16x16x4f32 v[4:7], v49, v47, v[4:7]
	v_mfma_f32_16x16x4f32 v[12:15], v71, v47, v[12:15]
	s_waitcnt lgkmcnt(0)
	v_mfma_f32_16x16x4f32 v[0:3], v20, v30, v[0:3]
	v_mfma_f32_16x16x4f32 v[8:11], v28, v30, v[8:11]
	;; [unrolled: 1-line block ×16, first 2 shown]
	s_andn2_b64 exec, exec, s[8:9]
	s_cbranch_execz .LBB93_18
.LBB93_6:                               ; =>This Inner Loop Header: Depth=1
	v_add_co_u32_e32 v18, vcc, s42, v16
	v_addc_co_u32_e32 v19, vcc, v17, v90, vcc
	global_load_dword v30, v[16:17], off
	global_load_dword v31, v[18:19], off
	v_add_u32_e32 v18, s7, v86
	v_ashrrev_i32_e32 v19, 31, v18
	v_lshlrev_b64 v[18:19], 2, v[18:19]
	v_add_u32_e32 v20, s44, v86
	v_add_co_u32_e32 v18, vcc, s0, v18
	v_ashrrev_i32_e32 v21, 31, v20
	v_addc_co_u32_e32 v19, vcc, v89, v19, vcc
	v_lshlrev_b64 v[20:21], 2, v[20:21]
	v_add_u32_e32 v22, s45, v86
	v_add_co_u32_e32 v20, vcc, s0, v20
	v_ashrrev_i32_e32 v23, 31, v22
	v_addc_co_u32_e32 v21, vcc, v89, v21, vcc
	v_lshlrev_b64 v[22:23], 2, v[22:23]
	v_add_u32_e32 v24, s46, v86
	v_add_co_u32_e32 v22, vcc, s0, v22
	v_ashrrev_i32_e32 v25, 31, v24
	v_addc_co_u32_e32 v23, vcc, v89, v23, vcc
	v_lshlrev_b64 v[24:25], 2, v[24:25]
	v_add_u32_e32 v26, s47, v86
	v_add_co_u32_e32 v24, vcc, s0, v24
	v_ashrrev_i32_e32 v27, 31, v26
	v_addc_co_u32_e32 v25, vcc, v89, v25, vcc
	v_lshlrev_b64 v[26:27], 2, v[26:27]
	v_add_u32_e32 v28, s48, v86
	v_add_co_u32_e32 v26, vcc, s0, v26
	v_ashrrev_i32_e32 v29, 31, v28
	v_addc_co_u32_e32 v27, vcc, v89, v27, vcc
	v_lshlrev_b64 v[28:29], 2, v[28:29]
	v_add_co_u32_e32 v28, vcc, s0, v28
	v_addc_co_u32_e32 v29, vcc, v89, v29, vcc
	global_load_dword v32, v[18:19], off
	global_load_dword v33, v[20:21], off
	;; [unrolled: 1-line block ×3, first 2 shown]
	s_nop 0
	global_load_dword v24, v[24:25], off
	s_nop 0
	global_load_dword v25, v[26:27], off
	;; [unrolled: 2-line block ×3, first 2 shown]
	v_add_u32_e32 v18, s49, v86
	v_ashrrev_i32_e32 v19, 31, v18
	v_add_u32_e32 v20, s50, v86
	v_lshlrev_b64 v[18:19], 2, v[18:19]
	v_ashrrev_i32_e32 v21, 31, v20
	v_add_co_u32_e32 v18, vcc, s0, v18
	v_add_u32_e32 v22, s51, v86
	v_lshlrev_b64 v[20:21], 2, v[20:21]
	v_addc_co_u32_e32 v19, vcc, v89, v19, vcc
	v_ashrrev_i32_e32 v23, 31, v22
	v_add_co_u32_e32 v20, vcc, s0, v20
	v_lshlrev_b64 v[22:23], 2, v[22:23]
	v_addc_co_u32_e32 v21, vcc, v89, v21, vcc
	global_load_dword v18, v[18:19], off
	s_nop 0
	global_load_dword v19, v[20:21], off
	v_add_u32_e32 v20, s52, v86
	v_add_co_u32_e32 v22, vcc, s0, v22
	v_ashrrev_i32_e32 v21, 31, v20
	v_addc_co_u32_e32 v23, vcc, v89, v23, vcc
	v_lshlrev_b64 v[20:21], 2, v[20:21]
	v_add_u32_e32 v38, s64, v86
	v_ashrrev_i32_e32 v39, 31, v38
	v_lshlrev_b64 v[38:39], 2, v[38:39]
	v_add_u32_e32 v40, s65, v86
	v_ashrrev_i32_e32 v41, 31, v40
	;; [unrolled: 3-line block ×5, first 2 shown]
	v_lshlrev_b64 v[58:59], 2, v[58:59]
	s_waitcnt vmcnt(9)
	ds_write_b32 v87, v30
	s_waitcnt vmcnt(8)
	ds_write_b32 v87, v31 offset:264
	s_waitcnt vmcnt(7)
	ds_write_b32 v87, v32 offset:528
	;; [unrolled: 2-line block ×7, first 2 shown]
	v_add_co_u32_e32 v24, vcc, s0, v20
	v_add_u32_e32 v20, s53, v86
	v_addc_co_u32_e32 v25, vcc, v89, v21, vcc
	v_ashrrev_i32_e32 v21, 31, v20
	v_lshlrev_b64 v[20:21], 2, v[20:21]
	v_add_co_u32_e32 v26, vcc, s0, v20
	v_add_u32_e32 v20, s54, v86
	v_addc_co_u32_e32 v27, vcc, v89, v21, vcc
	v_ashrrev_i32_e32 v21, 31, v20
	v_lshlrev_b64 v[20:21], 2, v[20:21]
	;; [unrolled: 5-line block ×6, first 2 shown]
	v_add_co_u32_e32 v36, vcc, s0, v20
	v_addc_co_u32_e32 v37, vcc, v89, v21, vcc
	global_load_dword v20, v[22:23], off
	global_load_dword v21, v[24:25], off
	s_nop 0
	global_load_dword v22, v[26:27], off
	global_load_dword v23, v[28:29], off
	s_nop 0
	global_load_dword v26, v[30:31], off
	global_load_dword v27, v[32:33], off
	;; [unrolled: 1-line block ×4, first 2 shown]
	v_add_u32_e32 v28, s59, v86
	v_ashrrev_i32_e32 v29, 31, v28
	v_lshlrev_b64 v[28:29], 2, v[28:29]
	v_add_u32_e32 v30, s60, v86
	v_add_co_u32_e32 v28, vcc, s0, v28
	v_ashrrev_i32_e32 v31, 31, v30
	v_addc_co_u32_e32 v29, vcc, v89, v29, vcc
	v_lshlrev_b64 v[30:31], 2, v[30:31]
	v_add_u32_e32 v32, s61, v86
	v_add_co_u32_e32 v30, vcc, s0, v30
	v_ashrrev_i32_e32 v33, 31, v32
	v_addc_co_u32_e32 v31, vcc, v89, v31, vcc
	;; [unrolled: 5-line block ×4, first 2 shown]
	v_lshlrev_b64 v[36:37], 2, v[36:37]
	v_add_co_u32_e32 v36, vcc, s0, v36
	v_addc_co_u32_e32 v37, vcc, v89, v37, vcc
	v_add_co_u32_e32 v38, vcc, s0, v38
	v_addc_co_u32_e32 v39, vcc, v89, v39, vcc
	;; [unrolled: 2-line block ×4, first 2 shown]
	global_load_dword v28, v[28:29], off
	s_nop 0
	global_load_dword v29, v[30:31], off
	s_nop 0
	;; [unrolled: 2-line block ×6, first 2 shown]
	global_load_dword v38, v[40:41], off
	global_load_dword v39, v[42:43], off
	v_add_u32_e32 v30, s67, v86
	v_ashrrev_i32_e32 v31, 31, v30
	v_lshlrev_b64 v[30:31], 2, v[30:31]
	v_add_u32_e32 v34, s68, v86
	v_add_co_u32_e32 v30, vcc, s0, v30
	v_ashrrev_i32_e32 v35, 31, v34
	v_addc_co_u32_e32 v31, vcc, v89, v31, vcc
	v_lshlrev_b64 v[34:35], 2, v[34:35]
	v_add_u32_e32 v40, s69, v86
	v_add_co_u32_e32 v34, vcc, s0, v34
	v_ashrrev_i32_e32 v41, 31, v40
	v_addc_co_u32_e32 v35, vcc, v89, v35, vcc
	;; [unrolled: 5-line block ×3, first 2 shown]
	v_lshlrev_b64 v[42:43], 2, v[42:43]
	v_add_co_u32_e32 v42, vcc, s0, v42
	v_addc_co_u32_e32 v43, vcc, v89, v43, vcc
	v_add_co_u32_e32 v46, vcc, s0, v44
	v_add_u32_e32 v44, s72, v86
	v_addc_co_u32_e32 v47, vcc, v89, v45, vcc
	v_ashrrev_i32_e32 v45, 31, v44
	v_lshlrev_b64 v[44:45], 2, v[44:45]
	v_add_co_u32_e32 v52, vcc, s0, v44
	v_add_u32_e32 v44, s73, v86
	v_addc_co_u32_e32 v53, vcc, v89, v45, vcc
	v_ashrrev_i32_e32 v45, 31, v44
	v_lshlrev_b64 v[44:45], 2, v[44:45]
	;; [unrolled: 5-line block ×3, first 2 shown]
	v_add_co_u32_e32 v56, vcc, s0, v44
	v_addc_co_u32_e32 v57, vcc, v89, v45, vcc
	global_load_dword v44, v[30:31], off
	global_load_dword v45, v[34:35], off
	global_load_dword v48, v[40:41], off
	global_load_dword v49, v[42:43], off
	global_load_dword v50, v[46:47], off
	global_load_dword v51, v[52:53], off
	s_nop 0
	global_load_dword v42, v[54:55], off
	global_load_dword v43, v[56:57], off
	v_add_u32_e32 v30, s75, v86
	v_ashrrev_i32_e32 v31, 31, v30
	v_lshlrev_b64 v[30:31], 2, v[30:31]
	v_add_u32_e32 v34, s76, v86
	v_add_co_u32_e32 v30, vcc, s0, v30
	v_ashrrev_i32_e32 v35, 31, v34
	v_addc_co_u32_e32 v31, vcc, v89, v31, vcc
	v_lshlrev_b64 v[34:35], 2, v[34:35]
	v_add_u32_e32 v40, s77, v86
	v_add_co_u32_e32 v34, vcc, s0, v34
	v_ashrrev_i32_e32 v41, 31, v40
	v_addc_co_u32_e32 v35, vcc, v89, v35, vcc
	v_lshlrev_b64 v[40:41], 2, v[40:41]
	v_add_u32_e32 v46, s78, v86
	v_add_co_u32_e32 v40, vcc, s0, v40
	v_ashrrev_i32_e32 v47, 31, v46
	v_addc_co_u32_e32 v41, vcc, v89, v41, vcc
	v_lshlrev_b64 v[46:47], 2, v[46:47]
	v_add_u32_e32 v52, s79, v86
	v_add_co_u32_e32 v46, vcc, s0, v46
	v_ashrrev_i32_e32 v53, 31, v52
	v_addc_co_u32_e32 v47, vcc, v89, v47, vcc
	v_lshlrev_b64 v[52:53], 2, v[52:53]
	v_add_u32_e32 v54, s80, v86
	v_add_co_u32_e32 v52, vcc, s0, v52
	v_ashrrev_i32_e32 v55, 31, v54
	v_addc_co_u32_e32 v53, vcc, v89, v53, vcc
	v_lshlrev_b64 v[54:55], 2, v[54:55]
	v_add_u32_e32 v56, s81, v86
	v_add_co_u32_e32 v54, vcc, s0, v54
	v_ashrrev_i32_e32 v57, 31, v56
	v_addc_co_u32_e32 v55, vcc, v89, v55, vcc
	v_lshlrev_b64 v[56:57], 2, v[56:57]
	v_add_co_u32_e32 v56, vcc, s0, v56
	v_addc_co_u32_e32 v57, vcc, v89, v57, vcc
	v_add_co_u32_e32 v58, vcc, s0, v58
	v_addc_co_u32_e32 v59, vcc, v89, v59, vcc
	global_load_dword v60, v[30:31], off
	global_load_dword v61, v[34:35], off
	;; [unrolled: 1-line block ×8, first 2 shown]
	v_add_u32_e32 v30, s83, v86
	v_ashrrev_i32_e32 v31, 31, v30
	v_lshlrev_b64 v[30:31], 2, v[30:31]
	v_add_u32_e32 v34, s84, v86
	v_add_co_u32_e32 v30, vcc, s0, v30
	v_ashrrev_i32_e32 v35, 31, v34
	v_addc_co_u32_e32 v31, vcc, v89, v31, vcc
	v_lshlrev_b64 v[34:35], 2, v[34:35]
	v_add_u32_e32 v40, s85, v86
	v_add_co_u32_e32 v34, vcc, s0, v34
	v_ashrrev_i32_e32 v41, 31, v40
	v_addc_co_u32_e32 v35, vcc, v89, v35, vcc
	;; [unrolled: 5-line block ×7, first 2 shown]
	v_lshlrev_b64 v[58:59], 2, v[58:59]
	v_add_co_u32_e32 v58, vcc, s0, v58
	v_addc_co_u32_e32 v59, vcc, v89, v59, vcc
	global_load_dword v68, v[30:31], off
	global_load_dword v69, v[34:35], off
	;; [unrolled: 1-line block ×8, first 2 shown]
	v_add_u32_e32 v30, s91, v86
	v_ashrrev_i32_e32 v31, 31, v30
	v_lshlrev_b64 v[30:31], 2, v[30:31]
	v_add_u32_e32 v34, s92, v86
	v_add_co_u32_e32 v30, vcc, s0, v30
	v_ashrrev_i32_e32 v35, 31, v34
	v_addc_co_u32_e32 v31, vcc, v89, v31, vcc
	v_lshlrev_b64 v[34:35], 2, v[34:35]
	v_add_u32_e32 v40, s93, v86
	v_add_co_u32_e32 v34, vcc, s0, v34
	v_ashrrev_i32_e32 v41, 31, v40
	v_addc_co_u32_e32 v35, vcc, v89, v35, vcc
	;; [unrolled: 5-line block ×7, first 2 shown]
	v_lshlrev_b64 v[58:59], 2, v[58:59]
	v_add_co_u32_e32 v58, vcc, s0, v58
	v_addc_co_u32_e32 v59, vcc, v89, v59, vcc
	global_load_dword v76, v[30:31], off
	global_load_dword v77, v[34:35], off
	;; [unrolled: 1-line block ×8, first 2 shown]
	v_add_u32_e32 v30, s23, v86
	v_ashrrev_i32_e32 v31, 31, v30
	v_lshlrev_b64 v[30:31], 2, v[30:31]
	v_add_u32_e32 v34, s28, v86
	v_add_co_u32_e32 v30, vcc, s0, v30
	v_ashrrev_i32_e32 v35, 31, v34
	v_addc_co_u32_e32 v31, vcc, v89, v31, vcc
	v_lshlrev_b64 v[34:35], 2, v[34:35]
	v_add_u32_e32 v40, s29, v86
	v_add_co_u32_e32 v34, vcc, s0, v34
	v_ashrrev_i32_e32 v41, 31, v40
	v_addc_co_u32_e32 v35, vcc, v89, v35, vcc
	;; [unrolled: 5-line block ×5, first 2 shown]
	v_lshlrev_b64 v[54:55], 2, v[54:55]
	v_add_co_u32_e32 v54, vcc, s0, v54
	v_addc_co_u32_e32 v55, vcc, v89, v55, vcc
	global_load_dword v94, v[30:31], off
	global_load_dword v95, v[34:35], off
	global_load_dword v96, v[40:41], off
	global_load_dword v97, v[46:47], off
	global_load_dword v98, v[52:53], off
	global_load_dword v99, v[54:55], off
	s_waitcnt vmcnt(55)
	ds_write_b32 v87, v18 offset:2112
	s_waitcnt vmcnt(54)
	ds_write_b32 v87, v19 offset:2376
	s_waitcnt vmcnt(53)
	ds_write_b32 v87, v20 offset:2640
	s_waitcnt vmcnt(52)
	ds_write_b32 v87, v21 offset:2904
	s_waitcnt vmcnt(51)
	ds_write_b32 v87, v22 offset:3168
	s_waitcnt vmcnt(50)
	ds_write_b32 v87, v23 offset:3432
	s_waitcnt vmcnt(49)
	ds_write_b32 v87, v26 offset:3696
	s_waitcnt vmcnt(48)
	ds_write_b32 v87, v27 offset:3960
	ds_read_b64 v[46:47], v88
	ds_read_b64 v[40:41], v88 offset:32
	ds_read_b64 v[34:35], v88 offset:64
	ds_read_b64 v[30:31], v88 offset:96
	ds_read_b64 v[26:27], v88 offset:128
	ds_read_b64 v[22:23], v88 offset:160
	ds_read_b64 v[20:21], v88 offset:192
	ds_read_b64 v[18:19], v88 offset:224
	s_waitcnt vmcnt(47)
	ds_write_b32 v87, v24
	s_waitcnt vmcnt(46)
	ds_write_b32 v87, v25 offset:264
	s_waitcnt vmcnt(45)
	ds_write_b32 v87, v28 offset:528
	s_waitcnt vmcnt(44)
	ds_write_b32 v87, v29 offset:792
	s_waitcnt vmcnt(43)
	ds_write_b32 v87, v32 offset:1056
	s_waitcnt vmcnt(42)
	ds_write_b32 v87, v33 offset:1320
	s_waitcnt vmcnt(41)
	ds_write_b32 v87, v36 offset:1584
	s_waitcnt vmcnt(40)
	ds_write_b32 v87, v37 offset:1848
	s_waitcnt vmcnt(39)
	ds_write_b32 v87, v38 offset:2112
	s_waitcnt vmcnt(38)
	ds_write_b32 v87, v39 offset:2376
	s_waitcnt vmcnt(37)
	ds_write_b32 v87, v44 offset:2640
	s_waitcnt vmcnt(36)
	ds_write_b32 v87, v45 offset:2904
	s_waitcnt vmcnt(35)
	ds_write_b32 v87, v48 offset:3168
	s_waitcnt vmcnt(34)
	ds_write_b32 v87, v49 offset:3432
	s_waitcnt vmcnt(33)
	ds_write_b32 v87, v50 offset:3696
	s_waitcnt vmcnt(32)
	ds_write_b32 v87, v51 offset:3960
	ds_read_b64 v[58:59], v88
	ds_read_b64 v[54:55], v88 offset:32
	ds_read_b64 v[50:51], v88 offset:64
	ds_read_b64 v[44:45], v88 offset:96
	ds_read_b64 v[38:39], v88 offset:128
	ds_read_b64 v[32:33], v88 offset:160
	ds_read_b64 v[28:29], v88 offset:192
	ds_read_b64 v[24:25], v88 offset:224
	s_waitcnt vmcnt(31)
	ds_write_b32 v87, v42
	s_waitcnt vmcnt(30)
	ds_write_b32 v87, v43 offset:264
	s_waitcnt vmcnt(29)
	ds_write_b32 v87, v60 offset:528
	s_waitcnt vmcnt(28)
	ds_write_b32 v87, v61 offset:792
	s_waitcnt vmcnt(27)
	ds_write_b32 v87, v62 offset:1056
	s_waitcnt vmcnt(26)
	ds_write_b32 v87, v63 offset:1320
	s_waitcnt vmcnt(25)
	ds_write_b32 v87, v64 offset:1584
	s_waitcnt vmcnt(24)
	ds_write_b32 v87, v65 offset:1848
	;; [unrolled: 40-line block ×3, first 2 shown]
	s_waitcnt vmcnt(7)
	ds_write_b32 v87, v92 offset:2112
	s_waitcnt vmcnt(6)
	ds_write_b32 v87, v93 offset:2376
	;; [unrolled: 2-line block ×8, first 2 shown]
	ds_read_b64 v[80:81], v88
	ds_read_b64 v[78:79], v88 offset:32
	ds_read_b64 v[76:77], v88 offset:64
	;; [unrolled: 1-line block ×7, first 2 shown]
	s_andn2_b64 vcc, exec, s[4:5]
	v_mov_b32_e32 v92, 0
	s_cbranch_vccnz .LBB93_9
; %bb.7:                                ;   in Loop: Header=BB93_6 Depth=1
	s_load_dword s31, s[34:35], 0x0
	v_mov_b32_e32 v92, 0
	s_waitcnt lgkmcnt(0)
	s_mul_hi_u32 s43, s31, s16
	s_add_i32 s43, s31, s43
	s_lshr_b32 s43, s43, s17
	s_cmp_ge_i32 s43, s13
	s_cbranch_scc1 .LBB93_9
; %bb.8:                                ;   in Loop: Header=BB93_6 Depth=1
	s_mul_i32 vcc_lo, s43, s18
	s_sub_i32 s31, s31, vcc_lo
	s_mul_i32 s31, s31, s1
	s_mul_i32 s43, s43, s20
	s_add_i32 s43, s43, s31
	v_add_u32_e32 v92, s43, v86
	v_ashrrev_i32_e32 v93, 31, v92
	v_lshlrev_b64 v[92:93], 2, v[92:93]
	v_mov_b32_e32 v94, s11
	v_add_co_u32_e32 v92, vcc, s10, v92
	v_addc_co_u32_e32 v93, vcc, v94, v93, vcc
	global_load_dword v92, v[92:93], off
.LBB93_9:                               ;   in Loop: Header=BB93_6 Depth=1
	s_andn2_b64 vcc, exec, s[36:37]
	v_mov_b32_e32 v93, 0
	v_mov_b32_e32 v94, 0
	s_cbranch_vccnz .LBB93_12
; %bb.10:                               ;   in Loop: Header=BB93_6 Depth=1
	s_load_dword s31, s[34:35], 0x4
	v_mov_b32_e32 v94, 0
	s_waitcnt lgkmcnt(0)
	s_mul_hi_u32 s43, s31, s16
	s_add_i32 s43, s31, s43
	s_lshr_b32 s43, s43, s17
	s_cmp_ge_i32 s43, s13
	s_cbranch_scc1 .LBB93_12
; %bb.11:                               ;   in Loop: Header=BB93_6 Depth=1
	s_mul_i32 vcc_lo, s43, s18
	s_sub_i32 s31, s31, vcc_lo
	s_mul_i32 s31, s31, s1
	s_mul_i32 s43, s43, s20
	s_add_i32 s43, s43, s31
	v_add_u32_e32 v94, s43, v86
	v_ashrrev_i32_e32 v95, 31, v94
	v_lshlrev_b64 v[94:95], 2, v[94:95]
	v_mov_b32_e32 v96, s11
	v_add_co_u32_e32 v94, vcc, s10, v94
	v_addc_co_u32_e32 v95, vcc, v96, v95, vcc
	global_load_dword v94, v[94:95], off
.LBB93_12:                              ;   in Loop: Header=BB93_6 Depth=1
	s_andn2_b64 vcc, exec, s[38:39]
	s_cbranch_vccnz .LBB93_15
; %bb.13:                               ;   in Loop: Header=BB93_6 Depth=1
	s_load_dword s31, s[34:35], 0x8
	v_mov_b32_e32 v93, 0
	s_waitcnt lgkmcnt(0)
	s_mul_hi_u32 s43, s31, s16
	s_add_i32 s43, s31, s43
	s_lshr_b32 s43, s43, s17
	s_cmp_ge_i32 s43, s13
	s_cbranch_scc1 .LBB93_15
; %bb.14:                               ;   in Loop: Header=BB93_6 Depth=1
	s_mul_i32 vcc_lo, s43, s18
	s_sub_i32 s31, s31, vcc_lo
	s_mul_i32 s31, s31, s1
	s_mul_i32 s43, s43, s20
	s_add_i32 s43, s43, s31
	v_add_u32_e32 v96, s43, v86
	v_ashrrev_i32_e32 v97, 31, v96
	v_lshlrev_b64 v[96:97], 2, v[96:97]
	v_mov_b32_e32 v93, s11
	v_add_co_u32_e32 v96, vcc, s10, v96
	v_addc_co_u32_e32 v97, vcc, v93, v97, vcc
	global_load_dword v93, v[96:97], off
.LBB93_15:                              ;   in Loop: Header=BB93_6 Depth=1
	s_andn2_b64 vcc, exec, s[40:41]
	v_mov_b32_e32 v95, 0
	s_cbranch_vccnz .LBB93_5
; %bb.16:                               ;   in Loop: Header=BB93_6 Depth=1
	s_load_dword s31, s[34:35], 0xc
	v_mov_b32_e32 v95, 0
	s_waitcnt lgkmcnt(0)
	s_mul_hi_u32 s43, s31, s16
	s_add_i32 s43, s31, s43
	s_lshr_b32 s43, s43, s17
	s_cmp_ge_i32 s43, s13
	s_cbranch_scc1 .LBB93_5
; %bb.17:                               ;   in Loop: Header=BB93_6 Depth=1
	s_mul_i32 vcc_lo, s43, s18
	s_sub_i32 s31, s31, vcc_lo
	s_mul_i32 s31, s31, s1
	s_mul_i32 s43, s43, s20
	s_add_i32 s43, s43, s31
	v_add_u32_e32 v96, s43, v86
	v_ashrrev_i32_e32 v97, 31, v96
	v_lshlrev_b64 v[96:97], 2, v[96:97]
	v_mov_b32_e32 v95, s11
	v_add_co_u32_e32 v96, vcc, s10, v96
	v_addc_co_u32_e32 v97, vcc, v95, v97, vcc
	global_load_dword v95, v[96:97], off
	s_branch .LBB93_5
.LBB93_18:
	s_or_b64 exec, exec, s[8:9]
	v_readlane_b32 s24, v100, 6
	v_readlane_b32 s25, v100, 7
	;; [unrolled: 1-line block ×3, first 2 shown]
.LBB93_19:
	v_readlane_b32 s0, v100, 4
	v_readlane_b32 s1, v100, 5
	s_or_b64 exec, exec, s[0:1]
	v_mul_u32_u24_e32 v16, 0x708, v85
	v_lshlrev_b32_e32 v17, 2, v84
	v_add3_u32 v16, 0, v16, v17
	v_and_b32_e32 v17, 0x3f0, v82
	v_add_u32_e32 v17, v16, v17
	s_barrier
	ds_write2_b32 v17, v0, v1 offset1:1
	ds_write_b32 v17, v2 offset:8
	v_or_b32_e32 v0, 12, v82
	v_and_b32_e32 v0, 0x3fc, v0
	v_add_u32_e32 v0, v16, v0
	v_cmp_gt_u32_e32 vcc, 4, v83
	ds_write_b32 v0, v3
	ds_write2_b32 v17, v8, v9 offset0:16 offset1:17
	ds_write_b32 v17, v10 offset:72
	ds_write_b32 v0, v11 offset:64
	ds_write2_b32 v17, v4, v5 offset0:32 offset1:33
	ds_write_b32 v17, v6 offset:136
	ds_write_b32 v0, v7 offset:128
	;; [unrolled: 3-line block ×3, first 2 shown]
	s_waitcnt lgkmcnt(0)
	s_barrier
	s_and_saveexec_b64 s[0:1], vcc
	s_cbranch_execz .LBB93_23
; %bb.20:
	s_cmp_gt_i32 s14, 0
	v_or_b32_e32 v0, s6, v83
	s_cselect_b64 s[0:1], -1, 0
	v_cmp_gt_i32_e32 vcc, s33, v0
	s_and_b64 s[0:1], s[0:1], vcc
	s_and_b64 exec, exec, s[0:1]
	s_cbranch_execz .LBB93_23
; %bb.21:
	s_lshl_b64 s[0:1], s[26:27], 2
	v_readlane_b32 s4, v100, 0
	v_readlane_b32 s5, v100, 1
	s_add_u32 s0, s4, s0
	v_ashrrev_i32_e32 v1, 31, v0
	s_addc_u32 s1, s5, s1
	v_lshlrev_b64 v[0:1], 2, v[0:1]
	v_mov_b32_e32 v2, s1
	v_add_co_u32_e32 v0, vcc, s0, v0
	v_addc_co_u32_e32 v1, vcc, v2, v1, vcc
	global_load_dword v0, v[0:1], off
	s_waitcnt vmcnt(0)
	v_mul_hi_u32 v1, v0, s19
	v_add_u32_e32 v1, v0, v1
	v_lshrrev_b32_e32 v1, s24, v1
	v_cmp_gt_i32_e32 vcc, s13, v1
	s_and_b64 exec, exec, vcc
	s_cbranch_execz .LBB93_23
; %bb.22:
	v_lshlrev_b32_e32 v2, 2, v82
	v_mul_u32_u24_e32 v3, 0x708, v83
	v_add3_u32 v8, 0, v2, v3
	ds_read2st64_b32 v[2:3], v8 offset1:1
	ds_read2st64_b32 v[4:5], v8 offset0:2 offset1:3
	ds_read2st64_b32 v[6:7], v8 offset0:4 offset1:5
	ds_read_b32 v8, v8 offset:1536
	v_readlane_b32 s0, v100, 2
	s_waitcnt lgkmcnt(3)
	v_add_f32_e32 v2, 0, v2
	v_add_f32_e32 v2, v2, v3
	s_waitcnt lgkmcnt(2)
	v_add_f32_e32 v2, v2, v4
	v_mul_lo_u32 v4, v1, s25
	v_sub_u32_e32 v0, v0, v4
	v_add_u32_e32 v3, s7, v82
	v_mul_lo_u32 v0, v0, s2
	v_mul_lo_u32 v1, v1, s21
	v_add_f32_e32 v2, v2, v5
	v_add3_u32 v0, v3, v1, v0
	v_mov_b32_e32 v1, 0
	s_waitcnt lgkmcnt(1)
	v_add_f32_e32 v2, v2, v6
	v_lshlrev_b64 v[0:1], 2, v[0:1]
	v_readlane_b32 s1, v100, 3
	v_add_f32_e32 v2, v2, v7
	v_mov_b32_e32 v3, s1
	v_add_co_u32_e32 v0, vcc, s0, v0
	s_waitcnt lgkmcnt(0)
	v_add_f32_e32 v2, v2, v8
	v_addc_co_u32_e32 v1, vcc, v3, v1, vcc
	global_store_dword v[0:1], v2, off
.LBB93_23:
	s_endpgm
	.section	.rodata,"a",@progbits
	.p2align	6, 0x0
	.amdhsa_kernel _ZL13mul_mat_f_idsIfLi64ELi4ELi7EEvPKT_PKfPKiS6_S6_Pfiiiiiiiiiiiiii15HIP_vector_typeIjLj3EES9_
		.amdhsa_group_segment_fixed_size 0
		.amdhsa_private_segment_fixed_size 0
		.amdhsa_kernarg_size 128
		.amdhsa_user_sgpr_count 6
		.amdhsa_user_sgpr_private_segment_buffer 1
		.amdhsa_user_sgpr_dispatch_ptr 0
		.amdhsa_user_sgpr_queue_ptr 0
		.amdhsa_user_sgpr_kernarg_segment_ptr 1
		.amdhsa_user_sgpr_dispatch_id 0
		.amdhsa_user_sgpr_flat_scratch_init 0
		.amdhsa_user_sgpr_kernarg_preload_length 0
		.amdhsa_user_sgpr_kernarg_preload_offset 0
		.amdhsa_user_sgpr_private_segment_size 0
		.amdhsa_uses_dynamic_stack 0
		.amdhsa_system_sgpr_private_segment_wavefront_offset 0
		.amdhsa_system_sgpr_workgroup_id_x 1
		.amdhsa_system_sgpr_workgroup_id_y 1
		.amdhsa_system_sgpr_workgroup_id_z 1
		.amdhsa_system_sgpr_workgroup_info 0
		.amdhsa_system_vgpr_workitem_id 1
		.amdhsa_next_free_vgpr 101
		.amdhsa_next_free_sgpr 96
		.amdhsa_accum_offset 104
		.amdhsa_reserve_vcc 1
		.amdhsa_reserve_flat_scratch 0
		.amdhsa_float_round_mode_32 0
		.amdhsa_float_round_mode_16_64 0
		.amdhsa_float_denorm_mode_32 3
		.amdhsa_float_denorm_mode_16_64 3
		.amdhsa_dx10_clamp 1
		.amdhsa_ieee_mode 1
		.amdhsa_fp16_overflow 0
		.amdhsa_tg_split 0
		.amdhsa_exception_fp_ieee_invalid_op 0
		.amdhsa_exception_fp_denorm_src 0
		.amdhsa_exception_fp_ieee_div_zero 0
		.amdhsa_exception_fp_ieee_overflow 0
		.amdhsa_exception_fp_ieee_underflow 0
		.amdhsa_exception_fp_ieee_inexact 0
		.amdhsa_exception_int_div_zero 0
	.end_amdhsa_kernel
	.section	.text._ZL13mul_mat_f_idsIfLi64ELi4ELi7EEvPKT_PKfPKiS6_S6_Pfiiiiiiiiiiiiii15HIP_vector_typeIjLj3EES9_,"axG",@progbits,_ZL13mul_mat_f_idsIfLi64ELi4ELi7EEvPKT_PKfPKiS6_S6_Pfiiiiiiiiiiiiii15HIP_vector_typeIjLj3EES9_,comdat
.Lfunc_end93:
	.size	_ZL13mul_mat_f_idsIfLi64ELi4ELi7EEvPKT_PKfPKiS6_S6_Pfiiiiiiiiiiiiii15HIP_vector_typeIjLj3EES9_, .Lfunc_end93-_ZL13mul_mat_f_idsIfLi64ELi4ELi7EEvPKT_PKfPKiS6_S6_Pfiiiiiiiiiiiiii15HIP_vector_typeIjLj3EES9_
                                        ; -- End function
	.section	.AMDGPU.csdata,"",@progbits
; Kernel info:
; codeLenInByte = 5628
; NumSgprs: 100
; NumVgprs: 101
; NumAgprs: 0
; TotalNumVgprs: 101
; ScratchSize: 0
; MemoryBound: 0
; FloatMode: 240
; IeeeMode: 1
; LDSByteSize: 0 bytes/workgroup (compile time only)
; SGPRBlocks: 12
; VGPRBlocks: 12
; NumSGPRsForWavesPerEU: 100
; NumVGPRsForWavesPerEU: 101
; AccumOffset: 104
; Occupancy: 4
; WaveLimiterHint : 1
; COMPUTE_PGM_RSRC2:SCRATCH_EN: 0
; COMPUTE_PGM_RSRC2:USER_SGPR: 6
; COMPUTE_PGM_RSRC2:TRAP_HANDLER: 0
; COMPUTE_PGM_RSRC2:TGID_X_EN: 1
; COMPUTE_PGM_RSRC2:TGID_Y_EN: 1
; COMPUTE_PGM_RSRC2:TGID_Z_EN: 1
; COMPUTE_PGM_RSRC2:TIDIG_COMP_CNT: 1
; COMPUTE_PGM_RSRC3_GFX90A:ACCUM_OFFSET: 25
; COMPUTE_PGM_RSRC3_GFX90A:TG_SPLIT: 0
	.section	.text._ZL9mul_mat_fIfLi64ELi4ELi7ELb1EEvPKT_PKfPKiPfiiiiiiiiiiiiiiii,"axG",@progbits,_ZL9mul_mat_fIfLi64ELi4ELi7ELb1EEvPKT_PKfPKiPfiiiiiiiiiiiiiiii,comdat
	.globl	_ZL9mul_mat_fIfLi64ELi4ELi7ELb1EEvPKT_PKfPKiPfiiiiiiiiiiiiiiii ; -- Begin function _ZL9mul_mat_fIfLi64ELi4ELi7ELb1EEvPKT_PKfPKiPfiiiiiiiiiiiiiiii
	.p2align	8
	.type	_ZL9mul_mat_fIfLi64ELi4ELi7ELb1EEvPKT_PKfPKiPfiiiiiiiiiiiiiiii,@function
_ZL9mul_mat_fIfLi64ELi4ELi7ELb1EEvPKT_PKfPKiPfiiiiiiiiiiiiiiii: ; @_ZL9mul_mat_fIfLi64ELi4ELi7ELb1EEvPKT_PKfPKiPfiiiiiiiiiiiiiiii
; %bb.0:
	s_load_dwordx8 s[12:19], s[4:5], 0x20
	v_and_b32_e32 v16, 0x3ff, v0
	v_bfe_u32 v17, v0, 10, 10
	v_cmp_eq_u32_e32 vcc, 0, v16
	s_waitcnt lgkmcnt(0)
	s_add_i32 s0, s13, 3
	s_ashr_i32 s1, s0, 31
	s_lshr_b32 s1, s1, 30
	s_add_i32 s0, s0, s1
	s_ashr_i32 s0, s0, 2
	v_cvt_f32_u32_e32 v1, s0
	s_load_dwordx4 s[20:23], s[4:5], 0x44
	s_load_dword s1, s[4:5], 0x64
	s_sub_i32 s2, 0, s0
	s_add_u32 s10, s4, 0x60
	v_rcp_iflag_f32_e32 v1, v1
	s_addc_u32 s11, s5, 0
	v_mul_f32_e32 v1, 0x4f7ffffe, v1
	v_cvt_u32_f32_e32 v1, v1
	v_readfirstlane_b32 s3, v1
	s_mul_i32 s2, s2, s3
	s_mul_hi_u32 s2, s3, s2
	s_add_i32 s3, s3, s2
	s_waitcnt lgkmcnt(0)
	s_mul_hi_u32 s2, s1, s3
	s_mul_i32 s3, s2, s0
	s_sub_i32 s1, s1, s3
	s_add_i32 s9, s2, 1
	s_sub_i32 s3, s1, s0
	s_cmp_ge_u32 s1, s0
	s_cselect_b32 s2, s9, s2
	s_cselect_b32 s1, s3, s1
	s_add_i32 s3, s2, 1
	s_cmp_ge_u32 s1, s0
	s_cselect_b32 s2, s3, s2
	v_cvt_f32_u32_e32 v1, s2
	s_abs_i32 s33, s23
	v_cvt_f32_u32_e32 v2, s33
	s_sub_i32 s0, 0, s2
	v_rcp_iflag_f32_e32 v1, v1
	s_sub_i32 s1, 0, s33
	v_rcp_iflag_f32_e32 v2, v2
	v_mul_f32_e32 v1, 0x4f7ffffe, v1
	v_cvt_u32_f32_e32 v1, v1
	v_mul_f32_e32 v2, 0x4f7ffffe, v2
	v_cvt_u32_f32_e32 v2, v2
	v_readfirstlane_b32 s3, v1
	s_mul_i32 s0, s0, s3
	v_readfirstlane_b32 s34, v2
	s_mul_hi_u32 s0, s3, s0
	s_mul_i32 s1, s1, s34
	s_add_i32 s3, s3, s0
	s_mul_hi_u32 s9, s34, s1
	s_mul_hi_u32 s3, s7, s3
	s_and_saveexec_b64 s[0:1], vcc
	s_cbranch_execz .LBB94_2
; %bb.1:
	v_mov_b32_e32 v1, 0x100
	v_lshl_add_u32 v1, v17, 2, v1
	v_mov_b32_e32 v2, -1
	ds_write_b32 v1, v2
.LBB94_2:
	s_or_b64 exec, exec, s[0:1]
	s_mul_i32 s0, s3, s2
	s_load_dwordx4 s[24:27], s[4:5], 0x54
	s_sub_i32 s0, s7, s0
	s_waitcnt lgkmcnt(0)
	s_abs_i32 s27, s8
	s_add_i32 s34, s34, s9
	s_add_i32 s1, s3, 1
	s_sub_i32 s9, s0, s2
	s_cmp_ge_u32 s0, s2
	s_cselect_b32 s1, s1, s3
	s_cselect_b32 s0, s9, s0
	s_add_i32 s3, s1, 1
	s_cmp_ge_u32 s0, s2
	s_cselect_b32 s0, s3, s1
	s_lshl_b32 s9, s0, 2
	s_mul_i32 s1, s0, s2
	v_add_u32_e32 v1, s9, v17
	s_sub_i32 s7, s7, s1
	v_cmp_gt_i32_e32 vcc, s13, v1
	v_mov_b32_e32 v1, 0
	s_and_saveexec_b64 s[2:3], vcc
	s_cbranch_execz .LBB94_10
; %bb.3:
	v_cmp_gt_i32_e32 vcc, s14, v16
	v_mov_b32_e32 v1, 0
	s_and_saveexec_b64 s[28:29], vcc
	s_cbranch_execz .LBB94_9
; %bb.4:
	s_load_dwordx2 s[0:1], s[4:5], 0x10
	s_mul_hi_i32 s31, s9, s19
	s_mul_i32 s30, s9, s19
	v_mul_lo_u32 v2, v17, s19
	s_lshl_b64 s[30:31], s[30:31], 2
	s_waitcnt lgkmcnt(0)
	s_add_u32 s0, s0, s30
	v_ashrrev_i32_e32 v3, 31, v2
	s_addc_u32 s1, s1, s31
	v_lshlrev_b64 v[2:3], 2, v[2:3]
	v_mov_b32_e32 v4, s1
	v_add_co_u32_e32 v1, vcc, s0, v2
	v_mov_b32_e32 v2, 0x100
	v_addc_co_u32_e32 v4, vcc, v4, v3, vcc
	v_lshl_add_u32 v5, v17, 2, v2
	v_mul_lo_u32 v2, v16, s18
	s_lshl_b32 s35, s18, 6
	s_mov_b64 s[18:19], 0
	v_mov_b32_e32 v6, 0
	v_mov_b32_e32 v7, v16
	s_branch .LBB94_6
.LBB94_5:                               ;   in Loop: Header=BB94_6 Depth=1
	s_or_b64 exec, exec, s[30:31]
	v_add_u32_e32 v7, 64, v7
	v_cmp_le_i32_e64 s[0:1], s14, v7
	s_xor_b64 s[30:31], vcc, -1
	s_or_b64 s[0:1], s[30:31], s[0:1]
	s_and_b64 s[0:1], exec, s[0:1]
	s_or_b64 s[18:19], s[0:1], s[18:19]
	v_add_u32_e32 v2, s35, v2
	s_andn2_b64 exec, exec, s[18:19]
	s_cbranch_execz .LBB94_8
.LBB94_6:                               ; =>This Inner Loop Header: Depth=1
	v_ashrrev_i32_e32 v3, 31, v2
	v_lshlrev_b64 v[8:9], 2, v[2:3]
	v_add_co_u32_e32 v8, vcc, v1, v8
	v_addc_co_u32_e32 v9, vcc, v4, v9, vcc
	global_load_dword v3, v[8:9], off
	s_waitcnt vmcnt(0)
	v_cmp_ne_u32_e32 vcc, s7, v3
	v_cmp_eq_u32_e64 s[0:1], s7, v3
	s_and_saveexec_b64 s[30:31], s[0:1]
	s_cbranch_execz .LBB94_5
; %bb.7:                                ;   in Loop: Header=BB94_6 Depth=1
	v_mov_b32_e32 v6, 1
	ds_write_b32 v5, v7
	s_branch .LBB94_5
.LBB94_8:
	s_or_b64 exec, exec, s[18:19]
	v_cmp_ne_u32_e32 vcc, 0, v6
	v_cndmask_b32_e64 v1, 0, 1, vcc
.LBB94_9:
	s_or_b64 exec, exec, s[28:29]
.LBB94_10:
	s_or_b64 exec, exec, s[2:3]
	s_load_dwordx2 s[0:1], s[10:11], 0xc
	s_load_dwordx4 s[28:31], s[4:5], 0x0
	s_load_dwordx2 s[2:3], s[4:5], 0x18
	v_or_b32_dpp v1, v1, v1 row_shl:1 row_mask:0xf bank_mask:0xf bound_ctrl:1
	s_mul_hi_u32 s4, s27, s34
	s_waitcnt lgkmcnt(0)
	s_and_b32 s5, s1, 0xffff
	s_lshr_b32 s1, s0, 16
	s_and_b32 s0, s0, 0xffff
	v_or_b32_dpp v1, v1, v1 row_shl:2 row_mask:0xf bank_mask:0xf bound_ctrl:1
	s_mul_i32 s10, s1, s0
	s_bfe_i32 s10, s10, 0x180000
	v_or_b32_dpp v1, v1, v1 row_shl:4 row_mask:0xf bank_mask:0xf bound_ctrl:1
	s_mul_i32 s5, s10, s5
	s_add_i32 s10, s5, 63
	v_or_b32_dpp v1, v1, v1 row_shl:8 row_mask:0xf bank_mask:0xf bound_ctrl:1
	s_bitcmp1_b32 exec_hi, 0
	s_nop 0
	v_mov_b32_dpp v2, v1 wave_shl:1 row_mask:0xf bank_mask:0xf bound_ctrl:1
	s_nop 1
	v_or_b32_dpp v1, v2, v1 row_mirror row_mask:0xf bank_mask:0xf bound_ctrl:1
	v_readlane_b32 s5, v1, 32
	s_cselect_b32 s5, s5, 0
	v_readlane_b32 s11, v1, 0
	s_or_b32 s5, s5, s11
	s_andn2_b32 s10, s10, 63
	s_cmp_lg_u32 s10, 64
	v_mov_b32_e32 v1, s5
	s_cbranch_scc0 .LBB94_17
; %bb.11:
	v_bfe_u32 v0, v0, 20, 10
	v_mbcnt_lo_u32_b32 v1, -1, 0
	v_mad_u32_u24 v0, v0, s1, v17
	v_mbcnt_hi_u32_b32 v2, -1, v1
	v_mad_u64_u32 v[0:1], s[0:1], v0, s0, v[16:17]
	v_lshrrev_b32_e32 v1, 6, v0
	v_or_b32_e32 v1, v2, v1
	v_cmp_eq_u32_e32 vcc, 0, v1
	s_and_saveexec_b64 s[0:1], vcc
	s_cbranch_execz .LBB94_13
; %bb.12:
	v_mov_b32_e32 v1, 0
	v_mov_b32_e32 v3, s5
	ds_write_b32 v1, v3
.LBB94_13:
	s_or_b64 exec, exec, s[0:1]
	v_cmp_eq_u32_e32 vcc, 0, v2
	v_cmp_lt_u32_e64 s[0:1], 63, v0
	s_and_b64 s[10:11], s[0:1], vcc
	s_waitcnt lgkmcnt(0)
	s_barrier
	s_and_saveexec_b64 s[0:1], s[10:11]
	s_cbranch_execz .LBB94_16
; %bb.14:
	v_mbcnt_lo_u32_b32 v0, exec_lo, 0
	v_mbcnt_hi_u32_b32 v0, exec_hi, v0
	v_cmp_eq_u32_e32 vcc, 0, v0
	s_and_b64 exec, exec, vcc
	s_cbranch_execz .LBB94_16
; %bb.15:
	v_mov_b32_e32 v0, 0
	v_mov_b32_e32 v1, s5
	ds_or_b32 v0, v1
.LBB94_16:
	s_or_b64 exec, exec, s[0:1]
	v_mov_b32_e32 v0, 0
	s_waitcnt lgkmcnt(0)
	s_barrier
	ds_read_b32 v1, v0
	s_waitcnt lgkmcnt(0)
	s_barrier
.LBB94_17:
	v_cmp_ne_u32_e32 vcc, 0, v1
	s_ashr_i32 s5, s8, 31
	s_ashr_i32 s10, s23, 31
	s_cbranch_vccz .LBB94_43
; %bb.18:
	v_lshlrev_b32_e32 v84, 6, v17
	v_add_u32_e32 v86, v84, v16
	v_cmp_le_i32_e32 vcc, s12, v86
	v_and_b32_e32 v85, 15, v16
                                        ; implicit-def: $sgpr11
	s_and_saveexec_b64 s[0:1], vcc
	s_xor_b64 s[0:1], exec, s[0:1]
; %bb.19:
	v_and_b32_e32 v85, 15, v16
	s_mov_b32 s11, 0
                                        ; implicit-def: $vgpr86
; %bb.20:
	s_or_saveexec_b64 s[0:1], s[0:1]
	s_lshl_b32 s23, s6, 6
	v_mov_b32_e32 v11, s11
	v_mov_b32_e32 v10, s11
	;; [unrolled: 1-line block ×16, first 2 shown]
	s_xor_b64 exec, exec, s[0:1]
	s_cbranch_execz .LBB94_40
; %bb.21:
	s_mul_i32 s6, s4, s33
	s_sub_i32 s6, s27, s6
	s_xor_b32 s5, s5, s10
	s_add_i32 s10, s4, 1
	s_sub_i32 s11, s6, s33
	s_cmp_ge_u32 s6, s33
	s_cselect_b32 s4, s10, s4
	s_cselect_b32 s6, s11, s6
	s_add_i32 s10, s4, 1
	s_cmp_ge_u32 s6, s33
	s_cselect_b32 s4, s10, s4
	s_xor_b32 s4, s4, s5
	s_sub_i32 s4, s4, s5
	s_mul_hi_i32 s5, s4, s24
	s_mul_i32 s4, s4, s24
	s_mul_i32 s6, s7, s20
	s_ashr_i32 s7, s6, 31
	s_lshl_b64 s[34:35], s[4:5], 2
	s_add_u32 s4, s28, s34
	s_addc_u32 s5, s29, s35
	s_lshl_b64 s[36:37], s[6:7], 2
	s_mul_i32 s10, s23, s15
	s_add_u32 s4, s4, s36
	s_addc_u32 s5, s5, s37
	s_ashr_i32 s11, s10, 31
	s_lshl_b64 s[38:39], s[10:11], 2
	s_add_u32 s20, s4, s38
	s_movk_i32 s4, 0x1080
	v_mov_b32_e32 v87, 0x100
	s_addc_u32 s14, s5, s39
	v_mad_u32_u24 v0, v17, s4, v87
	s_mul_hi_i32 s5, s25, s8
	s_mul_i32 s4, s25, s8
	s_lshl_b64 s[4:5], s[4:5], 2
	s_mul_hi_i32 s7, s9, s16
	s_mul_i32 s6, s9, s16
	s_add_u32 s10, s30, s4
	s_addc_u32 s11, s31, s5
	s_lshl_b64 s[4:5], s[6:7], 2
	s_add_u32 s27, s10, s4
	s_addc_u32 s30, s11, s5
	s_cmp_lt_i32 s9, s13
	s_cselect_b64 s[4:5], -1, 0
	s_or_b32 s6, s9, 1
	s_cmp_lt_i32 s6, s13
	s_cselect_b64 s[6:7], -1, 0
	s_or_b32 s10, s9, 2
	s_cmp_lt_i32 s10, s13
	s_cselect_b64 s[10:11], -1, 0
	s_lshl_b32 s31, s16, 1
	s_or_b32 s18, s9, 3
	s_cmp_lt_i32 s18, s13
	s_cselect_b64 s[18:19], -1, 0
	s_ashr_i32 s25, s15, 31
	s_mov_b32 s24, s15
	s_lshl_b64 s[24:25], s[24:25], 2
	s_add_u32 s34, s34, s38
	s_addc_u32 s35, s35, s39
	s_add_u32 s34, s34, s36
	v_lshrrev_b32_e32 v2, 1, v16
	s_addc_u32 s35, s35, s37
	v_mul_u32_u24_e32 v1, 0x108, v85
	v_and_b32_e32 v2, 0x1f8, v2
	s_add_u32 s28, s28, s34
	v_lshl_add_u32 v88, v16, 2, v0
	v_add3_u32 v89, v0, v1, v2
	v_lshlrev_b32_e32 v0, 2, v86
	s_addc_u32 s29, s29, s35
	v_mov_b32_e32 v1, s29
	v_add_co_u32_e32 v18, vcc, s28, v0
	v_mov_b32_e32 v12, 0
	s_mul_i32 s33, s16, 3
	v_mov_b32_e32 v90, 0
	v_addc_co_u32_e32 v19, vcc, 0, v1, vcc
	s_lshl_b32 s28, s15, 1
	s_mul_i32 s29, s15, 3
	s_lshl_b32 s34, s15, 2
	s_mul_i32 s35, s15, 5
	s_mul_i32 s36, s15, 6
	;; [unrolled: 1-line block ×3, first 2 shown]
	s_lshl_b32 s38, s15, 3
	s_mul_i32 s39, s15, 9
	s_mul_i32 s40, s15, 10
	;; [unrolled: 1-line block ×7, first 2 shown]
	s_lshl_b32 s46, s15, 4
	s_mul_i32 s47, s15, 17
	s_mul_i32 s48, s15, 18
	;; [unrolled: 1-line block ×15, first 2 shown]
	s_lshl_b32 s62, s15, 5
	s_mul_i32 s63, s15, 33
	s_mul_i32 s64, s15, 34
	;; [unrolled: 1-line block ×27, first 2 shown]
	v_mov_b32_e32 v91, s14
	s_mul_i32 s90, s15, 60
	v_mov_b32_e32 v92, s25
	v_mov_b32_e32 v13, v12
	;; [unrolled: 1-line block ×16, first 2 shown]
	s_mul_i32 s25, s15, 61
	s_mul_i32 s91, s15, 62
	;; [unrolled: 1-line block ×3, first 2 shown]
	s_mov_b64 s[14:15], 0
	s_branch .LBB94_24
.LBB94_22:                              ;   in Loop: Header=BB94_24 Depth=1
	v_mul_lo_u32 v93, v93, s21
	v_add_u32_e32 v93, s33, v93
	v_add_u32_e32 v94, v93, v86
	v_ashrrev_i32_e32 v95, 31, v94
	v_lshlrev_b64 v[94:95], 2, v[94:95]
	v_mov_b32_e32 v93, s30
	v_add_co_u32_e32 v94, vcc, s27, v94
	v_addc_co_u32_e32 v95, vcc, v93, v95, vcc
	global_load_dword v93, v[94:95], off
.LBB94_23:                              ;   in Loop: Header=BB94_24 Depth=1
	v_add_u32_e32 v94, 0x200, v88
	s_waitcnt vmcnt(0)
	ds_write2_b32 v94, v93, v90 offset0:86 offset1:152
	v_add_u32_e32 v93, 0x400, v88
	ds_write2_b32 v93, v90, v90 offset0:90 offset1:156
	v_add_u32_e32 v93, 0x600, v88
	;; [unrolled: 2-line block ×5, first 2 shown]
	ds_write2_b32 v93, v90, v90 offset0:106 offset1:172
	ds_write_b32 v88, v90 offset:4024
	ds_read2_b64 v[94:97], v89 offset0:8 offset1:12
	s_waitcnt lgkmcnt(0)
	v_mfma_f32_16x16x4f32 v[8:11], v48, v94, v[8:11]
	v_add_co_u32_e32 v18, vcc, 0x700, v18
	v_add_u32_e32 v86, 0x1c0, v86
	v_addc_co_u32_e32 v19, vcc, 0, v19, vcc
	v_cmp_le_i32_e32 vcc, s12, v86
	s_or_b64 s[14:15], vcc, s[14:15]
	v_mfma_f32_16x16x4f32 v[4:7], v60, v94, v[4:7]
	v_mfma_f32_16x16x4f32 v[0:3], v66, v94, v[0:3]
	;; [unrolled: 1-line block ×14, first 2 shown]
	ds_read2_b64 v[64:67], v89 offset0:16 offset1:20
	v_mfma_f32_16x16x4f32 v[12:15], v81, v97, v[12:15]
	s_waitcnt lgkmcnt(0)
	v_mfma_f32_16x16x4f32 v[8:11], v36, v64, v[8:11]
	v_mfma_f32_16x16x4f32 v[4:7], v52, v64, v[4:7]
	;; [unrolled: 1-line block ×14, first 2 shown]
	ds_read2_b64 v[46:49], v89 offset0:24 offset1:28
	v_mfma_f32_16x16x4f32 v[0:3], v59, v67, v[0:3]
	v_mfma_f32_16x16x4f32 v[12:15], v77, v67, v[12:15]
	s_waitcnt lgkmcnt(0)
	v_mfma_f32_16x16x4f32 v[8:11], v28, v46, v[8:11]
	v_mfma_f32_16x16x4f32 v[4:7], v40, v46, v[4:7]
	;; [unrolled: 1-line block ×14, first 2 shown]
	ds_read2_b64 v[32:35], v89 offset0:32 offset1:36
	v_mfma_f32_16x16x4f32 v[0:3], v51, v49, v[0:3]
	v_mfma_f32_16x16x4f32 v[12:15], v73, v49, v[12:15]
	s_waitcnt lgkmcnt(0)
	v_mfma_f32_16x16x4f32 v[8:11], v22, v32, v[8:11]
	v_mfma_f32_16x16x4f32 v[4:7], v30, v32, v[4:7]
	;; [unrolled: 1-line block ×16, first 2 shown]
	s_andn2_b64 exec, exec, s[14:15]
	s_cbranch_execz .LBB94_39
.LBB94_24:                              ; =>This Inner Loop Header: Depth=1
	v_add_co_u32_e32 v20, vcc, s24, v18
	v_addc_co_u32_e32 v21, vcc, v19, v92, vcc
	global_load_dword v32, v[18:19], off
	global_load_dword v33, v[20:21], off
	v_add_u32_e32 v20, s28, v86
	v_ashrrev_i32_e32 v21, 31, v20
	v_lshlrev_b64 v[20:21], 2, v[20:21]
	v_add_u32_e32 v22, s29, v86
	v_add_co_u32_e32 v20, vcc, s20, v20
	v_ashrrev_i32_e32 v23, 31, v22
	v_addc_co_u32_e32 v21, vcc, v91, v21, vcc
	v_lshlrev_b64 v[22:23], 2, v[22:23]
	v_add_u32_e32 v24, s34, v86
	v_add_co_u32_e32 v22, vcc, s20, v22
	v_ashrrev_i32_e32 v25, 31, v24
	v_addc_co_u32_e32 v23, vcc, v91, v23, vcc
	;; [unrolled: 5-line block ×5, first 2 shown]
	v_lshlrev_b64 v[30:31], 2, v[30:31]
	v_add_co_u32_e32 v30, vcc, s20, v30
	v_addc_co_u32_e32 v31, vcc, v91, v31, vcc
	global_load_dword v34, v[20:21], off
	global_load_dword v35, v[22:23], off
	;; [unrolled: 1-line block ×3, first 2 shown]
	s_nop 0
	global_load_dword v26, v[26:27], off
	s_nop 0
	global_load_dword v27, v[28:29], off
	;; [unrolled: 2-line block ×3, first 2 shown]
	v_add_u32_e32 v20, s38, v86
	v_ashrrev_i32_e32 v21, 31, v20
	v_add_u32_e32 v22, s39, v86
	v_lshlrev_b64 v[20:21], 2, v[20:21]
	v_ashrrev_i32_e32 v23, 31, v22
	v_add_co_u32_e32 v20, vcc, s20, v20
	v_add_u32_e32 v24, s40, v86
	v_lshlrev_b64 v[22:23], 2, v[22:23]
	v_addc_co_u32_e32 v21, vcc, v91, v21, vcc
	v_ashrrev_i32_e32 v25, 31, v24
	v_add_co_u32_e32 v22, vcc, s20, v22
	v_lshlrev_b64 v[24:25], 2, v[24:25]
	v_addc_co_u32_e32 v23, vcc, v91, v23, vcc
	global_load_dword v20, v[20:21], off
	s_nop 0
	global_load_dword v21, v[22:23], off
	v_add_u32_e32 v22, s41, v86
	v_add_co_u32_e32 v24, vcc, s20, v24
	v_ashrrev_i32_e32 v23, 31, v22
	v_addc_co_u32_e32 v25, vcc, v91, v25, vcc
	v_lshlrev_b64 v[22:23], 2, v[22:23]
	v_add_u32_e32 v40, s53, v86
	v_ashrrev_i32_e32 v41, 31, v40
	v_lshlrev_b64 v[40:41], 2, v[40:41]
	v_add_u32_e32 v42, s54, v86
	v_ashrrev_i32_e32 v43, 31, v42
	;; [unrolled: 3-line block ×5, first 2 shown]
	v_lshlrev_b64 v[60:61], 2, v[60:61]
	s_waitcnt vmcnt(9)
	ds_write_b32 v88, v32 offset:64
	s_waitcnt vmcnt(8)
	ds_write_b32 v88, v33 offset:328
	;; [unrolled: 2-line block ×8, first 2 shown]
	v_add_co_u32_e32 v26, vcc, s20, v22
	v_add_u32_e32 v22, s42, v86
	v_addc_co_u32_e32 v27, vcc, v91, v23, vcc
	v_ashrrev_i32_e32 v23, 31, v22
	v_lshlrev_b64 v[22:23], 2, v[22:23]
	v_add_co_u32_e32 v28, vcc, s20, v22
	v_add_u32_e32 v22, s43, v86
	v_addc_co_u32_e32 v29, vcc, v91, v23, vcc
	v_ashrrev_i32_e32 v23, 31, v22
	v_lshlrev_b64 v[22:23], 2, v[22:23]
	v_add_co_u32_e32 v30, vcc, s20, v22
	v_add_u32_e32 v22, s44, v86
	v_addc_co_u32_e32 v31, vcc, v91, v23, vcc
	v_ashrrev_i32_e32 v23, 31, v22
	v_lshlrev_b64 v[22:23], 2, v[22:23]
	v_add_co_u32_e32 v32, vcc, s20, v22
	v_add_u32_e32 v22, s45, v86
	v_addc_co_u32_e32 v33, vcc, v91, v23, vcc
	v_ashrrev_i32_e32 v23, 31, v22
	v_lshlrev_b64 v[22:23], 2, v[22:23]
	v_add_co_u32_e32 v34, vcc, s20, v22
	v_add_u32_e32 v22, s46, v86
	v_addc_co_u32_e32 v35, vcc, v91, v23, vcc
	v_ashrrev_i32_e32 v23, 31, v22
	v_lshlrev_b64 v[22:23], 2, v[22:23]
	v_add_co_u32_e32 v36, vcc, s20, v22
	v_add_u32_e32 v22, s47, v86
	v_addc_co_u32_e32 v37, vcc, v91, v23, vcc
	v_ashrrev_i32_e32 v23, 31, v22
	v_lshlrev_b64 v[22:23], 2, v[22:23]
	v_add_co_u32_e32 v38, vcc, s20, v22
	v_addc_co_u32_e32 v39, vcc, v91, v23, vcc
	global_load_dword v22, v[24:25], off
	global_load_dword v23, v[26:27], off
	s_nop 0
	global_load_dword v24, v[28:29], off
	global_load_dword v25, v[30:31], off
	s_nop 0
	global_load_dword v28, v[32:33], off
	global_load_dword v29, v[34:35], off
	;; [unrolled: 1-line block ×4, first 2 shown]
	v_add_u32_e32 v30, s48, v86
	v_ashrrev_i32_e32 v31, 31, v30
	v_lshlrev_b64 v[30:31], 2, v[30:31]
	v_add_u32_e32 v32, s49, v86
	v_add_co_u32_e32 v30, vcc, s20, v30
	v_ashrrev_i32_e32 v33, 31, v32
	v_addc_co_u32_e32 v31, vcc, v91, v31, vcc
	v_lshlrev_b64 v[32:33], 2, v[32:33]
	v_add_u32_e32 v34, s50, v86
	v_add_co_u32_e32 v32, vcc, s20, v32
	v_ashrrev_i32_e32 v35, 31, v34
	v_addc_co_u32_e32 v33, vcc, v91, v33, vcc
	;; [unrolled: 5-line block ×4, first 2 shown]
	v_lshlrev_b64 v[38:39], 2, v[38:39]
	v_add_co_u32_e32 v38, vcc, s20, v38
	v_addc_co_u32_e32 v39, vcc, v91, v39, vcc
	v_add_co_u32_e32 v40, vcc, s20, v40
	v_addc_co_u32_e32 v41, vcc, v91, v41, vcc
	;; [unrolled: 2-line block ×4, first 2 shown]
	global_load_dword v30, v[30:31], off
	s_nop 0
	global_load_dword v31, v[32:33], off
	s_nop 0
	global_load_dword v34, v[34:35], off
	s_nop 0
	global_load_dword v35, v[36:37], off
	s_nop 0
	global_load_dword v38, v[38:39], off
	s_nop 0
	global_load_dword v39, v[40:41], off
	s_nop 0
	global_load_dword v40, v[42:43], off
	global_load_dword v41, v[44:45], off
	v_add_u32_e32 v32, s56, v86
	v_ashrrev_i32_e32 v33, 31, v32
	v_lshlrev_b64 v[32:33], 2, v[32:33]
	v_add_u32_e32 v36, s57, v86
	v_add_co_u32_e32 v32, vcc, s20, v32
	v_ashrrev_i32_e32 v37, 31, v36
	v_addc_co_u32_e32 v33, vcc, v91, v33, vcc
	v_lshlrev_b64 v[36:37], 2, v[36:37]
	v_add_u32_e32 v42, s58, v86
	v_add_co_u32_e32 v36, vcc, s20, v36
	v_ashrrev_i32_e32 v43, 31, v42
	v_addc_co_u32_e32 v37, vcc, v91, v37, vcc
	;; [unrolled: 5-line block ×3, first 2 shown]
	v_lshlrev_b64 v[44:45], 2, v[44:45]
	v_add_co_u32_e32 v44, vcc, s20, v44
	v_addc_co_u32_e32 v45, vcc, v91, v45, vcc
	v_add_co_u32_e32 v48, vcc, s20, v46
	v_add_u32_e32 v46, s61, v86
	v_addc_co_u32_e32 v49, vcc, v91, v47, vcc
	v_ashrrev_i32_e32 v47, 31, v46
	v_lshlrev_b64 v[46:47], 2, v[46:47]
	v_add_co_u32_e32 v54, vcc, s20, v46
	v_add_u32_e32 v46, s62, v86
	v_addc_co_u32_e32 v55, vcc, v91, v47, vcc
	v_ashrrev_i32_e32 v47, 31, v46
	v_lshlrev_b64 v[46:47], 2, v[46:47]
	v_add_co_u32_e32 v56, vcc, s20, v46
	v_add_u32_e32 v46, s63, v86
	v_addc_co_u32_e32 v57, vcc, v91, v47, vcc
	v_ashrrev_i32_e32 v47, 31, v46
	v_lshlrev_b64 v[46:47], 2, v[46:47]
	v_add_co_u32_e32 v58, vcc, s20, v46
	v_addc_co_u32_e32 v59, vcc, v91, v47, vcc
	global_load_dword v46, v[32:33], off
	global_load_dword v47, v[36:37], off
	;; [unrolled: 1-line block ×6, first 2 shown]
	s_nop 0
	global_load_dword v44, v[56:57], off
	global_load_dword v45, v[58:59], off
	v_add_u32_e32 v32, s64, v86
	v_ashrrev_i32_e32 v33, 31, v32
	v_lshlrev_b64 v[32:33], 2, v[32:33]
	v_add_u32_e32 v36, s65, v86
	v_add_co_u32_e32 v32, vcc, s20, v32
	v_ashrrev_i32_e32 v37, 31, v36
	v_addc_co_u32_e32 v33, vcc, v91, v33, vcc
	v_lshlrev_b64 v[36:37], 2, v[36:37]
	v_add_u32_e32 v42, s66, v86
	v_add_co_u32_e32 v36, vcc, s20, v36
	v_ashrrev_i32_e32 v43, 31, v42
	v_addc_co_u32_e32 v37, vcc, v91, v37, vcc
	v_lshlrev_b64 v[42:43], 2, v[42:43]
	v_add_u32_e32 v48, s67, v86
	v_add_co_u32_e32 v42, vcc, s20, v42
	v_ashrrev_i32_e32 v49, 31, v48
	v_addc_co_u32_e32 v43, vcc, v91, v43, vcc
	v_lshlrev_b64 v[48:49], 2, v[48:49]
	v_add_u32_e32 v54, s68, v86
	v_add_co_u32_e32 v48, vcc, s20, v48
	v_ashrrev_i32_e32 v55, 31, v54
	v_addc_co_u32_e32 v49, vcc, v91, v49, vcc
	v_lshlrev_b64 v[54:55], 2, v[54:55]
	v_add_u32_e32 v56, s69, v86
	v_add_co_u32_e32 v54, vcc, s20, v54
	v_ashrrev_i32_e32 v57, 31, v56
	v_addc_co_u32_e32 v55, vcc, v91, v55, vcc
	v_lshlrev_b64 v[56:57], 2, v[56:57]
	v_add_u32_e32 v58, s70, v86
	v_add_co_u32_e32 v56, vcc, s20, v56
	v_ashrrev_i32_e32 v59, 31, v58
	v_addc_co_u32_e32 v57, vcc, v91, v57, vcc
	v_lshlrev_b64 v[58:59], 2, v[58:59]
	v_add_co_u32_e32 v58, vcc, s20, v58
	v_addc_co_u32_e32 v59, vcc, v91, v59, vcc
	v_add_co_u32_e32 v60, vcc, s20, v60
	v_addc_co_u32_e32 v61, vcc, v91, v61, vcc
	global_load_dword v62, v[32:33], off
	global_load_dword v63, v[36:37], off
	global_load_dword v64, v[42:43], off
	global_load_dword v65, v[48:49], off
	global_load_dword v66, v[54:55], off
	global_load_dword v67, v[56:57], off
	global_load_dword v68, v[58:59], off
	global_load_dword v69, v[60:61], off
	v_add_u32_e32 v32, s72, v86
	v_ashrrev_i32_e32 v33, 31, v32
	v_lshlrev_b64 v[32:33], 2, v[32:33]
	v_add_u32_e32 v36, s73, v86
	v_add_co_u32_e32 v32, vcc, s20, v32
	v_ashrrev_i32_e32 v37, 31, v36
	v_addc_co_u32_e32 v33, vcc, v91, v33, vcc
	v_lshlrev_b64 v[36:37], 2, v[36:37]
	v_add_u32_e32 v42, s74, v86
	v_add_co_u32_e32 v36, vcc, s20, v36
	v_ashrrev_i32_e32 v43, 31, v42
	v_addc_co_u32_e32 v37, vcc, v91, v37, vcc
	;; [unrolled: 5-line block ×7, first 2 shown]
	v_lshlrev_b64 v[60:61], 2, v[60:61]
	v_add_co_u32_e32 v60, vcc, s20, v60
	v_addc_co_u32_e32 v61, vcc, v91, v61, vcc
	global_load_dword v70, v[32:33], off
	global_load_dword v71, v[36:37], off
	;; [unrolled: 1-line block ×8, first 2 shown]
	v_add_u32_e32 v32, s80, v86
	v_ashrrev_i32_e32 v33, 31, v32
	v_lshlrev_b64 v[32:33], 2, v[32:33]
	v_add_u32_e32 v36, s81, v86
	v_add_co_u32_e32 v32, vcc, s20, v32
	v_ashrrev_i32_e32 v37, 31, v36
	v_addc_co_u32_e32 v33, vcc, v91, v33, vcc
	v_lshlrev_b64 v[36:37], 2, v[36:37]
	v_add_u32_e32 v42, s82, v86
	v_add_co_u32_e32 v36, vcc, s20, v36
	v_ashrrev_i32_e32 v43, 31, v42
	v_addc_co_u32_e32 v37, vcc, v91, v37, vcc
	;; [unrolled: 5-line block ×7, first 2 shown]
	v_lshlrev_b64 v[60:61], 2, v[60:61]
	v_add_co_u32_e32 v60, vcc, s20, v60
	v_addc_co_u32_e32 v61, vcc, v91, v61, vcc
	global_load_dword v78, v[32:33], off
	global_load_dword v79, v[36:37], off
	;; [unrolled: 1-line block ×8, first 2 shown]
	v_add_u32_e32 v32, s88, v86
	v_ashrrev_i32_e32 v33, 31, v32
	v_lshlrev_b64 v[32:33], 2, v[32:33]
	v_add_u32_e32 v36, s89, v86
	v_add_co_u32_e32 v32, vcc, s20, v32
	v_ashrrev_i32_e32 v37, 31, v36
	v_addc_co_u32_e32 v33, vcc, v91, v33, vcc
	v_lshlrev_b64 v[36:37], 2, v[36:37]
	v_add_u32_e32 v42, s90, v86
	v_add_co_u32_e32 v36, vcc, s20, v36
	v_ashrrev_i32_e32 v43, 31, v42
	v_addc_co_u32_e32 v37, vcc, v91, v37, vcc
	;; [unrolled: 5-line block ×5, first 2 shown]
	v_lshlrev_b64 v[56:57], 2, v[56:57]
	v_add_co_u32_e32 v56, vcc, s20, v56
	v_addc_co_u32_e32 v57, vcc, v91, v57, vcc
	global_load_dword v95, v[32:33], off
	global_load_dword v96, v[36:37], off
	;; [unrolled: 1-line block ×6, first 2 shown]
	s_waitcnt vmcnt(55)
	ds_write_b32 v88, v20 offset:2176
	s_waitcnt vmcnt(54)
	ds_write_b32 v88, v21 offset:2440
	s_waitcnt vmcnt(53)
	ds_write_b32 v88, v22 offset:2704
	s_waitcnt vmcnt(52)
	ds_write_b32 v88, v23 offset:2968
	s_waitcnt vmcnt(51)
	ds_write_b32 v88, v24 offset:3232
	s_waitcnt vmcnt(50)
	ds_write_b32 v88, v25 offset:3496
	s_waitcnt vmcnt(49)
	ds_write_b32 v88, v28 offset:3760
	s_waitcnt vmcnt(48)
	ds_write_b32 v88, v29 offset:4024
	ds_read_b64 v[48:49], v89 offset:64
	ds_read_b64 v[42:43], v89 offset:96
	ds_read_b64 v[36:37], v89 offset:128
	ds_read_b64 v[32:33], v89 offset:160
	ds_read_b64 v[28:29], v89 offset:192
	ds_read_b64 v[24:25], v89 offset:224
	ds_read_b64 v[22:23], v89 offset:256
	ds_read_b64 v[20:21], v89 offset:288
	s_waitcnt vmcnt(47)
	ds_write_b32 v88, v26 offset:64
	s_waitcnt vmcnt(46)
	ds_write_b32 v88, v27 offset:328
	s_waitcnt vmcnt(45)
	ds_write_b32 v88, v30 offset:592
	s_waitcnt vmcnt(44)
	ds_write_b32 v88, v31 offset:856
	s_waitcnt vmcnt(43)
	ds_write_b32 v88, v34 offset:1120
	s_waitcnt vmcnt(42)
	ds_write_b32 v88, v35 offset:1384
	s_waitcnt vmcnt(41)
	ds_write_b32 v88, v38 offset:1648
	s_waitcnt vmcnt(40)
	ds_write_b32 v88, v39 offset:1912
	s_waitcnt vmcnt(39)
	ds_write_b32 v88, v40 offset:2176
	s_waitcnt vmcnt(38)
	ds_write_b32 v88, v41 offset:2440
	s_waitcnt vmcnt(37)
	ds_write_b32 v88, v46 offset:2704
	s_waitcnt vmcnt(36)
	ds_write_b32 v88, v47 offset:2968
	s_waitcnt vmcnt(35)
	ds_write_b32 v88, v50 offset:3232
	s_waitcnt vmcnt(34)
	ds_write_b32 v88, v51 offset:3496
	s_waitcnt vmcnt(33)
	ds_write_b32 v88, v52 offset:3760
	s_waitcnt vmcnt(32)
	ds_write_b32 v88, v53 offset:4024
	ds_read_b64 v[60:61], v89 offset:64
	ds_read_b64 v[56:57], v89 offset:96
	ds_read_b64 v[52:53], v89 offset:128
	ds_read_b64 v[46:47], v89 offset:160
	ds_read_b64 v[40:41], v89 offset:192
	ds_read_b64 v[34:35], v89 offset:224
	ds_read_b64 v[30:31], v89 offset:256
	ds_read_b64 v[26:27], v89 offset:288
	s_waitcnt vmcnt(31)
	ds_write_b32 v88, v44 offset:64
	s_waitcnt vmcnt(30)
	ds_write_b32 v88, v45 offset:328
	s_waitcnt vmcnt(29)
	ds_write_b32 v88, v62 offset:592
	s_waitcnt vmcnt(28)
	ds_write_b32 v88, v63 offset:856
	s_waitcnt vmcnt(27)
	ds_write_b32 v88, v64 offset:1120
	s_waitcnt vmcnt(26)
	ds_write_b32 v88, v65 offset:1384
	s_waitcnt vmcnt(25)
	ds_write_b32 v88, v66 offset:1648
	s_waitcnt vmcnt(24)
	ds_write_b32 v88, v67 offset:1912
	s_waitcnt vmcnt(23)
	ds_write_b32 v88, v68 offset:2176
	s_waitcnt vmcnt(22)
	ds_write_b32 v88, v69 offset:2440
	s_waitcnt vmcnt(21)
	ds_write_b32 v88, v70 offset:2704
	s_waitcnt vmcnt(20)
	ds_write_b32 v88, v71 offset:2968
	s_waitcnt vmcnt(19)
	ds_write_b32 v88, v72 offset:3232
	s_waitcnt vmcnt(18)
	ds_write_b32 v88, v73 offset:3496
	s_waitcnt vmcnt(17)
	ds_write_b32 v88, v74 offset:3760
	s_waitcnt vmcnt(16)
	ds_write_b32 v88, v75 offset:4024
	ds_read_b64 v[66:67], v89 offset:64
	ds_read_b64 v[64:65], v89 offset:96
	ds_read_b64 v[62:63], v89 offset:128
	ds_read_b64 v[58:59], v89 offset:160
	ds_read_b64 v[54:55], v89 offset:192
	ds_read_b64 v[50:51], v89 offset:224
	ds_read_b64 v[44:45], v89 offset:256
	ds_read_b64 v[38:39], v89 offset:288
	s_waitcnt vmcnt(15)
	ds_write_b32 v88, v76 offset:64
	s_waitcnt vmcnt(14)
	ds_write_b32 v88, v77 offset:328
	s_waitcnt vmcnt(13)
	ds_write_b32 v88, v78 offset:592
	s_waitcnt vmcnt(12)
	ds_write_b32 v88, v79 offset:856
	s_waitcnt vmcnt(11)
	ds_write_b32 v88, v80 offset:1120
	s_waitcnt vmcnt(10)
	ds_write_b32 v88, v81 offset:1384
	s_waitcnt vmcnt(9)
	ds_write_b32 v88, v82 offset:1648
	s_waitcnt vmcnt(8)
	ds_write_b32 v88, v83 offset:1912
	s_waitcnt vmcnt(7)
	ds_write_b32 v88, v93 offset:2176
	s_waitcnt vmcnt(6)
	ds_write_b32 v88, v94 offset:2440
	;; [unrolled: 2-line block ×8, first 2 shown]
	ds_read_b64 v[82:83], v89 offset:64
	ds_read_b64 v[80:81], v89 offset:96
	;; [unrolled: 1-line block ×8, first 2 shown]
	s_andn2_b64 vcc, exec, s[4:5]
	v_mov_b32_e32 v93, 0
	s_cbranch_vccnz .LBB94_28
; %bb.25:                               ;   in Loop: Header=BB94_24 Depth=1
	ds_read_b32 v93, v87
	s_waitcnt lgkmcnt(0)
	v_cmp_gt_i32_e32 vcc, 0, v93
	s_cbranch_vccnz .LBB94_27
; %bb.26:                               ;   in Loop: Header=BB94_24 Depth=1
	v_mul_lo_u32 v93, v93, s21
	v_add_u32_e32 v94, v86, v93
	v_ashrrev_i32_e32 v95, 31, v94
	v_lshlrev_b64 v[94:95], 2, v[94:95]
	v_mov_b32_e32 v93, s30
	v_add_co_u32_e32 v94, vcc, s27, v94
	v_addc_co_u32_e32 v95, vcc, v93, v95, vcc
	global_load_dword v93, v[94:95], off
	s_branch .LBB94_28
.LBB94_27:                              ;   in Loop: Header=BB94_24 Depth=1
	v_mov_b32_e32 v93, 0
.LBB94_28:                              ;   in Loop: Header=BB94_24 Depth=1
	s_waitcnt vmcnt(0)
	ds_write_b32 v88, v93 offset:64
	s_andn2_b64 vcc, exec, s[6:7]
	v_mov_b32_e32 v93, 0
	v_mov_b32_e32 v94, 0
	s_cbranch_vccz .LBB94_31
; %bb.29:                               ;   in Loop: Header=BB94_24 Depth=1
	s_andn2_b64 vcc, exec, s[10:11]
	ds_write_b32 v88, v94 offset:328
	s_cbranch_vccz .LBB94_34
.LBB94_30:                              ;   in Loop: Header=BB94_24 Depth=1
	ds_write_b32 v88, v93 offset:592
	s_andn2_b64 vcc, exec, s[18:19]
	v_mov_b32_e32 v93, 0
	s_cbranch_vccnz .LBB94_23
	s_branch .LBB94_37
.LBB94_31:                              ;   in Loop: Header=BB94_24 Depth=1
	ds_read_b32 v94, v87 offset:4
	s_waitcnt lgkmcnt(0)
	v_cmp_gt_i32_e32 vcc, 0, v94
	s_cbranch_vccnz .LBB94_33
; %bb.32:                               ;   in Loop: Header=BB94_24 Depth=1
	v_mul_lo_u32 v94, v94, s21
	v_add_u32_e32 v94, s16, v94
	v_add_u32_e32 v94, v94, v86
	v_ashrrev_i32_e32 v95, 31, v94
	v_lshlrev_b64 v[94:95], 2, v[94:95]
	v_mov_b32_e32 v96, s30
	v_add_co_u32_e32 v94, vcc, s27, v94
	v_addc_co_u32_e32 v95, vcc, v96, v95, vcc
	global_load_dword v94, v[94:95], off
	s_andn2_b64 vcc, exec, s[10:11]
	s_waitcnt vmcnt(0)
	ds_write_b32 v88, v94 offset:328
	s_cbranch_vccnz .LBB94_30
	s_branch .LBB94_34
.LBB94_33:                              ;   in Loop: Header=BB94_24 Depth=1
	v_mov_b32_e32 v94, 0
	s_andn2_b64 vcc, exec, s[10:11]
	ds_write_b32 v88, v94 offset:328
	s_cbranch_vccnz .LBB94_30
.LBB94_34:                              ;   in Loop: Header=BB94_24 Depth=1
	ds_read_b32 v93, v87 offset:8
	s_waitcnt lgkmcnt(0)
	v_cmp_gt_i32_e32 vcc, 0, v93
	s_cbranch_vccnz .LBB94_36
; %bb.35:                               ;   in Loop: Header=BB94_24 Depth=1
	v_mul_lo_u32 v93, v93, s21
	v_add_u32_e32 v93, s31, v93
	v_add_u32_e32 v94, v93, v86
	v_ashrrev_i32_e32 v95, 31, v94
	v_lshlrev_b64 v[94:95], 2, v[94:95]
	v_mov_b32_e32 v93, s30
	v_add_co_u32_e32 v94, vcc, s27, v94
	v_addc_co_u32_e32 v95, vcc, v93, v95, vcc
	global_load_dword v93, v[94:95], off
	s_waitcnt vmcnt(0)
	ds_write_b32 v88, v93 offset:592
	s_andn2_b64 vcc, exec, s[18:19]
	v_mov_b32_e32 v93, 0
	s_cbranch_vccnz .LBB94_23
	s_branch .LBB94_37
.LBB94_36:                              ;   in Loop: Header=BB94_24 Depth=1
	v_mov_b32_e32 v93, 0
	ds_write_b32 v88, v93 offset:592
	s_andn2_b64 vcc, exec, s[18:19]
	v_mov_b32_e32 v93, 0
	s_cbranch_vccnz .LBB94_23
.LBB94_37:                              ;   in Loop: Header=BB94_24 Depth=1
	ds_read_b32 v93, v87 offset:12
	s_waitcnt lgkmcnt(0)
	v_cmp_gt_i32_e32 vcc, 0, v93
	s_cbranch_vccz .LBB94_22
; %bb.38:                               ;   in Loop: Header=BB94_24 Depth=1
	v_mov_b32_e32 v93, 0
	s_branch .LBB94_23
.LBB94_39:
	s_or_b64 exec, exec, s[14:15]
.LBB94_40:
	s_or_b64 exec, exec, s[0:1]
	v_mul_u32_u24_e32 v18, 0x708, v85
	s_movk_i32 s4, 0x100
	v_lshlrev_b32_e32 v19, 2, v84
	v_add3_u32 v18, s4, v18, v19
	v_and_b32_e32 v20, 0x3f0, v16
	v_add_u32_e32 v21, v18, v20
	s_barrier
	v_add_u32_e32 v19, 64, v18
	ds_write2_b32 v21, v8, v9 offset0:16 offset1:17
	v_or_b32_e32 v9, 12, v16
	v_add_u32_e32 v8, v19, v20
	v_and_b32_e32 v9, 0x3fc, v9
	ds_write_b32 v8, v10 offset:8
	v_add_u32_e32 v10, v18, v9
	ds_write_b32 v10, v11 offset:64
	ds_write2_b32 v8, v4, v5 offset0:16 offset1:17
	ds_write_b32 v8, v6 offset:72
	v_add_u32_e32 v4, v19, v9
	v_cmp_gt_u32_e32 vcc, 4, v17
	ds_write_b32 v4, v7 offset:64
	ds_write2_b32 v8, v0, v1 offset0:32 offset1:33
	ds_write_b32 v8, v2 offset:136
	ds_write_b32 v4, v3 offset:128
	ds_write2_b32 v8, v12, v13 offset0:48 offset1:49
	ds_write_b32 v8, v14 offset:200
	ds_write_b32 v4, v15 offset:192
	s_waitcnt lgkmcnt(0)
	s_barrier
	s_and_saveexec_b64 s[0:1], vcc
	s_cbranch_execz .LBB94_43
; %bb.41:
	v_mov_b32_e32 v0, 0x100
	v_lshl_add_u32 v0, v17, 2, v0
	ds_read_b32 v0, v0
	v_or_b32_e32 v1, s9, v17
	v_cmp_gt_i32_e64 s[0:1], s13, v1
	s_waitcnt lgkmcnt(0)
	v_cmp_lt_i32_e32 vcc, -1, v0
	s_and_b64 s[0:1], vcc, s[0:1]
	s_and_b64 exec, exec, s[0:1]
	s_cbranch_execz .LBB94_43
; %bb.42:
	v_lshlrev_b32_e32 v2, 2, v16
	v_mul_u32_u24_e32 v3, 0x708, v17
	v_add3_u32 v8, s4, v2, v3
	ds_read2_b32 v[2:3], v8 offset0:16 offset1:80
	ds_read2_b32 v[4:5], v8 offset0:144 offset1:208
	v_add_u32_e32 v6, 64, v8
	ds_read2st64_b32 v[6:7], v6 offset0:4 offset1:5
	s_mul_hi_i32 s1, s26, s8
	s_waitcnt lgkmcnt(2)
	v_add_f32_e32 v2, 0, v2
	v_add_f32_e32 v2, v2, v3
	ds_read_b32 v3, v8 offset:1600
	s_waitcnt lgkmcnt(2)
	v_add_f32_e32 v2, v2, v4
	s_mul_i32 s0, s26, s8
	v_add_f32_e32 v2, v2, v5
	s_lshl_b64 s[0:1], s[0:1], 2
	s_waitcnt lgkmcnt(1)
	v_add_f32_e32 v2, v2, v6
	s_mul_hi_i32 s7, s9, s17
	s_mul_i32 s6, s9, s17
	s_add_u32 s2, s2, s0
	v_add_f32_e32 v2, v2, v7
	v_add_u32_e32 v1, s23, v16
	s_addc_u32 s3, s3, s1
	s_lshl_b64 s[0:1], s[6:7], 2
	s_waitcnt lgkmcnt(0)
	v_add_f32_e32 v2, v2, v3
	v_mul_lo_u32 v0, v0, s22
	v_mul_lo_u32 v3, v17, s17
	s_add_u32 s0, s2, s0
	v_add3_u32 v0, v1, v3, v0
	v_mov_b32_e32 v1, 0
	s_addc_u32 s1, s3, s1
	v_lshlrev_b64 v[0:1], 2, v[0:1]
	v_mov_b32_e32 v3, s1
	v_add_co_u32_e32 v0, vcc, s0, v0
	v_addc_co_u32_e32 v1, vcc, v3, v1, vcc
	global_store_dword v[0:1], v2, off
.LBB94_43:
	s_endpgm
	.section	.rodata,"a",@progbits
	.p2align	6, 0x0
	.amdhsa_kernel _ZL9mul_mat_fIfLi64ELi4ELi7ELb1EEvPKT_PKfPKiPfiiiiiiiiiiiiiiii
		.amdhsa_group_segment_fixed_size 256
		.amdhsa_private_segment_fixed_size 0
		.amdhsa_kernarg_size 352
		.amdhsa_user_sgpr_count 6
		.amdhsa_user_sgpr_private_segment_buffer 1
		.amdhsa_user_sgpr_dispatch_ptr 0
		.amdhsa_user_sgpr_queue_ptr 0
		.amdhsa_user_sgpr_kernarg_segment_ptr 1
		.amdhsa_user_sgpr_dispatch_id 0
		.amdhsa_user_sgpr_flat_scratch_init 0
		.amdhsa_user_sgpr_kernarg_preload_length 0
		.amdhsa_user_sgpr_kernarg_preload_offset 0
		.amdhsa_user_sgpr_private_segment_size 0
		.amdhsa_uses_dynamic_stack 0
		.amdhsa_system_sgpr_private_segment_wavefront_offset 0
		.amdhsa_system_sgpr_workgroup_id_x 1
		.amdhsa_system_sgpr_workgroup_id_y 1
		.amdhsa_system_sgpr_workgroup_id_z 1
		.amdhsa_system_sgpr_workgroup_info 0
		.amdhsa_system_vgpr_workitem_id 2
		.amdhsa_next_free_vgpr 101
		.amdhsa_next_free_sgpr 93
		.amdhsa_accum_offset 104
		.amdhsa_reserve_vcc 1
		.amdhsa_reserve_flat_scratch 0
		.amdhsa_float_round_mode_32 0
		.amdhsa_float_round_mode_16_64 0
		.amdhsa_float_denorm_mode_32 3
		.amdhsa_float_denorm_mode_16_64 3
		.amdhsa_dx10_clamp 1
		.amdhsa_ieee_mode 1
		.amdhsa_fp16_overflow 0
		.amdhsa_tg_split 0
		.amdhsa_exception_fp_ieee_invalid_op 0
		.amdhsa_exception_fp_denorm_src 0
		.amdhsa_exception_fp_ieee_div_zero 0
		.amdhsa_exception_fp_ieee_overflow 0
		.amdhsa_exception_fp_ieee_underflow 0
		.amdhsa_exception_fp_ieee_inexact 0
		.amdhsa_exception_int_div_zero 0
	.end_amdhsa_kernel
	.section	.text._ZL9mul_mat_fIfLi64ELi4ELi7ELb1EEvPKT_PKfPKiPfiiiiiiiiiiiiiiii,"axG",@progbits,_ZL9mul_mat_fIfLi64ELi4ELi7ELb1EEvPKT_PKfPKiPfiiiiiiiiiiiiiiii,comdat
.Lfunc_end94:
	.size	_ZL9mul_mat_fIfLi64ELi4ELi7ELb1EEvPKT_PKfPKiPfiiiiiiiiiiiiiiii, .Lfunc_end94-_ZL9mul_mat_fIfLi64ELi4ELi7ELb1EEvPKT_PKfPKiPfiiiiiiiiiiiiiiii
                                        ; -- End function
	.section	.AMDGPU.csdata,"",@progbits
; Kernel info:
; codeLenInByte = 6476
; NumSgprs: 97
; NumVgprs: 101
; NumAgprs: 0
; TotalNumVgprs: 101
; ScratchSize: 0
; MemoryBound: 0
; FloatMode: 240
; IeeeMode: 1
; LDSByteSize: 256 bytes/workgroup (compile time only)
; SGPRBlocks: 12
; VGPRBlocks: 12
; NumSGPRsForWavesPerEU: 97
; NumVGPRsForWavesPerEU: 101
; AccumOffset: 104
; Occupancy: 4
; WaveLimiterHint : 0
; COMPUTE_PGM_RSRC2:SCRATCH_EN: 0
; COMPUTE_PGM_RSRC2:USER_SGPR: 6
; COMPUTE_PGM_RSRC2:TRAP_HANDLER: 0
; COMPUTE_PGM_RSRC2:TGID_X_EN: 1
; COMPUTE_PGM_RSRC2:TGID_Y_EN: 1
; COMPUTE_PGM_RSRC2:TGID_Z_EN: 1
; COMPUTE_PGM_RSRC2:TIDIG_COMP_CNT: 2
; COMPUTE_PGM_RSRC3_GFX90A:ACCUM_OFFSET: 25
; COMPUTE_PGM_RSRC3_GFX90A:TG_SPLIT: 0
	.section	.text._ZL9mul_mat_fIfLi64ELi4ELi7ELb0EEvPKT_PKfPKiPfiiiiiiiiiiiiiiii,"axG",@progbits,_ZL9mul_mat_fIfLi64ELi4ELi7ELb0EEvPKT_PKfPKiPfiiiiiiiiiiiiiiii,comdat
	.globl	_ZL9mul_mat_fIfLi64ELi4ELi7ELb0EEvPKT_PKfPKiPfiiiiiiiiiiiiiiii ; -- Begin function _ZL9mul_mat_fIfLi64ELi4ELi7ELb0EEvPKT_PKfPKiPfiiiiiiiiiiiiiiii
	.p2align	8
	.type	_ZL9mul_mat_fIfLi64ELi4ELi7ELb0EEvPKT_PKfPKiPfiiiiiiiiiiiiiiii,@function
_ZL9mul_mat_fIfLi64ELi4ELi7ELb0EEvPKT_PKfPKiPfiiiiiiiiiiiiiiii: ; @_ZL9mul_mat_fIfLi64ELi4ELi7ELb0EEvPKT_PKfPKiPfiiiiiiiiiiiiiiii
; %bb.0:
	s_load_dwordx8 s[12:19], s[4:5], 0x40
	s_load_dword s9, s[4:5], 0x20
	s_load_dwordx4 s[0:3], s[4:5], 0x2c
	v_bfe_u32 v25, v0, 10, 10
	v_lshlrev_b32_e32 v91, 6, v25
	v_and_b32_e32 v90, 0x3ff, v0
	s_waitcnt lgkmcnt(0)
	s_abs_i32 s27, s12
	s_abs_i32 s26, s16
	v_cvt_f32_u32_e32 v1, s27
	v_cvt_f32_u32_e32 v2, s26
	v_add_u32_e32 v93, v91, v90
	s_mov_b32 s22, 0
	v_rcp_iflag_f32_e32 v1, v1
	v_rcp_iflag_f32_e32 v2, v2
	s_ashr_i32 s28, s8, 31
	v_cmp_le_i32_e32 vcc, s9, v93
	v_mul_f32_e32 v1, 0x4f7ffffe, v1
	v_mul_f32_e32 v2, 0x4f7ffffe, v2
	v_cvt_u32_f32_e32 v1, v1
	v_cvt_u32_f32_e32 v2, v2
	v_and_b32_e32 v92, 15, v90
	v_readfirstlane_b32 s21, v1
	v_readfirstlane_b32 s20, v2
	s_and_saveexec_b64 s[10:11], vcc
	s_xor_b64 s[10:11], exec, s[10:11]
; %bb.1:
	v_and_b32_e32 v92, 15, v90
                                        ; implicit-def: $vgpr93
; %bb.2:
	s_or_saveexec_b64 s[24:25], s[10:11]
	s_load_dwordx2 s[10:11], s[4:5], 0x18
	s_lshl_b32 s3, s6, 6
	v_mov_b32_e32 v3, s22
	v_lshlrev_b32_e32 v16, 2, v90
	v_mov_b32_e32 v2, s22
	v_mov_b32_e32 v1, s22
	;; [unrolled: 1-line block ×15, first 2 shown]
	s_xor_b64 exec, exec, s[24:25]
	s_cbranch_execz .LBB95_6
; %bb.3:
	s_sub_i32 s6, 0, s27
	s_sub_i32 s22, 0, s26
	s_mul_i32 s6, s6, s21
	s_mul_i32 s22, s22, s20
	s_mul_hi_u32 s6, s21, s6
	s_mul_hi_u32 s22, s20, s22
	s_abs_i32 s29, s7
	s_add_i32 s6, s21, s6
	s_add_i32 s31, s20, s22
	s_load_dwordx4 s[20:23], s[4:5], 0x0
	s_mul_hi_u32 s4, s29, s6
	s_ashr_i32 s6, s7, 31
	s_ashr_i32 s12, s12, 31
	s_xor_b32 s6, s6, s12
	s_mul_i32 s12, s4, s27
	s_abs_i32 s30, s8
	s_sub_i32 s12, s29, s12
	s_mul_hi_u32 s5, s30, s31
	s_ashr_i32 s16, s16, 31
	s_add_i32 s29, s4, 1
	s_sub_i32 s31, s12, s27
	s_cmp_ge_u32 s12, s27
	s_cselect_b32 s4, s29, s4
	s_cselect_b32 s12, s31, s12
	s_add_i32 s29, s4, 1
	s_cmp_ge_u32 s12, s27
	s_cselect_b32 s4, s29, s4
	s_mul_i32 s12, s5, s26
	s_xor_b32 s4, s4, s6
	s_sub_i32 s12, s30, s12
	s_sub_i32 s6, s4, s6
	s_xor_b32 s4, s28, s16
	s_add_i32 s16, s5, 1
	s_sub_i32 s27, s12, s26
	s_cmp_ge_u32 s12, s26
	s_cselect_b32 s5, s16, s5
	s_cselect_b32 s12, s27, s12
	s_add_i32 s16, s5, 1
	s_cmp_ge_u32 s12, s26
	s_cselect_b32 s5, s16, s5
	s_xor_b32 s5, s5, s4
	s_sub_i32 s4, s5, s4
	s_mul_i32 s12, s6, s13
	s_mul_i32 s16, s3, s0
	s_mul_hi_i32 s5, s4, s17
	s_mul_i32 s4, s4, s17
	s_ashr_i32 s13, s12, 31
	s_ashr_i32 s17, s16, 31
	s_lshl_b64 s[30:31], s[4:5], 2
	s_lshl_b64 s[4:5], s[16:17], 2
	s_lshl_b64 s[12:13], s[12:13], 2
	s_waitcnt lgkmcnt(0)
	s_add_u32 s6, s20, s12
	s_addc_u32 s12, s21, s13
	s_add_u32 s6, s6, s4
	s_mul_i32 s28, s7, s14
	s_addc_u32 s14, s12, s5
	s_add_u32 s4, s6, s30
	s_mul_hi_i32 s27, s18, s8
	s_mul_i32 s26, s18, s8
	s_addc_u32 s80, s14, s31
	s_ashr_i32 s29, s28, 31
	s_lshl_b64 s[12:13], s[26:27], 2
	s_lshl_b64 s[16:17], s[28:29], 2
	s_add_u32 s18, s22, s16
	s_addc_u32 s22, s23, s17
	s_add_u32 s5, s18, s12
	s_movk_i32 s16, 0x1080
	v_lshrrev_b32_e32 v2, 1, v90
	s_addc_u32 s81, s22, s13
	v_mad_u32_u24 v0, v25, s16, 0
	v_mul_u32_u24_e32 v1, 0x108, v92
	v_and_b32_e32 v2, 0x1f8, v2
	s_ashr_i32 s17, s0, 31
	s_mov_b32 s16, s0
	v_add_u32_e32 v94, v0, v16
	v_add3_u32 v95, v0, v1, v2
	s_ashr_i32 s21, s1, 31
	v_lshlrev_b32_e32 v0, 8, v25
	s_lshl_b64 s[16:17], s[16:17], 2
	v_mov_b32_e32 v1, s31
	v_add_co_u32_e32 v2, vcc, s30, v0
	s_add_u32 s16, s6, s16
	v_addc_co_u32_e32 v1, vcc, 0, v1, vcc
	s_addc_u32 s17, s14, s17
	v_mov_b32_e32 v3, s17
	v_add_co_u32_e32 v18, vcc, s16, v2
	v_addc_co_u32_e32 v17, vcc, v3, v1, vcc
	v_mov_b32_e32 v3, s14
	v_add_co_u32_e32 v20, vcc, s6, v2
	s_mov_b32 s20, s1
	v_addc_co_u32_e32 v19, vcc, v3, v1, vcc
	v_mov_b32_e32 v1, s13
	v_add_co_u32_e32 v0, vcc, s12, v0
	s_lshl_b64 s[12:13], s[20:21], 2
	s_add_u32 s6, s18, s12
	v_addc_co_u32_e32 v1, vcc, 0, v1, vcc
	s_addc_u32 s12, s22, s13
	v_mov_b32_e32 v2, s12
	v_add_co_u32_e32 v22, vcc, s6, v0
	v_addc_co_u32_e32 v21, vcc, v2, v1, vcc
	v_mov_b32_e32 v96, 0
	v_mov_b32_e32 v2, s22
	v_add_co_u32_e32 v24, vcc, s18, v0
	v_addc_co_u32_e32 v23, vcc, v2, v1, vcc
	s_lshl_b32 s6, s1, 1
	s_mul_i32 s12, s1, 3
	s_lshl_b32 s13, s0, 1
	s_mul_i32 s14, s0, 3
	s_lshl_b32 s16, s0, 2
	s_mul_i32 s17, s0, 5
	s_mul_i32 s18, s0, 6
	s_mul_i32 s20, s0, 7
	s_lshl_b32 s21, s0, 3
	s_mul_i32 s22, s0, 9
	s_mul_i32 s23, s0, 10
	s_mul_i32 s26, s0, 11
	s_mul_i32 s27, s0, 12
	s_mul_i32 s28, s0, 13
	s_mul_i32 s29, s0, 14
	s_mul_i32 s30, s0, 15
	s_lshl_b32 s31, s0, 4
	s_mul_i32 s33, s0, 17
	s_mul_i32 s34, s0, 18
	;; [unrolled: 1-line block ×15, first 2 shown]
	s_lshl_b32 s48, s0, 5
	s_mul_i32 s49, s0, 33
	s_mul_i32 s50, s0, 34
	;; [unrolled: 1-line block ×31, first 2 shown]
	s_mov_b64 s[0:1], 0
	v_mov_b32_e32 v97, s80
	v_mov_b32_e32 v98, s81
	;; [unrolled: 1-line block ×18, first 2 shown]
.LBB95_4:                               ; =>This Inner Loop Header: Depth=1
	v_add_co_u32_e32 v26, vcc, v20, v16
	v_addc_co_u32_e32 v27, vcc, 0, v19, vcc
	global_load_dword v26, v[26:27], off
	v_add_u32_e32 v42, s31, v93
	v_ashrrev_i32_e32 v43, 31, v42
	v_lshlrev_b64 v[42:43], 2, v[42:43]
	v_add_u32_e32 v58, s48, v93
	v_ashrrev_i32_e32 v59, 31, v58
	v_lshlrev_b64 v[58:59], 2, v[58:59]
	;; [unrolled: 3-line block ×3, first 2 shown]
	s_waitcnt vmcnt(0)
	ds_write_b32 v94, v26
	v_add_co_u32_e32 v26, vcc, v18, v16
	v_addc_co_u32_e32 v27, vcc, 0, v17, vcc
	global_load_dword v26, v[26:27], off
	s_waitcnt vmcnt(0)
	ds_write_b32 v94, v26 offset:264
	v_add_u32_e32 v26, s13, v93
	v_ashrrev_i32_e32 v27, 31, v26
	v_lshlrev_b64 v[26:27], 2, v[26:27]
	v_add_co_u32_e32 v26, vcc, s4, v26
	v_addc_co_u32_e32 v27, vcc, v97, v27, vcc
	global_load_dword v26, v[26:27], off
	s_waitcnt vmcnt(0)
	ds_write_b32 v94, v26 offset:528
	v_add_u32_e32 v26, s14, v93
	v_ashrrev_i32_e32 v27, 31, v26
	v_lshlrev_b64 v[26:27], 2, v[26:27]
	;; [unrolled: 8-line block ×14, first 2 shown]
	v_add_co_u32_e32 v26, vcc, s4, v26
	v_addc_co_u32_e32 v27, vcc, v97, v27, vcc
	global_load_dword v26, v[26:27], off
	v_add_co_u32_e32 v42, vcc, s4, v42
	v_addc_co_u32_e32 v43, vcc, v97, v43, vcc
	s_waitcnt vmcnt(0)
	ds_write_b32 v94, v26 offset:3960
	ds_read_b64 v[40:41], v95
	ds_read_b64 v[38:39], v95 offset:32
	ds_read_b64 v[36:37], v95 offset:64
	;; [unrolled: 1-line block ×7, first 2 shown]
	global_load_dword v42, v[42:43], off
	s_waitcnt vmcnt(0)
	ds_write_b32 v94, v42
	v_add_u32_e32 v42, s33, v93
	v_ashrrev_i32_e32 v43, 31, v42
	v_lshlrev_b64 v[42:43], 2, v[42:43]
	v_add_co_u32_e32 v42, vcc, s4, v42
	v_addc_co_u32_e32 v43, vcc, v97, v43, vcc
	global_load_dword v42, v[42:43], off
	s_waitcnt vmcnt(0)
	ds_write_b32 v94, v42 offset:264
	v_add_u32_e32 v42, s34, v93
	v_ashrrev_i32_e32 v43, 31, v42
	v_lshlrev_b64 v[42:43], 2, v[42:43]
	v_add_co_u32_e32 v42, vcc, s4, v42
	v_addc_co_u32_e32 v43, vcc, v97, v43, vcc
	global_load_dword v42, v[42:43], off
	s_waitcnt vmcnt(0)
	ds_write_b32 v94, v42 offset:528
	;; [unrolled: 8-line block ×14, first 2 shown]
	v_add_u32_e32 v42, s47, v93
	v_ashrrev_i32_e32 v43, 31, v42
	v_lshlrev_b64 v[42:43], 2, v[42:43]
	v_add_co_u32_e32 v42, vcc, s4, v42
	v_addc_co_u32_e32 v43, vcc, v97, v43, vcc
	global_load_dword v42, v[42:43], off
	v_add_co_u32_e32 v58, vcc, s4, v58
	v_addc_co_u32_e32 v59, vcc, v97, v59, vcc
	s_waitcnt vmcnt(0)
	ds_write_b32 v94, v42 offset:3960
	ds_read_b64 v[56:57], v95
	ds_read_b64 v[54:55], v95 offset:32
	ds_read_b64 v[52:53], v95 offset:64
	;; [unrolled: 1-line block ×7, first 2 shown]
	global_load_dword v58, v[58:59], off
	s_waitcnt vmcnt(0)
	ds_write_b32 v94, v58
	v_add_u32_e32 v58, s49, v93
	v_ashrrev_i32_e32 v59, 31, v58
	v_lshlrev_b64 v[58:59], 2, v[58:59]
	v_add_co_u32_e32 v58, vcc, s4, v58
	v_addc_co_u32_e32 v59, vcc, v97, v59, vcc
	global_load_dword v58, v[58:59], off
	s_waitcnt vmcnt(0)
	ds_write_b32 v94, v58 offset:264
	v_add_u32_e32 v58, s50, v93
	v_ashrrev_i32_e32 v59, 31, v58
	v_lshlrev_b64 v[58:59], 2, v[58:59]
	v_add_co_u32_e32 v58, vcc, s4, v58
	v_addc_co_u32_e32 v59, vcc, v97, v59, vcc
	global_load_dword v58, v[58:59], off
	s_waitcnt vmcnt(0)
	ds_write_b32 v94, v58 offset:528
	;; [unrolled: 8-line block ×14, first 2 shown]
	v_add_u32_e32 v58, s63, v93
	v_ashrrev_i32_e32 v59, 31, v58
	v_lshlrev_b64 v[58:59], 2, v[58:59]
	v_add_co_u32_e32 v58, vcc, s4, v58
	v_addc_co_u32_e32 v59, vcc, v97, v59, vcc
	global_load_dword v58, v[58:59], off
	v_add_co_u32_e32 v74, vcc, s4, v74
	v_addc_co_u32_e32 v75, vcc, v97, v75, vcc
	s_waitcnt vmcnt(0)
	ds_write_b32 v94, v58 offset:3960
	ds_read_b64 v[72:73], v95
	ds_read_b64 v[70:71], v95 offset:32
	ds_read_b64 v[68:69], v95 offset:64
	;; [unrolled: 1-line block ×7, first 2 shown]
	global_load_dword v74, v[74:75], off
	s_waitcnt vmcnt(0)
	ds_write_b32 v94, v74
	v_add_u32_e32 v74, s65, v93
	v_ashrrev_i32_e32 v75, 31, v74
	v_lshlrev_b64 v[74:75], 2, v[74:75]
	v_add_co_u32_e32 v74, vcc, s4, v74
	v_addc_co_u32_e32 v75, vcc, v97, v75, vcc
	global_load_dword v74, v[74:75], off
	s_waitcnt vmcnt(0)
	ds_write_b32 v94, v74 offset:264
	v_add_u32_e32 v74, s66, v93
	v_ashrrev_i32_e32 v75, 31, v74
	v_lshlrev_b64 v[74:75], 2, v[74:75]
	v_add_co_u32_e32 v74, vcc, s4, v74
	v_addc_co_u32_e32 v75, vcc, v97, v75, vcc
	global_load_dword v74, v[74:75], off
	s_waitcnt vmcnt(0)
	ds_write_b32 v94, v74 offset:528
	;; [unrolled: 8-line block ×14, first 2 shown]
	v_add_u32_e32 v74, s79, v93
	v_ashrrev_i32_e32 v75, 31, v74
	v_lshlrev_b64 v[74:75], 2, v[74:75]
	v_add_co_u32_e32 v74, vcc, s4, v74
	v_addc_co_u32_e32 v75, vcc, v97, v75, vcc
	global_load_dword v74, v[74:75], off
	v_add_co_u32_e32 v100, vcc, v24, v16
	v_addc_co_u32_e32 v101, vcc, 0, v23, vcc
	s_waitcnt vmcnt(0)
	ds_write_b32 v94, v74 offset:3960
	ds_read_b64 v[88:89], v95
	ds_read_b64 v[86:87], v95 offset:32
	ds_read_b64 v[84:85], v95 offset:64
	;; [unrolled: 1-line block ×7, first 2 shown]
	global_load_dword v99, v[100:101], off
	v_add_co_u32_e32 v100, vcc, v22, v16
	v_addc_co_u32_e32 v101, vcc, 0, v21, vcc
	s_waitcnt vmcnt(0)
	ds_write_b32 v94, v99
	global_load_dword v99, v[100:101], off
	v_add_u32_e32 v100, s6, v93
	v_ashrrev_i32_e32 v101, 31, v100
	v_lshlrev_b64 v[100:101], 2, v[100:101]
	v_add_co_u32_e32 v100, vcc, s5, v100
	v_addc_co_u32_e32 v101, vcc, v98, v101, vcc
	s_waitcnt vmcnt(0)
	ds_write_b32 v94, v99 offset:264
	global_load_dword v99, v[100:101], off
	v_add_u32_e32 v100, s12, v93
	v_ashrrev_i32_e32 v101, 31, v100
	v_lshlrev_b64 v[100:101], 2, v[100:101]
	v_add_co_u32_e32 v100, vcc, s5, v100
	v_addc_co_u32_e32 v101, vcc, v98, v101, vcc
	v_add_co_u32_e32 v18, vcc, 0x700, v18
	v_addc_co_u32_e32 v17, vcc, 0, v17, vcc
	;; [unrolled: 2-line block ×4, first 2 shown]
	v_add_co_u32_e32 v24, vcc, 0x700, v24
	v_add_u32_e32 v93, 0x1c0, v93
	v_addc_co_u32_e32 v23, vcc, 0, v23, vcc
	v_cmp_le_i32_e32 vcc, s9, v93
	s_or_b64 s[0:1], vcc, s[0:1]
	s_waitcnt vmcnt(0)
	ds_write_b32 v94, v99 offset:528
	global_load_dword v99, v[100:101], off
	s_waitcnt vmcnt(0)
	ds_write_b32 v94, v99 offset:792
	ds_write_b32 v94, v96 offset:1056
	;; [unrolled: 1-line block ×13, first 2 shown]
	ds_read_b64 v[100:101], v95
	ds_read_b64 v[102:103], v95 offset:32
	s_waitcnt lgkmcnt(1)
	v_mfma_f32_16x16x4f32 v[0:3], v40, v100, v[0:3]
	v_mfma_f32_16x16x4f32 v[12:15], v56, v100, v[12:15]
	;; [unrolled: 1-line block ×8, first 2 shown]
	s_waitcnt lgkmcnt(0)
	v_mfma_f32_16x16x4f32 v[0:3], v38, v102, v[0:3]
	v_mfma_f32_16x16x4f32 v[12:15], v54, v102, v[12:15]
	v_mfma_f32_16x16x4f32 v[8:11], v70, v102, v[8:11]
	v_mfma_f32_16x16x4f32 v[4:7], v86, v102, v[4:7]
	v_mfma_f32_16x16x4f32 v[0:3], v39, v103, v[0:3]
	ds_read_b64 v[38:39], v95 offset:64
	v_mfma_f32_16x16x4f32 v[12:15], v55, v103, v[12:15]
	v_mfma_f32_16x16x4f32 v[8:11], v71, v103, v[8:11]
	v_mfma_f32_16x16x4f32 v[4:7], v87, v103, v[4:7]
	s_waitcnt lgkmcnt(0)
	v_mfma_f32_16x16x4f32 v[0:3], v36, v38, v[0:3]
	v_mfma_f32_16x16x4f32 v[12:15], v52, v38, v[12:15]
	v_mfma_f32_16x16x4f32 v[8:11], v68, v38, v[8:11]
	v_mfma_f32_16x16x4f32 v[4:7], v84, v38, v[4:7]
	v_mfma_f32_16x16x4f32 v[0:3], v37, v39, v[0:3]
	ds_read_b64 v[36:37], v95 offset:96
	v_mfma_f32_16x16x4f32 v[12:15], v53, v39, v[12:15]
	v_mfma_f32_16x16x4f32 v[8:11], v69, v39, v[8:11]
	v_mfma_f32_16x16x4f32 v[4:7], v85, v39, v[4:7]
	;; [unrolled: 10-line block ×6, first 2 shown]
	s_waitcnt lgkmcnt(0)
	v_mfma_f32_16x16x4f32 v[0:3], v26, v28, v[0:3]
	v_mfma_f32_16x16x4f32 v[12:15], v42, v28, v[12:15]
	;; [unrolled: 1-line block ×8, first 2 shown]
	s_andn2_b64 exec, exec, s[0:1]
	s_cbranch_execnz .LBB95_4
; %bb.5:
	s_or_b64 exec, exec, s[0:1]
.LBB95_6:
	s_or_b64 exec, exec, s[24:25]
	v_mul_u32_u24_e32 v17, 0x708, v92
	v_lshlrev_b32_e32 v18, 2, v91
	v_add3_u32 v17, 0, v17, v18
	v_and_b32_e32 v18, 0x3f0, v90
	v_add_u32_e32 v18, v17, v18
	s_waitcnt lgkmcnt(0)
	s_barrier
	ds_write2_b32 v18, v0, v1 offset1:1
	ds_write_b32 v18, v2 offset:8
	v_or_b32_e32 v0, 12, v90
	v_and_b32_e32 v0, 0x3fc, v0
	v_add_u32_e32 v0, v17, v0
	v_cmp_gt_u32_e32 vcc, 4, v25
	ds_write_b32 v0, v3
	ds_write2_b32 v18, v12, v13 offset0:16 offset1:17
	ds_write_b32 v18, v14 offset:72
	ds_write_b32 v0, v15 offset:64
	ds_write2_b32 v18, v8, v9 offset0:32 offset1:33
	ds_write_b32 v18, v10 offset:136
	ds_write_b32 v0, v11 offset:128
	;; [unrolled: 3-line block ×3, first 2 shown]
	s_waitcnt lgkmcnt(0)
	s_barrier
	s_and_saveexec_b64 s[0:1], vcc
	s_cbranch_execz .LBB95_8
; %bb.7:
	v_mul_u32_u24_e32 v0, 0x708, v25
	v_add3_u32 v6, 0, v16, v0
	ds_read2st64_b32 v[0:1], v6 offset1:1
	ds_read2st64_b32 v[2:3], v6 offset0:2 offset1:3
	ds_read2st64_b32 v[4:5], v6 offset0:4 offset1:5
	ds_read_b32 v6, v6 offset:1536
	s_mul_hi_i32 s1, s19, s8
	s_mul_i32 s0, s19, s8
	s_lshl_b64 s[0:1], s[0:1], 2
	s_waitcnt lgkmcnt(3)
	v_add_f32_e32 v0, 0, v0
	v_add_f32_e32 v0, v0, v1
	s_waitcnt lgkmcnt(2)
	v_add_f32_e32 v0, v0, v2
	v_add_f32_e32 v0, v0, v3
	s_mul_i32 s4, s7, s15
	s_add_u32 s6, s10, s0
	s_waitcnt lgkmcnt(1)
	v_add_f32_e32 v0, v0, v4
	s_addc_u32 s7, s11, s1
	s_ashr_i32 s5, s4, 31
	v_add_f32_e32 v0, v0, v5
	s_lshl_b64 s[0:1], s[4:5], 2
	s_waitcnt lgkmcnt(0)
	v_add_f32_e32 v2, v0, v6
	v_mul_lo_u32 v0, v25, s2
	s_add_u32 s0, s6, s0
	v_add3_u32 v0, s3, v90, v0
	v_mov_b32_e32 v1, 0
	s_addc_u32 s1, s7, s1
	v_lshlrev_b64 v[0:1], 2, v[0:1]
	v_mov_b32_e32 v3, s1
	v_add_co_u32_e32 v0, vcc, s0, v0
	v_addc_co_u32_e32 v1, vcc, v3, v1, vcc
	global_store_dword v[0:1], v2, off
.LBB95_8:
	s_endpgm
	.section	.rodata,"a",@progbits
	.p2align	6, 0x0
	.amdhsa_kernel _ZL9mul_mat_fIfLi64ELi4ELi7ELb0EEvPKT_PKfPKiPfiiiiiiiiiiiiiiii
		.amdhsa_group_segment_fixed_size 0
		.amdhsa_private_segment_fixed_size 0
		.amdhsa_kernarg_size 96
		.amdhsa_user_sgpr_count 6
		.amdhsa_user_sgpr_private_segment_buffer 1
		.amdhsa_user_sgpr_dispatch_ptr 0
		.amdhsa_user_sgpr_queue_ptr 0
		.amdhsa_user_sgpr_kernarg_segment_ptr 1
		.amdhsa_user_sgpr_dispatch_id 0
		.amdhsa_user_sgpr_flat_scratch_init 0
		.amdhsa_user_sgpr_kernarg_preload_length 0
		.amdhsa_user_sgpr_kernarg_preload_offset 0
		.amdhsa_user_sgpr_private_segment_size 0
		.amdhsa_uses_dynamic_stack 0
		.amdhsa_system_sgpr_private_segment_wavefront_offset 0
		.amdhsa_system_sgpr_workgroup_id_x 1
		.amdhsa_system_sgpr_workgroup_id_y 1
		.amdhsa_system_sgpr_workgroup_id_z 1
		.amdhsa_system_sgpr_workgroup_info 0
		.amdhsa_system_vgpr_workitem_id 1
		.amdhsa_next_free_vgpr 104
		.amdhsa_next_free_sgpr 82
		.amdhsa_accum_offset 104
		.amdhsa_reserve_vcc 1
		.amdhsa_reserve_flat_scratch 0
		.amdhsa_float_round_mode_32 0
		.amdhsa_float_round_mode_16_64 0
		.amdhsa_float_denorm_mode_32 3
		.amdhsa_float_denorm_mode_16_64 3
		.amdhsa_dx10_clamp 1
		.amdhsa_ieee_mode 1
		.amdhsa_fp16_overflow 0
		.amdhsa_tg_split 0
		.amdhsa_exception_fp_ieee_invalid_op 0
		.amdhsa_exception_fp_denorm_src 0
		.amdhsa_exception_fp_ieee_div_zero 0
		.amdhsa_exception_fp_ieee_overflow 0
		.amdhsa_exception_fp_ieee_underflow 0
		.amdhsa_exception_fp_ieee_inexact 0
		.amdhsa_exception_int_div_zero 0
	.end_amdhsa_kernel
	.section	.text._ZL9mul_mat_fIfLi64ELi4ELi7ELb0EEvPKT_PKfPKiPfiiiiiiiiiiiiiiii,"axG",@progbits,_ZL9mul_mat_fIfLi64ELi4ELi7ELb0EEvPKT_PKfPKiPfiiiiiiiiiiiiiiii,comdat
.Lfunc_end95:
	.size	_ZL9mul_mat_fIfLi64ELi4ELi7ELb0EEvPKT_PKfPKiPfiiiiiiiiiiiiiiii, .Lfunc_end95-_ZL9mul_mat_fIfLi64ELi4ELi7ELb0EEvPKT_PKfPKiPfiiiiiiiiiiiiiiii
                                        ; -- End function
	.section	.AMDGPU.csdata,"",@progbits
; Kernel info:
; codeLenInByte = 5324
; NumSgprs: 86
; NumVgprs: 104
; NumAgprs: 0
; TotalNumVgprs: 104
; ScratchSize: 0
; MemoryBound: 0
; FloatMode: 240
; IeeeMode: 1
; LDSByteSize: 0 bytes/workgroup (compile time only)
; SGPRBlocks: 10
; VGPRBlocks: 12
; NumSGPRsForWavesPerEU: 86
; NumVGPRsForWavesPerEU: 104
; AccumOffset: 104
; Occupancy: 4
; WaveLimiterHint : 0
; COMPUTE_PGM_RSRC2:SCRATCH_EN: 0
; COMPUTE_PGM_RSRC2:USER_SGPR: 6
; COMPUTE_PGM_RSRC2:TRAP_HANDLER: 0
; COMPUTE_PGM_RSRC2:TGID_X_EN: 1
; COMPUTE_PGM_RSRC2:TGID_Y_EN: 1
; COMPUTE_PGM_RSRC2:TGID_Z_EN: 1
; COMPUTE_PGM_RSRC2:TIDIG_COMP_CNT: 1
; COMPUTE_PGM_RSRC3_GFX90A:ACCUM_OFFSET: 25
; COMPUTE_PGM_RSRC3_GFX90A:TG_SPLIT: 0
	.section	.text._ZL13mul_mat_f_idsIfLi64ELi4ELi8EEvPKT_PKfPKiS6_S6_Pfiiiiiiiiiiiiii15HIP_vector_typeIjLj3EES9_,"axG",@progbits,_ZL13mul_mat_f_idsIfLi64ELi4ELi8EEvPKT_PKfPKiS6_S6_Pfiiiiiiiiiiiiii15HIP_vector_typeIjLj3EES9_,comdat
	.globl	_ZL13mul_mat_f_idsIfLi64ELi4ELi8EEvPKT_PKfPKiS6_S6_Pfiiiiiiiiiiiiii15HIP_vector_typeIjLj3EES9_ ; -- Begin function _ZL13mul_mat_f_idsIfLi64ELi4ELi8EEvPKT_PKfPKiS6_S6_Pfiiiiiiiiiiiiii15HIP_vector_typeIjLj3EES9_
	.p2align	8
	.type	_ZL13mul_mat_f_idsIfLi64ELi4ELi8EEvPKT_PKfPKiS6_S6_Pfiiiiiiiiiiiiii15HIP_vector_typeIjLj3EES9_,@function
_ZL13mul_mat_f_idsIfLi64ELi4ELi8EEvPKT_PKfPKiS6_S6_Pfiiiiiiiiiiiiii15HIP_vector_typeIjLj3EES9_: ; @_ZL13mul_mat_f_idsIfLi64ELi4ELi8EEvPKT_PKfPKiS6_S6_Pfiiiiiiiiiiiiii15HIP_vector_typeIjLj3EES9_
; %bb.0:
	s_load_dwordx2 s[0:1], s[4:5], 0x20
	s_mov_b32 s34, s7
	s_ashr_i32 s35, s7, 31
	s_lshl_b64 s[2:3], s[34:35], 2
	s_waitcnt lgkmcnt(0)
	s_add_u32 s0, s0, s2
	s_addc_u32 s1, s1, s3
	s_load_dwordx2 s[26:27], s[0:1], 0x0
	s_waitcnt lgkmcnt(0)
	s_sub_i32 s33, s27, s26
	s_add_i32 s0, s33, 3
	s_ashr_i32 s1, s0, 31
	s_lshr_b32 s1, s1, 30
	s_add_i32 s0, s0, s1
	s_ashr_i32 s0, s0, 2
	s_cmp_ge_i32 s8, s0
	s_cbranch_scc1 .LBB96_23
; %bb.1:
	v_bfe_u32 v83, v0, 10, 10
	v_lshlrev_b32_e32 v84, 6, v83
	v_and_b32_e32 v82, 0x3ff, v0
	s_load_dwordx4 s[12:15], s[4:5], 0x30
	s_load_dwordx2 s[20:21], s[4:5], 0x40
	s_load_dwordx4 s[0:3], s[4:5], 0x4c
	s_load_dwordx4 s[16:19], s[4:5], 0x68
	s_load_dwordx2 s[24:25], s[4:5], 0x78
	v_add_u32_e32 v86, v84, v82
	s_ashr_i32 s27, s26, 31
	s_waitcnt lgkmcnt(0)
	v_cmp_le_i32_e32 vcc, s12, v86
	v_and_b32_e32 v85, 15, v82
                                        ; implicit-def: $sgpr3
	s_and_saveexec_b64 s[10:11], vcc
	s_xor_b64 s[10:11], exec, s[10:11]
; %bb.2:
	v_and_b32_e32 v85, 15, v82
	s_mov_b32 s3, 0
                                        ; implicit-def: $vgpr86
; %bb.3:
	s_or_saveexec_b64 s[22:23], s[10:11]
	s_load_dwordx2 s[10:11], s[4:5], 0x18
                                        ; implicit-def: $vgpr100 : SGPR spill to VGPR lane
	s_lshl_b32 s7, s6, 6
	s_lshl_b32 s6, s8, 2
	v_mov_b32_e32 v15, s3
	v_mov_b32_e32 v14, s3
	s_waitcnt lgkmcnt(0)
	v_writelane_b32 v100, s10, 0
	v_writelane_b32 v100, s11, 1
	s_load_dwordx2 s[10:11], s[4:5], 0x28
	v_mov_b32_e32 v13, s3
	v_mov_b32_e32 v12, s3
	;; [unrolled: 1-line block ×4, first 2 shown]
	s_waitcnt lgkmcnt(0)
	v_writelane_b32 v100, s10, 2
	v_writelane_b32 v100, s11, 3
	v_mov_b32_e32 v5, s3
	v_mov_b32_e32 v4, s3
	;; [unrolled: 1-line block ×10, first 2 shown]
	v_writelane_b32 v100, s22, 4
	v_writelane_b32 v100, s23, 5
	s_xor_b64 exec, exec, s[22:23]
	s_cbranch_execz .LBB96_19
; %bb.4:
	v_writelane_b32 v100, s24, 6
	v_writelane_b32 v100, s25, 7
	s_load_dwordx4 s[8:11], s[4:5], 0x0
	s_load_dwordx2 s[22:23], s[4:5], 0x10
	s_mul_i32 s4, s34, s0
	s_mul_i32 s24, s7, s15
	s_ashr_i32 s5, s4, 31
	s_ashr_i32 s25, s24, 31
	s_lshl_b64 s[24:25], s[24:25], 2
	s_lshl_b64 s[4:5], s[4:5], 2
	s_add_u32 s3, s4, s24
	s_addc_u32 s24, s5, s25
	s_waitcnt lgkmcnt(0)
	s_add_u32 s0, s3, s8
	s_addc_u32 s25, s24, s9
	s_lshl_b64 s[4:5], s[26:27], 2
	s_add_u32 s28, s22, s4
	s_addc_u32 s29, s23, s5
	s_movk_i32 s4, 0x1080
	s_cmp_lt_i32 s6, s33
	v_writelane_b32 v100, s7, 8
	v_mad_u32_u24 v0, v83, s4, 0
	s_cselect_b64 s[4:5], -1, 0
	s_ashr_i32 s7, s6, 31
	s_lshl_b64 s[22:23], s[6:7], 2
	s_add_u32 s34, s28, s22
	v_lshrrev_b32_e32 v3, 1, v82
	s_addc_u32 s35, s29, s23
	s_or_b32 s7, s6, 1
	v_lshlrev_b32_e32 v1, 2, v82
	v_mul_u32_u24_e32 v2, 0x108, v85
	v_and_b32_e32 v3, 0x1f8, v3
	s_cmp_lt_i32 s7, s33
	v_add_u32_e32 v87, v0, v1
	v_add3_u32 v88, v0, v2, v3
	s_cselect_b64 s[36:37], -1, 0
	s_or_b32 s7, s6, 2
	v_lshlrev_b32_e32 v0, 8, v83
	s_cmp_lt_i32 s7, s33
	v_mov_b32_e32 v2, s24
	v_add_co_u32_e32 v0, vcc, s3, v0
	s_cselect_b64 s[38:39], -1, 0
	s_or_b32 s7, s6, 3
	v_addc_co_u32_e32 v2, vcc, 0, v2, vcc
	s_cmp_lt_i32 s7, s33
	v_add_co_u32_e32 v0, vcc, v0, v1
	s_cselect_b64 s[40:41], -1, 0
	s_ashr_i32 s23, s15, 31
	s_mov_b32 s22, s15
	v_addc_co_u32_e32 v1, vcc, 0, v2, vcc
	s_lshl_b64 s[42:43], s[22:23], 2
	v_mov_b32_e32 v2, s9
	v_add_co_u32_e32 v16, vcc, s8, v0
	v_mov_b32_e32 v0, 0
	v_addc_co_u32_e32 v17, vcc, v2, v1, vcc
	s_lshl_b32 s7, s15, 1
	s_mul_i32 s44, s15, 3
	s_lshl_b32 s45, s15, 2
	s_mul_i32 s46, s15, 5
	s_mul_i32 s47, s15, 6
	;; [unrolled: 1-line block ×3, first 2 shown]
	s_lshl_b32 s49, s15, 3
	s_mul_i32 s50, s15, 9
	s_mul_i32 s51, s15, 10
	;; [unrolled: 1-line block ×7, first 2 shown]
	s_lshl_b32 s57, s15, 4
	s_mul_i32 s58, s15, 17
	s_mul_i32 s59, s15, 18
	;; [unrolled: 1-line block ×15, first 2 shown]
	s_lshl_b32 s73, s15, 5
	s_mul_i32 s74, s15, 33
	s_mul_i32 s75, s15, 34
	;; [unrolled: 1-line block ×15, first 2 shown]
	v_mov_b32_e32 v89, s25
	s_mul_i32 s89, s15, 48
	v_mov_b32_e32 v90, s43
	v_mov_b32_e32 v91, 0
	;; [unrolled: 1-line block ×17, first 2 shown]
	s_mul_i32 s43, s15, 49
	s_mul_i32 s90, s15, 50
	;; [unrolled: 1-line block ×15, first 2 shown]
	s_mov_b64 s[8:9], 0
	s_branch .LBB96_6
.LBB96_5:                               ;   in Loop: Header=BB96_6 Depth=1
	s_waitcnt vmcnt(0)
	ds_write2_b32 v87, v92, v94 offset1:66
	ds_write2_b32 v87, v93, v95 offset0:132 offset1:198
	v_add_u32_e32 v92, 0x400, v87
	ds_write2_b32 v92, v91, v91 offset0:8 offset1:74
	ds_write2_b32 v92, v91, v91 offset0:140 offset1:206
	v_add_u32_e32 v92, 0x800, v87
	ds_write2_b32 v92, v91, v91 offset0:16 offset1:82
	;; [unrolled: 3-line block ×3, first 2 shown]
	ds_write2_b32 v92, v91, v91 offset0:156 offset1:222
	ds_read2_b64 v[92:95], v88 offset1:4
	v_add_co_u32_e32 v16, vcc, 0x800, v16
	s_waitcnt lgkmcnt(0)
	v_mfma_f32_16x16x4f32 v[0:3], v46, v92, v[0:3]
	v_add_u32_e32 v86, 0x200, v86
	v_addc_co_u32_e32 v17, vcc, 0, v17, vcc
	v_cmp_le_i32_e32 vcc, s12, v86
	s_or_b64 s[8:9], vcc, s[8:9]
	v_mfma_f32_16x16x4f32 v[8:11], v58, v92, v[8:11]
	v_mfma_f32_16x16x4f32 v[4:7], v64, v92, v[4:7]
	;; [unrolled: 1-line block ×14, first 2 shown]
	ds_read2_b64 v[62:65], v88 offset0:8 offset1:12
	v_mfma_f32_16x16x4f32 v[12:15], v79, v95, v[12:15]
	s_waitcnt lgkmcnt(0)
	v_mfma_f32_16x16x4f32 v[0:3], v34, v62, v[0:3]
	v_mfma_f32_16x16x4f32 v[8:11], v50, v62, v[8:11]
	;; [unrolled: 1-line block ×14, first 2 shown]
	ds_read2_b64 v[44:47], v88 offset0:16 offset1:20
	v_mfma_f32_16x16x4f32 v[4:7], v57, v65, v[4:7]
	v_mfma_f32_16x16x4f32 v[12:15], v75, v65, v[12:15]
	s_waitcnt lgkmcnt(0)
	v_mfma_f32_16x16x4f32 v[0:3], v26, v44, v[0:3]
	v_mfma_f32_16x16x4f32 v[8:11], v38, v44, v[8:11]
	;; [unrolled: 1-line block ×14, first 2 shown]
	ds_read2_b64 v[30:33], v88 offset0:24 offset1:28
	v_mfma_f32_16x16x4f32 v[4:7], v49, v47, v[4:7]
	v_mfma_f32_16x16x4f32 v[12:15], v71, v47, v[12:15]
	s_waitcnt lgkmcnt(0)
	v_mfma_f32_16x16x4f32 v[0:3], v20, v30, v[0:3]
	v_mfma_f32_16x16x4f32 v[8:11], v28, v30, v[8:11]
	;; [unrolled: 1-line block ×16, first 2 shown]
	s_andn2_b64 exec, exec, s[8:9]
	s_cbranch_execz .LBB96_18
.LBB96_6:                               ; =>This Inner Loop Header: Depth=1
	v_add_co_u32_e32 v18, vcc, s42, v16
	v_addc_co_u32_e32 v19, vcc, v17, v90, vcc
	global_load_dword v30, v[16:17], off
	global_load_dword v31, v[18:19], off
	v_add_u32_e32 v18, s7, v86
	v_ashrrev_i32_e32 v19, 31, v18
	v_lshlrev_b64 v[18:19], 2, v[18:19]
	v_add_u32_e32 v20, s44, v86
	v_add_co_u32_e32 v18, vcc, s0, v18
	v_ashrrev_i32_e32 v21, 31, v20
	v_addc_co_u32_e32 v19, vcc, v89, v19, vcc
	v_lshlrev_b64 v[20:21], 2, v[20:21]
	v_add_u32_e32 v22, s45, v86
	v_add_co_u32_e32 v20, vcc, s0, v20
	v_ashrrev_i32_e32 v23, 31, v22
	v_addc_co_u32_e32 v21, vcc, v89, v21, vcc
	;; [unrolled: 5-line block ×5, first 2 shown]
	v_lshlrev_b64 v[28:29], 2, v[28:29]
	v_add_co_u32_e32 v28, vcc, s0, v28
	v_addc_co_u32_e32 v29, vcc, v89, v29, vcc
	global_load_dword v32, v[18:19], off
	global_load_dword v33, v[20:21], off
	;; [unrolled: 1-line block ×3, first 2 shown]
	s_nop 0
	global_load_dword v24, v[24:25], off
	s_nop 0
	global_load_dword v25, v[26:27], off
	;; [unrolled: 2-line block ×3, first 2 shown]
	v_add_u32_e32 v18, s49, v86
	v_ashrrev_i32_e32 v19, 31, v18
	v_add_u32_e32 v20, s50, v86
	v_lshlrev_b64 v[18:19], 2, v[18:19]
	v_ashrrev_i32_e32 v21, 31, v20
	v_add_co_u32_e32 v18, vcc, s0, v18
	v_add_u32_e32 v22, s51, v86
	v_lshlrev_b64 v[20:21], 2, v[20:21]
	v_addc_co_u32_e32 v19, vcc, v89, v19, vcc
	v_ashrrev_i32_e32 v23, 31, v22
	v_add_co_u32_e32 v20, vcc, s0, v20
	v_lshlrev_b64 v[22:23], 2, v[22:23]
	v_addc_co_u32_e32 v21, vcc, v89, v21, vcc
	global_load_dword v18, v[18:19], off
	s_nop 0
	global_load_dword v19, v[20:21], off
	v_add_u32_e32 v20, s52, v86
	v_add_co_u32_e32 v22, vcc, s0, v22
	v_ashrrev_i32_e32 v21, 31, v20
	v_addc_co_u32_e32 v23, vcc, v89, v23, vcc
	v_lshlrev_b64 v[20:21], 2, v[20:21]
	v_add_u32_e32 v38, s64, v86
	v_ashrrev_i32_e32 v39, 31, v38
	v_lshlrev_b64 v[38:39], 2, v[38:39]
	v_add_u32_e32 v40, s65, v86
	v_ashrrev_i32_e32 v41, 31, v40
	;; [unrolled: 3-line block ×5, first 2 shown]
	v_lshlrev_b64 v[58:59], 2, v[58:59]
	s_waitcnt vmcnt(9)
	ds_write_b32 v87, v30
	s_waitcnt vmcnt(8)
	ds_write_b32 v87, v31 offset:264
	s_waitcnt vmcnt(7)
	ds_write_b32 v87, v32 offset:528
	;; [unrolled: 2-line block ×7, first 2 shown]
	v_add_co_u32_e32 v24, vcc, s0, v20
	v_add_u32_e32 v20, s53, v86
	v_addc_co_u32_e32 v25, vcc, v89, v21, vcc
	v_ashrrev_i32_e32 v21, 31, v20
	v_lshlrev_b64 v[20:21], 2, v[20:21]
	v_add_co_u32_e32 v26, vcc, s0, v20
	v_add_u32_e32 v20, s54, v86
	v_addc_co_u32_e32 v27, vcc, v89, v21, vcc
	v_ashrrev_i32_e32 v21, 31, v20
	v_lshlrev_b64 v[20:21], 2, v[20:21]
	;; [unrolled: 5-line block ×6, first 2 shown]
	v_add_co_u32_e32 v36, vcc, s0, v20
	v_addc_co_u32_e32 v37, vcc, v89, v21, vcc
	global_load_dword v20, v[22:23], off
	global_load_dword v21, v[24:25], off
	s_nop 0
	global_load_dword v22, v[26:27], off
	global_load_dword v23, v[28:29], off
	s_nop 0
	global_load_dword v26, v[30:31], off
	global_load_dword v27, v[32:33], off
	;; [unrolled: 1-line block ×4, first 2 shown]
	v_add_u32_e32 v28, s59, v86
	v_ashrrev_i32_e32 v29, 31, v28
	v_lshlrev_b64 v[28:29], 2, v[28:29]
	v_add_u32_e32 v30, s60, v86
	v_add_co_u32_e32 v28, vcc, s0, v28
	v_ashrrev_i32_e32 v31, 31, v30
	v_addc_co_u32_e32 v29, vcc, v89, v29, vcc
	v_lshlrev_b64 v[30:31], 2, v[30:31]
	v_add_u32_e32 v32, s61, v86
	v_add_co_u32_e32 v30, vcc, s0, v30
	v_ashrrev_i32_e32 v33, 31, v32
	v_addc_co_u32_e32 v31, vcc, v89, v31, vcc
	;; [unrolled: 5-line block ×4, first 2 shown]
	v_lshlrev_b64 v[36:37], 2, v[36:37]
	v_add_co_u32_e32 v36, vcc, s0, v36
	v_addc_co_u32_e32 v37, vcc, v89, v37, vcc
	v_add_co_u32_e32 v38, vcc, s0, v38
	v_addc_co_u32_e32 v39, vcc, v89, v39, vcc
	;; [unrolled: 2-line block ×4, first 2 shown]
	global_load_dword v28, v[28:29], off
	s_nop 0
	global_load_dword v29, v[30:31], off
	s_nop 0
	;; [unrolled: 2-line block ×6, first 2 shown]
	global_load_dword v38, v[40:41], off
	global_load_dword v39, v[42:43], off
	v_add_u32_e32 v30, s67, v86
	v_ashrrev_i32_e32 v31, 31, v30
	v_lshlrev_b64 v[30:31], 2, v[30:31]
	v_add_u32_e32 v34, s68, v86
	v_add_co_u32_e32 v30, vcc, s0, v30
	v_ashrrev_i32_e32 v35, 31, v34
	v_addc_co_u32_e32 v31, vcc, v89, v31, vcc
	v_lshlrev_b64 v[34:35], 2, v[34:35]
	v_add_u32_e32 v40, s69, v86
	v_add_co_u32_e32 v34, vcc, s0, v34
	v_ashrrev_i32_e32 v41, 31, v40
	v_addc_co_u32_e32 v35, vcc, v89, v35, vcc
	;; [unrolled: 5-line block ×3, first 2 shown]
	v_lshlrev_b64 v[42:43], 2, v[42:43]
	v_add_co_u32_e32 v42, vcc, s0, v42
	v_addc_co_u32_e32 v43, vcc, v89, v43, vcc
	v_add_co_u32_e32 v46, vcc, s0, v44
	v_add_u32_e32 v44, s72, v86
	v_addc_co_u32_e32 v47, vcc, v89, v45, vcc
	v_ashrrev_i32_e32 v45, 31, v44
	v_lshlrev_b64 v[44:45], 2, v[44:45]
	v_add_co_u32_e32 v52, vcc, s0, v44
	v_add_u32_e32 v44, s73, v86
	v_addc_co_u32_e32 v53, vcc, v89, v45, vcc
	v_ashrrev_i32_e32 v45, 31, v44
	v_lshlrev_b64 v[44:45], 2, v[44:45]
	;; [unrolled: 5-line block ×3, first 2 shown]
	v_add_co_u32_e32 v56, vcc, s0, v44
	v_addc_co_u32_e32 v57, vcc, v89, v45, vcc
	global_load_dword v44, v[30:31], off
	global_load_dword v45, v[34:35], off
	;; [unrolled: 1-line block ×6, first 2 shown]
	s_nop 0
	global_load_dword v42, v[54:55], off
	global_load_dword v43, v[56:57], off
	v_add_u32_e32 v30, s75, v86
	v_ashrrev_i32_e32 v31, 31, v30
	v_lshlrev_b64 v[30:31], 2, v[30:31]
	v_add_u32_e32 v34, s76, v86
	v_add_co_u32_e32 v30, vcc, s0, v30
	v_ashrrev_i32_e32 v35, 31, v34
	v_addc_co_u32_e32 v31, vcc, v89, v31, vcc
	v_lshlrev_b64 v[34:35], 2, v[34:35]
	v_add_u32_e32 v40, s77, v86
	v_add_co_u32_e32 v34, vcc, s0, v34
	v_ashrrev_i32_e32 v41, 31, v40
	v_addc_co_u32_e32 v35, vcc, v89, v35, vcc
	;; [unrolled: 5-line block ×6, first 2 shown]
	v_lshlrev_b64 v[56:57], 2, v[56:57]
	v_add_co_u32_e32 v56, vcc, s0, v56
	v_addc_co_u32_e32 v57, vcc, v89, v57, vcc
	v_add_co_u32_e32 v58, vcc, s0, v58
	v_addc_co_u32_e32 v59, vcc, v89, v59, vcc
	global_load_dword v60, v[30:31], off
	global_load_dword v61, v[34:35], off
	;; [unrolled: 1-line block ×8, first 2 shown]
	v_add_u32_e32 v30, s83, v86
	v_ashrrev_i32_e32 v31, 31, v30
	v_lshlrev_b64 v[30:31], 2, v[30:31]
	v_add_u32_e32 v34, s84, v86
	v_add_co_u32_e32 v30, vcc, s0, v30
	v_ashrrev_i32_e32 v35, 31, v34
	v_addc_co_u32_e32 v31, vcc, v89, v31, vcc
	v_lshlrev_b64 v[34:35], 2, v[34:35]
	v_add_u32_e32 v40, s85, v86
	v_add_co_u32_e32 v34, vcc, s0, v34
	v_ashrrev_i32_e32 v41, 31, v40
	v_addc_co_u32_e32 v35, vcc, v89, v35, vcc
	;; [unrolled: 5-line block ×7, first 2 shown]
	v_lshlrev_b64 v[58:59], 2, v[58:59]
	v_add_co_u32_e32 v58, vcc, s0, v58
	v_addc_co_u32_e32 v59, vcc, v89, v59, vcc
	global_load_dword v68, v[30:31], off
	global_load_dword v69, v[34:35], off
	;; [unrolled: 1-line block ×8, first 2 shown]
	v_add_u32_e32 v30, s90, v86
	v_ashrrev_i32_e32 v31, 31, v30
	v_lshlrev_b64 v[30:31], 2, v[30:31]
	v_add_u32_e32 v34, s91, v86
	v_add_co_u32_e32 v30, vcc, s0, v30
	v_ashrrev_i32_e32 v35, 31, v34
	v_addc_co_u32_e32 v31, vcc, v89, v31, vcc
	v_lshlrev_b64 v[34:35], 2, v[34:35]
	v_add_u32_e32 v40, s92, v86
	v_add_co_u32_e32 v34, vcc, s0, v34
	v_ashrrev_i32_e32 v41, 31, v40
	v_addc_co_u32_e32 v35, vcc, v89, v35, vcc
	;; [unrolled: 5-line block ×7, first 2 shown]
	v_lshlrev_b64 v[58:59], 2, v[58:59]
	v_add_co_u32_e32 v58, vcc, s0, v58
	v_addc_co_u32_e32 v59, vcc, v89, v59, vcc
	global_load_dword v76, v[30:31], off
	global_load_dword v77, v[34:35], off
	;; [unrolled: 1-line block ×8, first 2 shown]
	v_add_u32_e32 v30, s22, v86
	v_ashrrev_i32_e32 v31, 31, v30
	v_lshlrev_b64 v[30:31], 2, v[30:31]
	v_add_u32_e32 v34, s23, v86
	v_add_co_u32_e32 v30, vcc, s0, v30
	v_ashrrev_i32_e32 v35, 31, v34
	v_addc_co_u32_e32 v31, vcc, v89, v31, vcc
	v_lshlrev_b64 v[34:35], 2, v[34:35]
	v_add_u32_e32 v40, s28, v86
	v_add_co_u32_e32 v34, vcc, s0, v34
	v_ashrrev_i32_e32 v41, 31, v40
	v_addc_co_u32_e32 v35, vcc, v89, v35, vcc
	;; [unrolled: 5-line block ×5, first 2 shown]
	v_lshlrev_b64 v[54:55], 2, v[54:55]
	v_add_co_u32_e32 v54, vcc, s0, v54
	v_addc_co_u32_e32 v55, vcc, v89, v55, vcc
	global_load_dword v94, v[30:31], off
	global_load_dword v95, v[34:35], off
	;; [unrolled: 1-line block ×6, first 2 shown]
	s_waitcnt vmcnt(55)
	ds_write_b32 v87, v18 offset:2112
	s_waitcnt vmcnt(54)
	ds_write_b32 v87, v19 offset:2376
	s_waitcnt vmcnt(53)
	ds_write_b32 v87, v20 offset:2640
	s_waitcnt vmcnt(52)
	ds_write_b32 v87, v21 offset:2904
	s_waitcnt vmcnt(51)
	ds_write_b32 v87, v22 offset:3168
	s_waitcnt vmcnt(50)
	ds_write_b32 v87, v23 offset:3432
	s_waitcnt vmcnt(49)
	ds_write_b32 v87, v26 offset:3696
	s_waitcnt vmcnt(48)
	ds_write_b32 v87, v27 offset:3960
	ds_read_b64 v[46:47], v88
	ds_read_b64 v[40:41], v88 offset:32
	ds_read_b64 v[34:35], v88 offset:64
	ds_read_b64 v[30:31], v88 offset:96
	ds_read_b64 v[26:27], v88 offset:128
	ds_read_b64 v[22:23], v88 offset:160
	ds_read_b64 v[20:21], v88 offset:192
	ds_read_b64 v[18:19], v88 offset:224
	s_waitcnt vmcnt(47)
	ds_write_b32 v87, v24
	s_waitcnt vmcnt(46)
	ds_write_b32 v87, v25 offset:264
	s_waitcnt vmcnt(45)
	ds_write_b32 v87, v28 offset:528
	s_waitcnt vmcnt(44)
	ds_write_b32 v87, v29 offset:792
	s_waitcnt vmcnt(43)
	ds_write_b32 v87, v32 offset:1056
	s_waitcnt vmcnt(42)
	ds_write_b32 v87, v33 offset:1320
	s_waitcnt vmcnt(41)
	ds_write_b32 v87, v36 offset:1584
	s_waitcnt vmcnt(40)
	ds_write_b32 v87, v37 offset:1848
	s_waitcnt vmcnt(39)
	ds_write_b32 v87, v38 offset:2112
	s_waitcnt vmcnt(38)
	ds_write_b32 v87, v39 offset:2376
	s_waitcnt vmcnt(37)
	ds_write_b32 v87, v44 offset:2640
	s_waitcnt vmcnt(36)
	ds_write_b32 v87, v45 offset:2904
	s_waitcnt vmcnt(35)
	ds_write_b32 v87, v48 offset:3168
	s_waitcnt vmcnt(34)
	ds_write_b32 v87, v49 offset:3432
	s_waitcnt vmcnt(33)
	ds_write_b32 v87, v50 offset:3696
	s_waitcnt vmcnt(32)
	ds_write_b32 v87, v51 offset:3960
	ds_read_b64 v[58:59], v88
	ds_read_b64 v[54:55], v88 offset:32
	ds_read_b64 v[50:51], v88 offset:64
	ds_read_b64 v[44:45], v88 offset:96
	ds_read_b64 v[38:39], v88 offset:128
	ds_read_b64 v[32:33], v88 offset:160
	ds_read_b64 v[28:29], v88 offset:192
	ds_read_b64 v[24:25], v88 offset:224
	s_waitcnt vmcnt(31)
	ds_write_b32 v87, v42
	s_waitcnt vmcnt(30)
	ds_write_b32 v87, v43 offset:264
	s_waitcnt vmcnt(29)
	ds_write_b32 v87, v60 offset:528
	s_waitcnt vmcnt(28)
	ds_write_b32 v87, v61 offset:792
	s_waitcnt vmcnt(27)
	ds_write_b32 v87, v62 offset:1056
	s_waitcnt vmcnt(26)
	ds_write_b32 v87, v63 offset:1320
	s_waitcnt vmcnt(25)
	ds_write_b32 v87, v64 offset:1584
	s_waitcnt vmcnt(24)
	ds_write_b32 v87, v65 offset:1848
	;; [unrolled: 40-line block ×3, first 2 shown]
	s_waitcnt vmcnt(7)
	ds_write_b32 v87, v92 offset:2112
	s_waitcnt vmcnt(6)
	ds_write_b32 v87, v93 offset:2376
	;; [unrolled: 2-line block ×8, first 2 shown]
	ds_read_b64 v[80:81], v88
	ds_read_b64 v[78:79], v88 offset:32
	ds_read_b64 v[76:77], v88 offset:64
	;; [unrolled: 1-line block ×7, first 2 shown]
	s_andn2_b64 vcc, exec, s[4:5]
	v_mov_b32_e32 v92, 0
	s_cbranch_vccnz .LBB96_9
; %bb.7:                                ;   in Loop: Header=BB96_6 Depth=1
	s_load_dword vcc_lo, s[34:35], 0x0
	v_mov_b32_e32 v92, 0
	s_waitcnt lgkmcnt(0)
	s_mul_hi_u32 vcc_hi, vcc_lo, s16
	s_add_i32 vcc_hi, vcc_lo, vcc_hi
	s_lshr_b32 s30, vcc_hi, s17
	s_cmp_ge_i32 s30, s13
	s_cbranch_scc1 .LBB96_9
; %bb.8:                                ;   in Loop: Header=BB96_6 Depth=1
	s_mul_i32 vcc_hi, s30, s18
	s_sub_i32 s31, vcc_lo, vcc_hi
	s_mul_i32 s31, s31, s1
	s_mul_i32 s30, s30, s20
	s_add_i32 s30, s30, s31
	v_add_u32_e32 v92, s30, v86
	v_ashrrev_i32_e32 v93, 31, v92
	v_lshlrev_b64 v[92:93], 2, v[92:93]
	v_mov_b32_e32 v94, s11
	v_add_co_u32_e32 v92, vcc, s10, v92
	v_addc_co_u32_e32 v93, vcc, v94, v93, vcc
	global_load_dword v92, v[92:93], off
.LBB96_9:                               ;   in Loop: Header=BB96_6 Depth=1
	s_andn2_b64 vcc, exec, s[36:37]
	v_mov_b32_e32 v93, 0
	v_mov_b32_e32 v94, 0
	s_cbranch_vccnz .LBB96_12
; %bb.10:                               ;   in Loop: Header=BB96_6 Depth=1
	s_load_dword vcc_lo, s[34:35], 0x4
	v_mov_b32_e32 v94, 0
	s_waitcnt lgkmcnt(0)
	s_mul_hi_u32 s30, vcc_lo, s16
	s_add_i32 s30, vcc_lo, s30
	s_lshr_b32 vcc_hi, s30, s17
	s_cmp_ge_i32 vcc_hi, s13
	s_cbranch_scc1 .LBB96_12
; %bb.11:                               ;   in Loop: Header=BB96_6 Depth=1
	s_mul_i32 s30, vcc_hi, s18
	s_sub_i32 s30, vcc_lo, s30
	s_mul_i32 s30, s30, s1
	s_mul_i32 s31, vcc_hi, s20
	s_add_i32 s31, s31, s30
	v_add_u32_e32 v94, s31, v86
	v_ashrrev_i32_e32 v95, 31, v94
	v_lshlrev_b64 v[94:95], 2, v[94:95]
	v_mov_b32_e32 v96, s11
	v_add_co_u32_e32 v94, vcc, s10, v94
	v_addc_co_u32_e32 v95, vcc, v96, v95, vcc
	global_load_dword v94, v[94:95], off
.LBB96_12:                              ;   in Loop: Header=BB96_6 Depth=1
	s_andn2_b64 vcc, exec, s[38:39]
	s_cbranch_vccnz .LBB96_15
; %bb.13:                               ;   in Loop: Header=BB96_6 Depth=1
	s_load_dword vcc_lo, s[34:35], 0x8
	v_mov_b32_e32 v93, 0
	s_waitcnt lgkmcnt(0)
	s_mul_hi_u32 s30, vcc_lo, s16
	s_add_i32 s30, vcc_lo, s30
	s_lshr_b32 vcc_hi, s30, s17
	s_cmp_ge_i32 vcc_hi, s13
	s_cbranch_scc1 .LBB96_15
; %bb.14:                               ;   in Loop: Header=BB96_6 Depth=1
	s_mul_i32 s30, vcc_hi, s18
	s_sub_i32 s30, vcc_lo, s30
	s_mul_i32 s30, s30, s1
	s_mul_i32 s31, vcc_hi, s20
	s_add_i32 s31, s31, s30
	v_add_u32_e32 v96, s31, v86
	v_ashrrev_i32_e32 v97, 31, v96
	v_lshlrev_b64 v[96:97], 2, v[96:97]
	v_mov_b32_e32 v93, s11
	v_add_co_u32_e32 v96, vcc, s10, v96
	v_addc_co_u32_e32 v97, vcc, v93, v97, vcc
	global_load_dword v93, v[96:97], off
.LBB96_15:                              ;   in Loop: Header=BB96_6 Depth=1
	s_andn2_b64 vcc, exec, s[40:41]
	v_mov_b32_e32 v95, 0
	s_cbranch_vccnz .LBB96_5
; %bb.16:                               ;   in Loop: Header=BB96_6 Depth=1
	s_load_dword vcc_lo, s[34:35], 0xc
	v_mov_b32_e32 v95, 0
	s_waitcnt lgkmcnt(0)
	s_mul_hi_u32 s30, vcc_lo, s16
	s_add_i32 s30, vcc_lo, s30
	s_lshr_b32 vcc_hi, s30, s17
	s_cmp_ge_i32 vcc_hi, s13
	s_cbranch_scc1 .LBB96_5
; %bb.17:                               ;   in Loop: Header=BB96_6 Depth=1
	s_mul_i32 s30, vcc_hi, s18
	s_sub_i32 s30, vcc_lo, s30
	s_mul_i32 s30, s30, s1
	s_mul_i32 s31, vcc_hi, s20
	s_add_i32 s31, s31, s30
	v_add_u32_e32 v96, s31, v86
	v_ashrrev_i32_e32 v97, 31, v96
	v_lshlrev_b64 v[96:97], 2, v[96:97]
	v_mov_b32_e32 v95, s11
	v_add_co_u32_e32 v96, vcc, s10, v96
	v_addc_co_u32_e32 v97, vcc, v95, v97, vcc
	global_load_dword v95, v[96:97], off
	s_branch .LBB96_5
.LBB96_18:
	s_or_b64 exec, exec, s[8:9]
	v_readlane_b32 s24, v100, 6
	v_readlane_b32 s25, v100, 7
	;; [unrolled: 1-line block ×3, first 2 shown]
.LBB96_19:
	v_readlane_b32 s0, v100, 4
	v_readlane_b32 s1, v100, 5
	s_or_b64 exec, exec, s[0:1]
	v_mul_u32_u24_e32 v16, 0x808, v85
	v_lshlrev_b32_e32 v17, 2, v84
	v_add3_u32 v16, 0, v16, v17
	v_and_b32_e32 v17, 0x3f0, v82
	v_add_u32_e32 v17, v16, v17
	s_barrier
	ds_write2_b32 v17, v0, v1 offset1:1
	ds_write_b32 v17, v2 offset:8
	v_or_b32_e32 v0, 12, v82
	v_and_b32_e32 v0, 0x3fc, v0
	v_add_u32_e32 v0, v16, v0
	v_cmp_gt_u32_e32 vcc, 4, v83
	ds_write_b32 v0, v3
	ds_write2_b32 v17, v8, v9 offset0:16 offset1:17
	ds_write_b32 v17, v10 offset:72
	ds_write_b32 v0, v11 offset:64
	ds_write2_b32 v17, v4, v5 offset0:32 offset1:33
	ds_write_b32 v17, v6 offset:136
	ds_write_b32 v0, v7 offset:128
	;; [unrolled: 3-line block ×3, first 2 shown]
	s_waitcnt lgkmcnt(0)
	s_barrier
	s_and_saveexec_b64 s[0:1], vcc
	s_cbranch_execz .LBB96_23
; %bb.20:
	v_or_b32_e32 v0, s6, v83
	s_cmp_gt_i32 s14, 0
	v_cmp_gt_i32_e32 vcc, s33, v0
	s_cselect_b64 s[0:1], -1, 0
	s_and_b64 s[0:1], s[0:1], vcc
	s_and_b64 exec, exec, s[0:1]
	s_cbranch_execz .LBB96_23
; %bb.21:
	s_lshl_b64 s[0:1], s[26:27], 2
	v_readlane_b32 s4, v100, 0
	v_readlane_b32 s5, v100, 1
	s_add_u32 s0, s4, s0
	v_ashrrev_i32_e32 v1, 31, v0
	s_addc_u32 s1, s5, s1
	v_lshlrev_b64 v[0:1], 2, v[0:1]
	v_mov_b32_e32 v2, s1
	v_add_co_u32_e32 v0, vcc, s0, v0
	v_addc_co_u32_e32 v1, vcc, v2, v1, vcc
	global_load_dword v0, v[0:1], off
	s_waitcnt vmcnt(0)
	v_mul_hi_u32 v1, v0, s19
	v_add_u32_e32 v1, v0, v1
	v_lshrrev_b32_e32 v1, s24, v1
	v_cmp_gt_i32_e32 vcc, s13, v1
	s_and_b64 exec, exec, vcc
	s_cbranch_execz .LBB96_23
; %bb.22:
	v_mul_u32_u24_e32 v2, 0x808, v83
	v_lshlrev_b32_e32 v3, 2, v82
	v_add3_u32 v8, 0, v2, v3
	ds_read2st64_b32 v[2:3], v8 offset1:1
	ds_read2st64_b32 v[4:5], v8 offset0:2 offset1:3
	ds_read2st64_b32 v[6:7], v8 offset0:4 offset1:5
	;; [unrolled: 1-line block ×3, first 2 shown]
	v_readlane_b32 s0, v100, 2
	s_waitcnt lgkmcnt(3)
	v_add_f32_e32 v2, 0, v2
	v_add_f32_e32 v2, v2, v3
	v_mul_lo_u32 v3, v1, s25
	s_waitcnt lgkmcnt(2)
	v_add_f32_e32 v2, v2, v4
	v_sub_u32_e32 v0, v0, v3
	v_add_f32_e32 v2, v2, v5
	v_mul_lo_u32 v0, v0, s2
	v_mul_lo_u32 v1, v1, s21
	v_add_u32_e32 v3, s7, v82
	s_waitcnt lgkmcnt(1)
	v_add_f32_e32 v2, v2, v6
	v_add3_u32 v0, v3, v1, v0
	v_mov_b32_e32 v1, 0
	v_add_f32_e32 v2, v2, v7
	v_lshlrev_b64 v[0:1], 2, v[0:1]
	v_readlane_b32 s1, v100, 3
	s_waitcnt lgkmcnt(0)
	v_add_f32_e32 v2, v2, v8
	v_mov_b32_e32 v3, s1
	v_add_co_u32_e32 v0, vcc, s0, v0
	v_add_f32_e32 v2, v2, v9
	v_addc_co_u32_e32 v1, vcc, v3, v1, vcc
	global_store_dword v[0:1], v2, off
.LBB96_23:
	s_endpgm
	.section	.rodata,"a",@progbits
	.p2align	6, 0x0
	.amdhsa_kernel _ZL13mul_mat_f_idsIfLi64ELi4ELi8EEvPKT_PKfPKiS6_S6_Pfiiiiiiiiiiiiii15HIP_vector_typeIjLj3EES9_
		.amdhsa_group_segment_fixed_size 0
		.amdhsa_private_segment_fixed_size 0
		.amdhsa_kernarg_size 128
		.amdhsa_user_sgpr_count 6
		.amdhsa_user_sgpr_private_segment_buffer 1
		.amdhsa_user_sgpr_dispatch_ptr 0
		.amdhsa_user_sgpr_queue_ptr 0
		.amdhsa_user_sgpr_kernarg_segment_ptr 1
		.amdhsa_user_sgpr_dispatch_id 0
		.amdhsa_user_sgpr_flat_scratch_init 0
		.amdhsa_user_sgpr_kernarg_preload_length 0
		.amdhsa_user_sgpr_kernarg_preload_offset 0
		.amdhsa_user_sgpr_private_segment_size 0
		.amdhsa_uses_dynamic_stack 0
		.amdhsa_system_sgpr_private_segment_wavefront_offset 0
		.amdhsa_system_sgpr_workgroup_id_x 1
		.amdhsa_system_sgpr_workgroup_id_y 1
		.amdhsa_system_sgpr_workgroup_id_z 1
		.amdhsa_system_sgpr_workgroup_info 0
		.amdhsa_system_vgpr_workitem_id 1
		.amdhsa_next_free_vgpr 101
		.amdhsa_next_free_sgpr 96
		.amdhsa_accum_offset 104
		.amdhsa_reserve_vcc 1
		.amdhsa_reserve_flat_scratch 0
		.amdhsa_float_round_mode_32 0
		.amdhsa_float_round_mode_16_64 0
		.amdhsa_float_denorm_mode_32 3
		.amdhsa_float_denorm_mode_16_64 3
		.amdhsa_dx10_clamp 1
		.amdhsa_ieee_mode 1
		.amdhsa_fp16_overflow 0
		.amdhsa_tg_split 0
		.amdhsa_exception_fp_ieee_invalid_op 0
		.amdhsa_exception_fp_denorm_src 0
		.amdhsa_exception_fp_ieee_div_zero 0
		.amdhsa_exception_fp_ieee_overflow 0
		.amdhsa_exception_fp_ieee_underflow 0
		.amdhsa_exception_fp_ieee_inexact 0
		.amdhsa_exception_int_div_zero 0
	.end_amdhsa_kernel
	.section	.text._ZL13mul_mat_f_idsIfLi64ELi4ELi8EEvPKT_PKfPKiS6_S6_Pfiiiiiiiiiiiiii15HIP_vector_typeIjLj3EES9_,"axG",@progbits,_ZL13mul_mat_f_idsIfLi64ELi4ELi8EEvPKT_PKfPKiS6_S6_Pfiiiiiiiiiiiiii15HIP_vector_typeIjLj3EES9_,comdat
.Lfunc_end96:
	.size	_ZL13mul_mat_f_idsIfLi64ELi4ELi8EEvPKT_PKfPKiS6_S6_Pfiiiiiiiiiiiiii15HIP_vector_typeIjLj3EES9_, .Lfunc_end96-_ZL13mul_mat_f_idsIfLi64ELi4ELi8EEvPKT_PKfPKiS6_S6_Pfiiiiiiiiiiiiii15HIP_vector_typeIjLj3EES9_
                                        ; -- End function
	.section	.AMDGPU.csdata,"",@progbits
; Kernel info:
; codeLenInByte = 5632
; NumSgprs: 100
; NumVgprs: 101
; NumAgprs: 0
; TotalNumVgprs: 101
; ScratchSize: 0
; MemoryBound: 0
; FloatMode: 240
; IeeeMode: 1
; LDSByteSize: 0 bytes/workgroup (compile time only)
; SGPRBlocks: 12
; VGPRBlocks: 12
; NumSGPRsForWavesPerEU: 100
; NumVGPRsForWavesPerEU: 101
; AccumOffset: 104
; Occupancy: 4
; WaveLimiterHint : 1
; COMPUTE_PGM_RSRC2:SCRATCH_EN: 0
; COMPUTE_PGM_RSRC2:USER_SGPR: 6
; COMPUTE_PGM_RSRC2:TRAP_HANDLER: 0
; COMPUTE_PGM_RSRC2:TGID_X_EN: 1
; COMPUTE_PGM_RSRC2:TGID_Y_EN: 1
; COMPUTE_PGM_RSRC2:TGID_Z_EN: 1
; COMPUTE_PGM_RSRC2:TIDIG_COMP_CNT: 1
; COMPUTE_PGM_RSRC3_GFX90A:ACCUM_OFFSET: 25
; COMPUTE_PGM_RSRC3_GFX90A:TG_SPLIT: 0
	.section	.text._ZL9mul_mat_fIfLi64ELi4ELi8ELb1EEvPKT_PKfPKiPfiiiiiiiiiiiiiiii,"axG",@progbits,_ZL9mul_mat_fIfLi64ELi4ELi8ELb1EEvPKT_PKfPKiPfiiiiiiiiiiiiiiii,comdat
	.globl	_ZL9mul_mat_fIfLi64ELi4ELi8ELb1EEvPKT_PKfPKiPfiiiiiiiiiiiiiiii ; -- Begin function _ZL9mul_mat_fIfLi64ELi4ELi8ELb1EEvPKT_PKfPKiPfiiiiiiiiiiiiiiii
	.p2align	8
	.type	_ZL9mul_mat_fIfLi64ELi4ELi8ELb1EEvPKT_PKfPKiPfiiiiiiiiiiiiiiii,@function
_ZL9mul_mat_fIfLi64ELi4ELi8ELb1EEvPKT_PKfPKiPfiiiiiiiiiiiiiiii: ; @_ZL9mul_mat_fIfLi64ELi4ELi8ELb1EEvPKT_PKfPKiPfiiiiiiiiiiiiiiii
; %bb.0:
	s_load_dwordx8 s[12:19], s[4:5], 0x20
	v_bfe_u32 v17, v0, 10, 10
	v_and_b32_e32 v16, 0x3ff, v0
	v_cmp_eq_u32_e32 vcc, 0, v16
	v_mul_i32_i24_e32 v85, 0xffffef84, v17
	s_waitcnt lgkmcnt(0)
	s_add_i32 s0, s13, 3
	s_ashr_i32 s1, s0, 31
	s_lshr_b32 s1, s1, 30
	s_add_i32 s0, s0, s1
	s_ashr_i32 s0, s0, 2
	v_cvt_f32_u32_e32 v1, s0
	s_load_dwordx8 s[20:27], s[4:5], 0x44
	s_load_dword s1, s[4:5], 0x64
	s_sub_i32 s2, 0, s0
	s_add_u32 s10, s4, 0x60
	v_rcp_iflag_f32_e32 v1, v1
	s_addc_u32 s11, s5, 0
	v_mul_f32_e32 v1, 0x4f7ffffe, v1
	v_cvt_u32_f32_e32 v1, v1
	v_readfirstlane_b32 s3, v1
	s_mul_i32 s2, s2, s3
	s_mul_hi_u32 s2, s3, s2
	s_add_i32 s3, s3, s2
	s_waitcnt lgkmcnt(0)
	s_mul_hi_u32 s2, s1, s3
	s_mul_i32 s3, s2, s0
	s_sub_i32 s1, s1, s3
	s_add_i32 s9, s2, 1
	s_sub_i32 s3, s1, s0
	s_cmp_ge_u32 s1, s0
	s_cselect_b32 s2, s9, s2
	s_cselect_b32 s1, s3, s1
	s_add_i32 s3, s2, 1
	s_cmp_ge_u32 s1, s0
	s_cselect_b32 s9, s3, s2
	s_abs_i32 s27, s23
	v_cvt_f32_u32_e32 v1, s9
	v_cvt_f32_u32_e32 v2, s27
	s_sub_i32 s0, 0, s9
	s_sub_i32 s1, 0, s27
	v_rcp_iflag_f32_e32 v1, v1
	v_rcp_iflag_f32_e32 v2, v2
	s_abs_i32 s33, s8
	v_mul_f32_e32 v1, 0x4f7ffffe, v1
	v_mul_f32_e32 v2, 0x4f7ffffe, v2
	v_cvt_u32_f32_e32 v1, v1
	v_cvt_u32_f32_e32 v2, v2
	v_readfirstlane_b32 s2, v1
	v_readfirstlane_b32 s35, v2
	s_mul_i32 s0, s0, s2
	s_mul_i32 s1, s1, s35
	s_mul_hi_u32 s0, s2, s0
	s_mul_hi_u32 s1, s35, s1
	s_add_i32 s2, s2, s0
	s_movk_i32 s0, 0x1080
	v_mov_b32_e32 v1, 0x100
	s_mul_hi_u32 s34, s7, s2
	s_add_i32 s35, s35, s1
	v_mad_u32_u24 v84, v17, s0, v1
	s_and_saveexec_b64 s[0:1], vcc
	s_cbranch_execz .LBB97_2
; %bb.1:
	v_add_u32_e32 v1, v84, v85
	v_mov_b32_e32 v2, -1
	ds_write_b32 v1, v2
.LBB97_2:
	s_or_b64 exec, exec, s[0:1]
	s_mul_i32 s0, s34, s9
	s_sub_i32 s0, s7, s0
	s_mul_hi_u32 s36, s33, s35
	s_add_i32 s1, s34, 1
	s_sub_i32 s35, s0, s9
	s_cmp_ge_u32 s0, s9
	s_cselect_b32 s1, s1, s34
	s_cselect_b32 s0, s35, s0
	s_add_i32 s34, s1, 1
	s_cmp_ge_u32 s0, s9
	s_load_dwordx4 s[28:31], s[4:5], 0x0
	s_load_dwordx2 s[2:3], s[4:5], 0x18
	s_cselect_b32 s0, s34, s1
	s_mul_i32 s1, s0, s9
	s_lshl_b32 s9, s0, 2
	v_add_u32_e32 v1, s9, v17
	s_sub_i32 s7, s7, s1
	v_cmp_gt_i32_e32 vcc, s13, v1
	v_cmp_gt_i32_e64 s[0:1], s14, v16
	s_and_b64 s[0:1], vcc, s[0:1]
	v_mov_b32_e32 v1, 0
	s_and_saveexec_b64 s[34:35], s[0:1]
	s_cbranch_execz .LBB97_8
; %bb.3:
	s_load_dwordx2 s[0:1], s[4:5], 0x10
	s_mul_hi_i32 s5, s9, s19
	s_mul_i32 s4, s9, s19
	v_mul_lo_u32 v2, v17, s19
	s_lshl_b64 s[4:5], s[4:5], 2
	s_waitcnt lgkmcnt(0)
	s_add_u32 s0, s0, s4
	v_ashrrev_i32_e32 v3, 31, v2
	s_addc_u32 s1, s1, s5
	v_lshlrev_b64 v[2:3], 2, v[2:3]
	v_mov_b32_e32 v4, s1
	v_add_co_u32_e32 v1, vcc, s0, v2
	v_addc_co_u32_e32 v4, vcc, v4, v3, vcc
	v_mul_lo_u32 v2, v16, s18
	s_lshl_b32 s37, s18, 6
	s_mov_b64 s[4:5], 0
	v_mov_b32_e32 v5, 0
	v_add_u32_e32 v6, v84, v85
	v_mov_b32_e32 v7, v16
	s_branch .LBB97_5
.LBB97_4:                               ;   in Loop: Header=BB97_5 Depth=1
	s_or_b64 exec, exec, s[18:19]
	v_add_u32_e32 v7, 64, v7
	v_cmp_le_i32_e64 s[0:1], s14, v7
	s_xor_b64 s[18:19], vcc, -1
	s_or_b64 s[0:1], s[18:19], s[0:1]
	s_and_b64 s[0:1], exec, s[0:1]
	s_or_b64 s[4:5], s[0:1], s[4:5]
	v_add_u32_e32 v2, s37, v2
	s_andn2_b64 exec, exec, s[4:5]
	s_cbranch_execz .LBB97_7
.LBB97_5:                               ; =>This Inner Loop Header: Depth=1
	v_ashrrev_i32_e32 v3, 31, v2
	v_lshlrev_b64 v[8:9], 2, v[2:3]
	v_add_co_u32_e32 v8, vcc, v1, v8
	v_addc_co_u32_e32 v9, vcc, v4, v9, vcc
	global_load_dword v3, v[8:9], off
	s_waitcnt vmcnt(0)
	v_cmp_ne_u32_e32 vcc, s7, v3
	v_cmp_eq_u32_e64 s[0:1], s7, v3
	s_and_saveexec_b64 s[18:19], s[0:1]
	s_cbranch_execz .LBB97_4
; %bb.6:                                ;   in Loop: Header=BB97_5 Depth=1
	v_mov_b32_e32 v5, 1
	ds_write_b32 v6, v7
	s_branch .LBB97_4
.LBB97_7:
	s_or_b64 exec, exec, s[4:5]
	v_cmp_ne_u32_e32 vcc, 0, v5
	v_cndmask_b32_e64 v1, 0, 1, vcc
.LBB97_8:
	s_or_b64 exec, exec, s[34:35]
	s_load_dwordx2 s[0:1], s[10:11], 0xc
	v_or_b32_dpp v1, v1, v1 row_shl:1 row_mask:0xf bank_mask:0xf bound_ctrl:1
	s_ashr_i32 s4, s8, 31
	s_ashr_i32 s5, s23, 31
	v_or_b32_dpp v1, v1, v1 row_shl:2 row_mask:0xf bank_mask:0xf bound_ctrl:1
	s_waitcnt lgkmcnt(0)
	s_and_b32 s10, s1, 0xffff
	s_lshr_b32 s1, s0, 16
	s_and_b32 s0, s0, 0xffff
	s_mul_i32 s11, s1, s0
	v_or_b32_dpp v1, v1, v1 row_shl:4 row_mask:0xf bank_mask:0xf bound_ctrl:1
	s_bfe_i32 s11, s11, 0x180000
	s_mul_i32 s10, s11, s10
	v_or_b32_dpp v1, v1, v1 row_shl:8 row_mask:0xf bank_mask:0xf bound_ctrl:1
	s_add_i32 s11, s10, 63
	s_bitcmp1_b32 exec_hi, 0
	v_mov_b32_dpp v2, v1 wave_shl:1 row_mask:0xf bank_mask:0xf bound_ctrl:1
	s_nop 1
	v_or_b32_dpp v1, v2, v1 row_mirror row_mask:0xf bank_mask:0xf bound_ctrl:1
	v_readlane_b32 s10, v1, 32
	s_cselect_b32 s10, s10, 0
	v_readlane_b32 s14, v1, 0
	s_or_b32 s10, s10, s14
	s_andn2_b32 s11, s11, 63
	s_cmp_lg_u32 s11, 64
	v_mov_b32_e32 v1, s10
	s_cbranch_scc0 .LBB97_15
; %bb.9:
	v_bfe_u32 v0, v0, 20, 10
	v_mbcnt_lo_u32_b32 v1, -1, 0
	v_mad_u32_u24 v0, v0, s1, v17
	v_mbcnt_hi_u32_b32 v2, -1, v1
	v_mad_u64_u32 v[0:1], s[0:1], v0, s0, v[16:17]
	v_lshrrev_b32_e32 v1, 6, v0
	v_or_b32_e32 v1, v2, v1
	v_cmp_eq_u32_e32 vcc, 0, v1
	s_and_saveexec_b64 s[0:1], vcc
	s_cbranch_execz .LBB97_11
; %bb.10:
	v_mov_b32_e32 v1, 0
	v_mov_b32_e32 v3, s10
	ds_write_b32 v1, v3
.LBB97_11:
	s_or_b64 exec, exec, s[0:1]
	v_cmp_eq_u32_e32 vcc, 0, v2
	v_cmp_lt_u32_e64 s[0:1], 63, v0
	s_and_b64 s[18:19], s[0:1], vcc
	s_waitcnt lgkmcnt(0)
	s_barrier
	s_and_saveexec_b64 s[0:1], s[18:19]
	s_cbranch_execz .LBB97_14
; %bb.12:
	v_mbcnt_lo_u32_b32 v0, exec_lo, 0
	v_mbcnt_hi_u32_b32 v0, exec_hi, v0
	v_cmp_eq_u32_e32 vcc, 0, v0
	s_and_b64 exec, exec, vcc
	s_cbranch_execz .LBB97_14
; %bb.13:
	v_mov_b32_e32 v0, 0
	v_mov_b32_e32 v1, s10
	ds_or_b32 v0, v1
.LBB97_14:
	s_or_b64 exec, exec, s[0:1]
	v_mov_b32_e32 v0, 0
	s_waitcnt lgkmcnt(0)
	s_barrier
	ds_read_b32 v1, v0
	s_waitcnt lgkmcnt(0)
	s_barrier
.LBB97_15:
	v_cmp_ne_u32_e32 vcc, 0, v1
	s_cbranch_vccz .LBB97_41
; %bb.16:
	v_lshlrev_b32_e32 v86, 6, v17
	v_add_u32_e32 v88, v86, v16
	v_cmp_le_i32_e32 vcc, s12, v88
	v_and_b32_e32 v87, 15, v16
                                        ; implicit-def: $sgpr10
	s_and_saveexec_b64 s[0:1], vcc
	s_xor_b64 s[0:1], exec, s[0:1]
; %bb.17:
	v_and_b32_e32 v87, 15, v16
	s_mov_b32 s10, 0
                                        ; implicit-def: $vgpr88
; %bb.18:
	s_or_saveexec_b64 s[0:1], s[0:1]
	s_lshl_b32 s23, s6, 6
	v_mov_b32_e32 v11, s10
	v_mov_b32_e32 v10, s10
	;; [unrolled: 1-line block ×16, first 2 shown]
	s_xor_b64 exec, exec, s[0:1]
	s_cbranch_execz .LBB97_38
; %bb.19:
	s_xor_b32 s4, s4, s5
	s_mul_i32 s5, s36, s27
	s_sub_i32 s5, s33, s5
	s_add_i32 s6, s36, 1
	s_sub_i32 s10, s5, s27
	s_cmp_ge_u32 s5, s27
	s_cselect_b32 s6, s6, s36
	s_cselect_b32 s5, s10, s5
	s_add_i32 s10, s6, 1
	s_cmp_ge_u32 s5, s27
	s_cselect_b32 s5, s10, s6
	s_xor_b32 s5, s5, s4
	s_sub_i32 s4, s5, s4
	s_mul_hi_i32 s5, s4, s24
	s_mul_i32 s4, s4, s24
	s_mul_i32 s6, s7, s20
	s_ashr_i32 s7, s6, 31
	s_lshl_b64 s[34:35], s[4:5], 2
	s_add_u32 s4, s28, s34
	s_addc_u32 s5, s29, s35
	s_lshl_b64 s[36:37], s[6:7], 2
	s_mul_i32 s10, s23, s15
	s_add_u32 s14, s4, s36
	s_addc_u32 s18, s5, s37
	s_ashr_i32 s11, s10, 31
	s_lshl_b64 s[38:39], s[10:11], 2
	s_mul_hi_i32 s5, s25, s8
	s_mul_i32 s4, s25, s8
	s_add_u32 s20, s14, s38
	s_addc_u32 s14, s18, s39
	s_lshl_b64 s[4:5], s[4:5], 2
	s_mul_hi_i32 s7, s9, s16
	s_mul_i32 s6, s9, s16
	s_add_u32 s10, s30, s4
	s_addc_u32 s11, s31, s5
	s_lshl_b64 s[4:5], s[6:7], 2
	s_add_u32 s27, s10, s4
	s_addc_u32 s30, s11, s5
	s_cmp_lt_i32 s9, s13
	s_cselect_b64 s[4:5], -1, 0
	s_or_b32 s6, s9, 1
	s_cmp_lt_i32 s6, s13
	s_cselect_b64 s[6:7], -1, 0
	s_or_b32 s10, s9, 2
	s_cmp_lt_i32 s10, s13
	s_cselect_b64 s[10:11], -1, 0
	s_lshl_b32 s31, s16, 1
	s_or_b32 s18, s9, 3
	s_cmp_lt_i32 s18, s13
	s_cselect_b64 s[18:19], -1, 0
	s_ashr_i32 s25, s15, 31
	s_mov_b32 s24, s15
	s_lshl_b64 s[24:25], s[24:25], 2
	s_add_u32 s34, s34, s38
	s_addc_u32 s35, s35, s39
	s_add_u32 s34, s34, s36
	v_lshrrev_b32_e32 v1, 1, v16
	s_addc_u32 s35, s35, s37
	v_mul_u32_u24_e32 v0, 0x108, v87
	v_and_b32_e32 v1, 0x1f8, v1
	s_add_u32 s28, s28, s34
	v_add3_u32 v90, v84, v0, v1
	v_lshlrev_b32_e32 v0, 2, v88
	s_addc_u32 s29, s29, s35
	v_mov_b32_e32 v1, s29
	v_add_co_u32_e32 v18, vcc, s28, v0
	v_mov_b32_e32 v12, 0
	v_lshl_add_u32 v89, v16, 2, v84
	s_mul_i32 s33, s16, 3
	v_mov_b32_e32 v91, 0
	v_addc_co_u32_e32 v19, vcc, 0, v1, vcc
	s_lshl_b32 s28, s15, 1
	s_mul_i32 s29, s15, 3
	s_lshl_b32 s34, s15, 2
	s_mul_i32 s35, s15, 5
	s_mul_i32 s36, s15, 6
	;; [unrolled: 1-line block ×3, first 2 shown]
	s_lshl_b32 s38, s15, 3
	s_mul_i32 s39, s15, 9
	s_mul_i32 s40, s15, 10
	;; [unrolled: 1-line block ×7, first 2 shown]
	s_lshl_b32 s46, s15, 4
	s_mul_i32 s47, s15, 17
	s_mul_i32 s48, s15, 18
	;; [unrolled: 1-line block ×15, first 2 shown]
	s_lshl_b32 s62, s15, 5
	s_mul_i32 s63, s15, 33
	s_mul_i32 s64, s15, 34
	s_mul_i32 s65, s15, 35
	s_mul_i32 s66, s15, 36
	s_mul_i32 s67, s15, 37
	s_mul_i32 s68, s15, 38
	s_mul_i32 s69, s15, 39
	s_mul_i32 s70, s15, 40
	s_mul_i32 s71, s15, 41
	s_mul_i32 s72, s15, 42
	s_mul_i32 s73, s15, 43
	s_mul_i32 s74, s15, 44
	v_mov_b32_e32 v92, s14
	s_mul_i32 s75, s15, 45
	v_mov_b32_e32 v93, s25
	v_mov_b32_e32 v94, 0x100
	;; [unrolled: 1-line block ×17, first 2 shown]
	s_mul_i32 s25, s15, 46
	s_mul_i32 s76, s15, 47
	;; [unrolled: 1-line block ×18, first 2 shown]
	s_mov_b64 s[14:15], 0
	s_branch .LBB97_22
.LBB97_20:                              ;   in Loop: Header=BB97_22 Depth=1
	v_mul_lo_u32 v95, v95, s21
	v_add_u32_e32 v95, s33, v95
	v_add_u32_e32 v96, v95, v88
	v_ashrrev_i32_e32 v97, 31, v96
	v_lshlrev_b64 v[96:97], 2, v[96:97]
	v_mov_b32_e32 v95, s30
	v_add_co_u32_e32 v96, vcc, s27, v96
	v_addc_co_u32_e32 v97, vcc, v95, v97, vcc
	global_load_dword v95, v[96:97], off
.LBB97_21:                              ;   in Loop: Header=BB97_22 Depth=1
	v_add_u32_e32 v96, 0x200, v89
	s_waitcnt vmcnt(0)
	ds_write2_b32 v96, v95, v91 offset0:86 offset1:152
	v_add_u32_e32 v95, 0x400, v89
	ds_write2_b32 v95, v91, v91 offset0:90 offset1:156
	v_add_u32_e32 v95, 0x600, v89
	;; [unrolled: 2-line block ×5, first 2 shown]
	ds_write2_b32 v95, v91, v91 offset0:106 offset1:172
	ds_write_b32 v89, v91 offset:4024
	ds_read2_b64 v[96:99], v90 offset0:8 offset1:12
	s_waitcnt lgkmcnt(0)
	v_mfma_f32_16x16x4f32 v[8:11], v48, v96, v[8:11]
	v_add_co_u32_e32 v18, vcc, 0x800, v18
	v_add_u32_e32 v88, 0x200, v88
	v_addc_co_u32_e32 v19, vcc, 0, v19, vcc
	v_cmp_le_i32_e32 vcc, s12, v88
	s_or_b64 s[14:15], vcc, s[14:15]
	v_mfma_f32_16x16x4f32 v[4:7], v60, v96, v[4:7]
	v_mfma_f32_16x16x4f32 v[0:3], v66, v96, v[0:3]
	;; [unrolled: 1-line block ×14, first 2 shown]
	ds_read2_b64 v[64:67], v90 offset0:16 offset1:20
	v_mfma_f32_16x16x4f32 v[12:15], v81, v99, v[12:15]
	s_waitcnt lgkmcnt(0)
	v_mfma_f32_16x16x4f32 v[8:11], v36, v64, v[8:11]
	v_mfma_f32_16x16x4f32 v[4:7], v52, v64, v[4:7]
	;; [unrolled: 1-line block ×14, first 2 shown]
	ds_read2_b64 v[46:49], v90 offset0:24 offset1:28
	v_mfma_f32_16x16x4f32 v[0:3], v59, v67, v[0:3]
	v_mfma_f32_16x16x4f32 v[12:15], v77, v67, v[12:15]
	s_waitcnt lgkmcnt(0)
	v_mfma_f32_16x16x4f32 v[8:11], v28, v46, v[8:11]
	v_mfma_f32_16x16x4f32 v[4:7], v40, v46, v[4:7]
	;; [unrolled: 1-line block ×14, first 2 shown]
	ds_read2_b64 v[32:35], v90 offset0:32 offset1:36
	v_mfma_f32_16x16x4f32 v[0:3], v51, v49, v[0:3]
	v_mfma_f32_16x16x4f32 v[12:15], v73, v49, v[12:15]
	s_waitcnt lgkmcnt(0)
	v_mfma_f32_16x16x4f32 v[8:11], v22, v32, v[8:11]
	v_mfma_f32_16x16x4f32 v[4:7], v30, v32, v[4:7]
	;; [unrolled: 1-line block ×16, first 2 shown]
	s_andn2_b64 exec, exec, s[14:15]
	s_cbranch_execz .LBB97_37
.LBB97_22:                              ; =>This Inner Loop Header: Depth=1
	v_add_co_u32_e32 v20, vcc, s24, v18
	v_addc_co_u32_e32 v21, vcc, v19, v93, vcc
	global_load_dword v32, v[18:19], off
	global_load_dword v33, v[20:21], off
	v_add_u32_e32 v20, s28, v88
	v_ashrrev_i32_e32 v21, 31, v20
	v_lshlrev_b64 v[20:21], 2, v[20:21]
	v_add_u32_e32 v22, s29, v88
	v_add_co_u32_e32 v20, vcc, s20, v20
	v_ashrrev_i32_e32 v23, 31, v22
	v_addc_co_u32_e32 v21, vcc, v92, v21, vcc
	v_lshlrev_b64 v[22:23], 2, v[22:23]
	v_add_u32_e32 v24, s34, v88
	v_add_co_u32_e32 v22, vcc, s20, v22
	v_ashrrev_i32_e32 v25, 31, v24
	v_addc_co_u32_e32 v23, vcc, v92, v23, vcc
	;; [unrolled: 5-line block ×5, first 2 shown]
	v_lshlrev_b64 v[30:31], 2, v[30:31]
	v_add_co_u32_e32 v30, vcc, s20, v30
	v_addc_co_u32_e32 v31, vcc, v92, v31, vcc
	global_load_dword v34, v[20:21], off
	global_load_dword v35, v[22:23], off
	;; [unrolled: 1-line block ×3, first 2 shown]
	s_nop 0
	global_load_dword v26, v[26:27], off
	s_nop 0
	global_load_dword v27, v[28:29], off
	;; [unrolled: 2-line block ×3, first 2 shown]
	v_add_u32_e32 v20, s38, v88
	v_ashrrev_i32_e32 v21, 31, v20
	v_add_u32_e32 v22, s39, v88
	v_lshlrev_b64 v[20:21], 2, v[20:21]
	v_ashrrev_i32_e32 v23, 31, v22
	v_add_co_u32_e32 v20, vcc, s20, v20
	v_add_u32_e32 v24, s40, v88
	v_lshlrev_b64 v[22:23], 2, v[22:23]
	v_addc_co_u32_e32 v21, vcc, v92, v21, vcc
	v_ashrrev_i32_e32 v25, 31, v24
	v_add_co_u32_e32 v22, vcc, s20, v22
	v_lshlrev_b64 v[24:25], 2, v[24:25]
	v_addc_co_u32_e32 v23, vcc, v92, v23, vcc
	global_load_dword v20, v[20:21], off
	s_nop 0
	global_load_dword v21, v[22:23], off
	v_add_u32_e32 v22, s41, v88
	v_add_co_u32_e32 v24, vcc, s20, v24
	v_ashrrev_i32_e32 v23, 31, v22
	v_addc_co_u32_e32 v25, vcc, v92, v25, vcc
	v_lshlrev_b64 v[22:23], 2, v[22:23]
	v_add_u32_e32 v40, s53, v88
	v_ashrrev_i32_e32 v41, 31, v40
	v_lshlrev_b64 v[40:41], 2, v[40:41]
	v_add_u32_e32 v42, s54, v88
	v_ashrrev_i32_e32 v43, 31, v42
	;; [unrolled: 3-line block ×5, first 2 shown]
	v_lshlrev_b64 v[60:61], 2, v[60:61]
	s_waitcnt vmcnt(9)
	ds_write_b32 v89, v32 offset:64
	s_waitcnt vmcnt(8)
	ds_write_b32 v89, v33 offset:328
	;; [unrolled: 2-line block ×8, first 2 shown]
	v_add_co_u32_e32 v26, vcc, s20, v22
	v_add_u32_e32 v22, s42, v88
	v_addc_co_u32_e32 v27, vcc, v92, v23, vcc
	v_ashrrev_i32_e32 v23, 31, v22
	v_lshlrev_b64 v[22:23], 2, v[22:23]
	v_add_co_u32_e32 v28, vcc, s20, v22
	v_add_u32_e32 v22, s43, v88
	v_addc_co_u32_e32 v29, vcc, v92, v23, vcc
	v_ashrrev_i32_e32 v23, 31, v22
	v_lshlrev_b64 v[22:23], 2, v[22:23]
	;; [unrolled: 5-line block ×6, first 2 shown]
	v_add_co_u32_e32 v38, vcc, s20, v22
	v_addc_co_u32_e32 v39, vcc, v92, v23, vcc
	global_load_dword v22, v[24:25], off
	global_load_dword v23, v[26:27], off
	s_nop 0
	global_load_dword v24, v[28:29], off
	global_load_dword v25, v[30:31], off
	s_nop 0
	global_load_dword v28, v[32:33], off
	global_load_dword v29, v[34:35], off
	global_load_dword v26, v[36:37], off
	global_load_dword v27, v[38:39], off
	v_add_u32_e32 v30, s48, v88
	v_ashrrev_i32_e32 v31, 31, v30
	v_lshlrev_b64 v[30:31], 2, v[30:31]
	v_add_u32_e32 v32, s49, v88
	v_add_co_u32_e32 v30, vcc, s20, v30
	v_ashrrev_i32_e32 v33, 31, v32
	v_addc_co_u32_e32 v31, vcc, v92, v31, vcc
	v_lshlrev_b64 v[32:33], 2, v[32:33]
	v_add_u32_e32 v34, s50, v88
	v_add_co_u32_e32 v32, vcc, s20, v32
	v_ashrrev_i32_e32 v35, 31, v34
	v_addc_co_u32_e32 v33, vcc, v92, v33, vcc
	;; [unrolled: 5-line block ×4, first 2 shown]
	v_lshlrev_b64 v[38:39], 2, v[38:39]
	v_add_co_u32_e32 v38, vcc, s20, v38
	v_addc_co_u32_e32 v39, vcc, v92, v39, vcc
	v_add_co_u32_e32 v40, vcc, s20, v40
	v_addc_co_u32_e32 v41, vcc, v92, v41, vcc
	;; [unrolled: 2-line block ×4, first 2 shown]
	global_load_dword v30, v[30:31], off
	s_nop 0
	global_load_dword v31, v[32:33], off
	s_nop 0
	;; [unrolled: 2-line block ×6, first 2 shown]
	global_load_dword v40, v[42:43], off
	global_load_dword v41, v[44:45], off
	v_add_u32_e32 v32, s56, v88
	v_ashrrev_i32_e32 v33, 31, v32
	v_lshlrev_b64 v[32:33], 2, v[32:33]
	v_add_u32_e32 v36, s57, v88
	v_add_co_u32_e32 v32, vcc, s20, v32
	v_ashrrev_i32_e32 v37, 31, v36
	v_addc_co_u32_e32 v33, vcc, v92, v33, vcc
	v_lshlrev_b64 v[36:37], 2, v[36:37]
	v_add_u32_e32 v42, s58, v88
	v_add_co_u32_e32 v36, vcc, s20, v36
	v_ashrrev_i32_e32 v43, 31, v42
	v_addc_co_u32_e32 v37, vcc, v92, v37, vcc
	v_lshlrev_b64 v[42:43], 2, v[42:43]
	v_add_u32_e32 v44, s59, v88
	v_add_co_u32_e32 v42, vcc, s20, v42
	v_ashrrev_i32_e32 v45, 31, v44
	v_addc_co_u32_e32 v43, vcc, v92, v43, vcc
	v_lshlrev_b64 v[44:45], 2, v[44:45]
	v_add_co_u32_e32 v44, vcc, s20, v44
	v_addc_co_u32_e32 v45, vcc, v92, v45, vcc
	v_add_co_u32_e32 v48, vcc, s20, v46
	v_add_u32_e32 v46, s61, v88
	v_addc_co_u32_e32 v49, vcc, v92, v47, vcc
	v_ashrrev_i32_e32 v47, 31, v46
	v_lshlrev_b64 v[46:47], 2, v[46:47]
	v_add_co_u32_e32 v54, vcc, s20, v46
	v_add_u32_e32 v46, s62, v88
	v_addc_co_u32_e32 v55, vcc, v92, v47, vcc
	v_ashrrev_i32_e32 v47, 31, v46
	v_lshlrev_b64 v[46:47], 2, v[46:47]
	;; [unrolled: 5-line block ×3, first 2 shown]
	v_add_co_u32_e32 v58, vcc, s20, v46
	v_addc_co_u32_e32 v59, vcc, v92, v47, vcc
	global_load_dword v46, v[32:33], off
	global_load_dword v47, v[36:37], off
	;; [unrolled: 1-line block ×6, first 2 shown]
	s_nop 0
	global_load_dword v44, v[56:57], off
	global_load_dword v45, v[58:59], off
	v_add_u32_e32 v32, s64, v88
	v_ashrrev_i32_e32 v33, 31, v32
	v_lshlrev_b64 v[32:33], 2, v[32:33]
	v_add_u32_e32 v36, s65, v88
	v_add_co_u32_e32 v32, vcc, s20, v32
	v_ashrrev_i32_e32 v37, 31, v36
	v_addc_co_u32_e32 v33, vcc, v92, v33, vcc
	v_lshlrev_b64 v[36:37], 2, v[36:37]
	v_add_u32_e32 v42, s66, v88
	v_add_co_u32_e32 v36, vcc, s20, v36
	v_ashrrev_i32_e32 v43, 31, v42
	v_addc_co_u32_e32 v37, vcc, v92, v37, vcc
	;; [unrolled: 5-line block ×6, first 2 shown]
	v_lshlrev_b64 v[58:59], 2, v[58:59]
	v_add_co_u32_e32 v58, vcc, s20, v58
	v_addc_co_u32_e32 v59, vcc, v92, v59, vcc
	v_add_co_u32_e32 v60, vcc, s20, v60
	v_addc_co_u32_e32 v61, vcc, v92, v61, vcc
	global_load_dword v62, v[32:33], off
	global_load_dword v63, v[36:37], off
	;; [unrolled: 1-line block ×8, first 2 shown]
	v_add_u32_e32 v32, s72, v88
	v_ashrrev_i32_e32 v33, 31, v32
	v_lshlrev_b64 v[32:33], 2, v[32:33]
	v_add_u32_e32 v36, s73, v88
	v_add_co_u32_e32 v32, vcc, s20, v32
	v_ashrrev_i32_e32 v37, 31, v36
	v_addc_co_u32_e32 v33, vcc, v92, v33, vcc
	v_lshlrev_b64 v[36:37], 2, v[36:37]
	v_add_u32_e32 v42, s74, v88
	v_add_co_u32_e32 v36, vcc, s20, v36
	v_ashrrev_i32_e32 v43, 31, v42
	v_addc_co_u32_e32 v37, vcc, v92, v37, vcc
	;; [unrolled: 5-line block ×7, first 2 shown]
	v_lshlrev_b64 v[60:61], 2, v[60:61]
	v_add_co_u32_e32 v60, vcc, s20, v60
	v_addc_co_u32_e32 v61, vcc, v92, v61, vcc
	global_load_dword v70, v[32:33], off
	global_load_dword v71, v[36:37], off
	;; [unrolled: 1-line block ×8, first 2 shown]
	v_add_u32_e32 v32, s79, v88
	v_ashrrev_i32_e32 v33, 31, v32
	v_lshlrev_b64 v[32:33], 2, v[32:33]
	v_add_u32_e32 v36, s80, v88
	v_add_co_u32_e32 v32, vcc, s20, v32
	v_ashrrev_i32_e32 v37, 31, v36
	v_addc_co_u32_e32 v33, vcc, v92, v33, vcc
	v_lshlrev_b64 v[36:37], 2, v[36:37]
	v_add_u32_e32 v42, s81, v88
	v_add_co_u32_e32 v36, vcc, s20, v36
	v_ashrrev_i32_e32 v43, 31, v42
	v_addc_co_u32_e32 v37, vcc, v92, v37, vcc
	;; [unrolled: 5-line block ×7, first 2 shown]
	v_lshlrev_b64 v[60:61], 2, v[60:61]
	v_add_co_u32_e32 v60, vcc, s20, v60
	v_addc_co_u32_e32 v61, vcc, v92, v61, vcc
	global_load_dword v78, v[32:33], off
	global_load_dword v79, v[36:37], off
	;; [unrolled: 1-line block ×8, first 2 shown]
	v_add_u32_e32 v32, s87, v88
	v_ashrrev_i32_e32 v33, 31, v32
	v_lshlrev_b64 v[32:33], 2, v[32:33]
	v_add_u32_e32 v36, s88, v88
	v_add_co_u32_e32 v32, vcc, s20, v32
	v_ashrrev_i32_e32 v37, 31, v36
	v_addc_co_u32_e32 v33, vcc, v92, v33, vcc
	v_lshlrev_b64 v[36:37], 2, v[36:37]
	v_add_u32_e32 v42, s89, v88
	v_add_co_u32_e32 v36, vcc, s20, v36
	v_ashrrev_i32_e32 v43, 31, v42
	v_addc_co_u32_e32 v37, vcc, v92, v37, vcc
	v_lshlrev_b64 v[42:43], 2, v[42:43]
	v_add_u32_e32 v48, s90, v88
	v_add_co_u32_e32 v42, vcc, s20, v42
	v_ashrrev_i32_e32 v49, 31, v48
	v_addc_co_u32_e32 v43, vcc, v92, v43, vcc
	v_lshlrev_b64 v[48:49], 2, v[48:49]
	v_add_u32_e32 v54, s91, v88
	v_add_co_u32_e32 v48, vcc, s20, v48
	v_ashrrev_i32_e32 v55, 31, v54
	v_addc_co_u32_e32 v49, vcc, v92, v49, vcc
	v_lshlrev_b64 v[54:55], 2, v[54:55]
	v_add_u32_e32 v56, s92, v88
	v_add_co_u32_e32 v54, vcc, s20, v54
	v_ashrrev_i32_e32 v57, 31, v56
	v_addc_co_u32_e32 v55, vcc, v92, v55, vcc
	v_lshlrev_b64 v[56:57], 2, v[56:57]
	v_add_co_u32_e32 v56, vcc, s20, v56
	v_addc_co_u32_e32 v57, vcc, v92, v57, vcc
	global_load_dword v97, v[32:33], off
	global_load_dword v98, v[36:37], off
	;; [unrolled: 1-line block ×6, first 2 shown]
	s_waitcnt vmcnt(55)
	ds_write_b32 v89, v20 offset:2176
	s_waitcnt vmcnt(54)
	ds_write_b32 v89, v21 offset:2440
	s_waitcnt vmcnt(53)
	ds_write_b32 v89, v22 offset:2704
	s_waitcnt vmcnt(52)
	ds_write_b32 v89, v23 offset:2968
	s_waitcnt vmcnt(51)
	ds_write_b32 v89, v24 offset:3232
	s_waitcnt vmcnt(50)
	ds_write_b32 v89, v25 offset:3496
	s_waitcnt vmcnt(49)
	ds_write_b32 v89, v28 offset:3760
	s_waitcnt vmcnt(48)
	ds_write_b32 v89, v29 offset:4024
	ds_read_b64 v[48:49], v90 offset:64
	ds_read_b64 v[42:43], v90 offset:96
	ds_read_b64 v[36:37], v90 offset:128
	ds_read_b64 v[32:33], v90 offset:160
	ds_read_b64 v[28:29], v90 offset:192
	ds_read_b64 v[24:25], v90 offset:224
	ds_read_b64 v[22:23], v90 offset:256
	ds_read_b64 v[20:21], v90 offset:288
	s_waitcnt vmcnt(47)
	ds_write_b32 v89, v26 offset:64
	s_waitcnt vmcnt(46)
	ds_write_b32 v89, v27 offset:328
	s_waitcnt vmcnt(45)
	ds_write_b32 v89, v30 offset:592
	s_waitcnt vmcnt(44)
	ds_write_b32 v89, v31 offset:856
	s_waitcnt vmcnt(43)
	ds_write_b32 v89, v34 offset:1120
	s_waitcnt vmcnt(42)
	ds_write_b32 v89, v35 offset:1384
	s_waitcnt vmcnt(41)
	ds_write_b32 v89, v38 offset:1648
	s_waitcnt vmcnt(40)
	ds_write_b32 v89, v39 offset:1912
	s_waitcnt vmcnt(39)
	ds_write_b32 v89, v40 offset:2176
	s_waitcnt vmcnt(38)
	ds_write_b32 v89, v41 offset:2440
	s_waitcnt vmcnt(37)
	ds_write_b32 v89, v46 offset:2704
	s_waitcnt vmcnt(36)
	ds_write_b32 v89, v47 offset:2968
	s_waitcnt vmcnt(35)
	ds_write_b32 v89, v50 offset:3232
	s_waitcnt vmcnt(34)
	ds_write_b32 v89, v51 offset:3496
	s_waitcnt vmcnt(33)
	ds_write_b32 v89, v52 offset:3760
	s_waitcnt vmcnt(32)
	ds_write_b32 v89, v53 offset:4024
	ds_read_b64 v[60:61], v90 offset:64
	ds_read_b64 v[56:57], v90 offset:96
	ds_read_b64 v[52:53], v90 offset:128
	ds_read_b64 v[46:47], v90 offset:160
	ds_read_b64 v[40:41], v90 offset:192
	ds_read_b64 v[34:35], v90 offset:224
	ds_read_b64 v[30:31], v90 offset:256
	ds_read_b64 v[26:27], v90 offset:288
	s_waitcnt vmcnt(31)
	ds_write_b32 v89, v44 offset:64
	s_waitcnt vmcnt(30)
	ds_write_b32 v89, v45 offset:328
	s_waitcnt vmcnt(29)
	ds_write_b32 v89, v62 offset:592
	s_waitcnt vmcnt(28)
	ds_write_b32 v89, v63 offset:856
	s_waitcnt vmcnt(27)
	ds_write_b32 v89, v64 offset:1120
	s_waitcnt vmcnt(26)
	ds_write_b32 v89, v65 offset:1384
	s_waitcnt vmcnt(25)
	ds_write_b32 v89, v66 offset:1648
	s_waitcnt vmcnt(24)
	ds_write_b32 v89, v67 offset:1912
	s_waitcnt vmcnt(23)
	ds_write_b32 v89, v68 offset:2176
	s_waitcnt vmcnt(22)
	ds_write_b32 v89, v69 offset:2440
	s_waitcnt vmcnt(21)
	ds_write_b32 v89, v70 offset:2704
	s_waitcnt vmcnt(20)
	ds_write_b32 v89, v71 offset:2968
	s_waitcnt vmcnt(19)
	ds_write_b32 v89, v72 offset:3232
	s_waitcnt vmcnt(18)
	ds_write_b32 v89, v73 offset:3496
	s_waitcnt vmcnt(17)
	ds_write_b32 v89, v74 offset:3760
	s_waitcnt vmcnt(16)
	ds_write_b32 v89, v75 offset:4024
	ds_read_b64 v[66:67], v90 offset:64
	ds_read_b64 v[64:65], v90 offset:96
	ds_read_b64 v[62:63], v90 offset:128
	ds_read_b64 v[58:59], v90 offset:160
	ds_read_b64 v[54:55], v90 offset:192
	ds_read_b64 v[50:51], v90 offset:224
	ds_read_b64 v[44:45], v90 offset:256
	ds_read_b64 v[38:39], v90 offset:288
	s_waitcnt vmcnt(15)
	ds_write_b32 v89, v76 offset:64
	s_waitcnt vmcnt(14)
	ds_write_b32 v89, v77 offset:328
	s_waitcnt vmcnt(13)
	ds_write_b32 v89, v78 offset:592
	s_waitcnt vmcnt(12)
	ds_write_b32 v89, v79 offset:856
	s_waitcnt vmcnt(11)
	ds_write_b32 v89, v80 offset:1120
	s_waitcnt vmcnt(10)
	ds_write_b32 v89, v81 offset:1384
	s_waitcnt vmcnt(9)
	ds_write_b32 v89, v82 offset:1648
	s_waitcnt vmcnt(8)
	ds_write_b32 v89, v83 offset:1912
	s_waitcnt vmcnt(7)
	ds_write_b32 v89, v95 offset:2176
	s_waitcnt vmcnt(6)
	ds_write_b32 v89, v96 offset:2440
	;; [unrolled: 2-line block ×8, first 2 shown]
	ds_read_b64 v[82:83], v90 offset:64
	ds_read_b64 v[80:81], v90 offset:96
	;; [unrolled: 1-line block ×8, first 2 shown]
	s_andn2_b64 vcc, exec, s[4:5]
	v_mov_b32_e32 v95, 0
	s_cbranch_vccnz .LBB97_26
; %bb.23:                               ;   in Loop: Header=BB97_22 Depth=1
	ds_read_b32 v95, v94
	s_waitcnt lgkmcnt(0)
	v_cmp_gt_i32_e32 vcc, 0, v95
	s_cbranch_vccnz .LBB97_25
; %bb.24:                               ;   in Loop: Header=BB97_22 Depth=1
	v_mul_lo_u32 v95, v95, s21
	v_add_u32_e32 v96, v88, v95
	v_ashrrev_i32_e32 v97, 31, v96
	v_lshlrev_b64 v[96:97], 2, v[96:97]
	v_mov_b32_e32 v95, s30
	v_add_co_u32_e32 v96, vcc, s27, v96
	v_addc_co_u32_e32 v97, vcc, v95, v97, vcc
	global_load_dword v95, v[96:97], off
	s_branch .LBB97_26
.LBB97_25:                              ;   in Loop: Header=BB97_22 Depth=1
	v_mov_b32_e32 v95, 0
.LBB97_26:                              ;   in Loop: Header=BB97_22 Depth=1
	s_waitcnt vmcnt(0)
	ds_write_b32 v89, v95 offset:64
	s_andn2_b64 vcc, exec, s[6:7]
	v_mov_b32_e32 v95, 0
	v_mov_b32_e32 v96, 0
	s_cbranch_vccz .LBB97_29
; %bb.27:                               ;   in Loop: Header=BB97_22 Depth=1
	s_andn2_b64 vcc, exec, s[10:11]
	ds_write_b32 v89, v96 offset:328
	s_cbranch_vccz .LBB97_32
.LBB97_28:                              ;   in Loop: Header=BB97_22 Depth=1
	ds_write_b32 v89, v95 offset:592
	s_andn2_b64 vcc, exec, s[18:19]
	v_mov_b32_e32 v95, 0
	s_cbranch_vccnz .LBB97_21
	s_branch .LBB97_35
.LBB97_29:                              ;   in Loop: Header=BB97_22 Depth=1
	ds_read_b32 v96, v94 offset:4
	s_waitcnt lgkmcnt(0)
	v_cmp_gt_i32_e32 vcc, 0, v96
	s_cbranch_vccnz .LBB97_31
; %bb.30:                               ;   in Loop: Header=BB97_22 Depth=1
	v_mul_lo_u32 v96, v96, s21
	v_add_u32_e32 v96, s16, v96
	v_add_u32_e32 v96, v96, v88
	v_ashrrev_i32_e32 v97, 31, v96
	v_lshlrev_b64 v[96:97], 2, v[96:97]
	v_mov_b32_e32 v98, s30
	v_add_co_u32_e32 v96, vcc, s27, v96
	v_addc_co_u32_e32 v97, vcc, v98, v97, vcc
	global_load_dword v96, v[96:97], off
	s_andn2_b64 vcc, exec, s[10:11]
	s_waitcnt vmcnt(0)
	ds_write_b32 v89, v96 offset:328
	s_cbranch_vccnz .LBB97_28
	s_branch .LBB97_32
.LBB97_31:                              ;   in Loop: Header=BB97_22 Depth=1
	v_mov_b32_e32 v96, 0
	s_andn2_b64 vcc, exec, s[10:11]
	ds_write_b32 v89, v96 offset:328
	s_cbranch_vccnz .LBB97_28
.LBB97_32:                              ;   in Loop: Header=BB97_22 Depth=1
	ds_read_b32 v95, v94 offset:8
	s_waitcnt lgkmcnt(0)
	v_cmp_gt_i32_e32 vcc, 0, v95
	s_cbranch_vccnz .LBB97_34
; %bb.33:                               ;   in Loop: Header=BB97_22 Depth=1
	v_mul_lo_u32 v95, v95, s21
	v_add_u32_e32 v95, s31, v95
	v_add_u32_e32 v96, v95, v88
	v_ashrrev_i32_e32 v97, 31, v96
	v_lshlrev_b64 v[96:97], 2, v[96:97]
	v_mov_b32_e32 v95, s30
	v_add_co_u32_e32 v96, vcc, s27, v96
	v_addc_co_u32_e32 v97, vcc, v95, v97, vcc
	global_load_dword v95, v[96:97], off
	s_waitcnt vmcnt(0)
	ds_write_b32 v89, v95 offset:592
	s_andn2_b64 vcc, exec, s[18:19]
	v_mov_b32_e32 v95, 0
	s_cbranch_vccnz .LBB97_21
	s_branch .LBB97_35
.LBB97_34:                              ;   in Loop: Header=BB97_22 Depth=1
	v_mov_b32_e32 v95, 0
	ds_write_b32 v89, v95 offset:592
	s_andn2_b64 vcc, exec, s[18:19]
	v_mov_b32_e32 v95, 0
	s_cbranch_vccnz .LBB97_21
.LBB97_35:                              ;   in Loop: Header=BB97_22 Depth=1
	ds_read_b32 v95, v94 offset:12
	s_waitcnt lgkmcnt(0)
	v_cmp_gt_i32_e32 vcc, 0, v95
	s_cbranch_vccz .LBB97_20
; %bb.36:                               ;   in Loop: Header=BB97_22 Depth=1
	v_mov_b32_e32 v95, 0
	s_branch .LBB97_21
.LBB97_37:
	s_or_b64 exec, exec, s[14:15]
.LBB97_38:
	s_or_b64 exec, exec, s[0:1]
	v_mul_u32_u24_e32 v18, 0x808, v87
	s_movk_i32 s0, 0x100
	v_lshlrev_b32_e32 v19, 2, v86
	v_add3_u32 v18, s0, v18, v19
	v_and_b32_e32 v20, 0x3f0, v16
	v_add_u32_e32 v21, v18, v20
	s_barrier
	v_add_u32_e32 v19, 64, v18
	ds_write2_b32 v21, v8, v9 offset0:16 offset1:17
	v_or_b32_e32 v9, 12, v16
	v_add_u32_e32 v8, v19, v20
	v_and_b32_e32 v9, 0x3fc, v9
	ds_write_b32 v8, v10 offset:8
	v_add_u32_e32 v10, v18, v9
	ds_write_b32 v10, v11 offset:64
	ds_write2_b32 v8, v4, v5 offset0:16 offset1:17
	ds_write_b32 v8, v6 offset:72
	v_add_u32_e32 v4, v19, v9
	v_cmp_gt_u32_e32 vcc, 4, v17
	ds_write_b32 v4, v7 offset:64
	ds_write2_b32 v8, v0, v1 offset0:32 offset1:33
	ds_write_b32 v8, v2 offset:136
	ds_write_b32 v4, v3 offset:128
	ds_write2_b32 v8, v12, v13 offset0:48 offset1:49
	ds_write_b32 v8, v14 offset:200
	ds_write_b32 v4, v15 offset:192
	s_waitcnt lgkmcnt(0)
	s_barrier
	s_and_saveexec_b64 s[0:1], vcc
	s_cbranch_execz .LBB97_41
; %bb.39:
	v_add_u32_e32 v0, v84, v85
	ds_read_b32 v0, v0
	v_or_b32_e32 v1, s9, v17
	v_cmp_gt_i32_e64 s[0:1], s13, v1
	s_waitcnt lgkmcnt(0)
	v_cmp_lt_i32_e32 vcc, -1, v0
	s_and_b64 s[0:1], vcc, s[0:1]
	s_and_b64 exec, exec, s[0:1]
	s_cbranch_execz .LBB97_41
; %bb.40:
	s_mul_hi_i32 s1, s26, s8
	s_mul_i32 s0, s26, s8
	s_lshl_b64 s[0:1], s[0:1], 2
	s_add_u32 s2, s2, s0
	v_mul_u32_u24_e32 v1, 0x808, v17
	s_movk_i32 s0, 0x100
	v_lshlrev_b32_e32 v2, 2, v16
	v_add3_u32 v1, s0, v1, v2
	ds_read2_b32 v[2:3], v1 offset0:16 offset1:80
	ds_read2_b32 v[4:5], v1 offset0:144 offset1:208
	v_add_u32_e32 v1, 64, v1
	ds_read2st64_b32 v[6:7], v1 offset0:4 offset1:5
	s_mul_hi_i32 s5, s9, s17
	s_waitcnt lgkmcnt(2)
	v_add_f32_e32 v2, 0, v2
	v_add_f32_e32 v8, v2, v3
	ds_read2st64_b32 v[2:3], v1 offset0:6 offset1:7
	s_waitcnt lgkmcnt(2)
	v_add_f32_e32 v1, v8, v4
	v_add_f32_e32 v1, v1, v5
	s_waitcnt lgkmcnt(1)
	v_add_f32_e32 v1, v1, v6
	v_add_f32_e32 v1, v1, v7
	s_mul_i32 s4, s9, s17
	s_waitcnt lgkmcnt(0)
	v_add_f32_e32 v1, v1, v2
	s_addc_u32 s3, s3, s1
	s_lshl_b64 s[0:1], s[4:5], 2
	v_add_f32_e32 v2, v1, v3
	v_mul_lo_u32 v0, v0, s22
	v_mul_lo_u32 v1, v17, s17
	v_add_u32_e32 v3, s23, v16
	s_add_u32 s0, s2, s0
	v_add3_u32 v0, v3, v1, v0
	v_mov_b32_e32 v1, 0
	s_addc_u32 s1, s3, s1
	v_lshlrev_b64 v[0:1], 2, v[0:1]
	v_mov_b32_e32 v3, s1
	v_add_co_u32_e32 v0, vcc, s0, v0
	v_addc_co_u32_e32 v1, vcc, v3, v1, vcc
	global_store_dword v[0:1], v2, off
.LBB97_41:
	s_endpgm
	.section	.rodata,"a",@progbits
	.p2align	6, 0x0
	.amdhsa_kernel _ZL9mul_mat_fIfLi64ELi4ELi8ELb1EEvPKT_PKfPKiPfiiiiiiiiiiiiiiii
		.amdhsa_group_segment_fixed_size 256
		.amdhsa_private_segment_fixed_size 0
		.amdhsa_kernarg_size 352
		.amdhsa_user_sgpr_count 6
		.amdhsa_user_sgpr_private_segment_buffer 1
		.amdhsa_user_sgpr_dispatch_ptr 0
		.amdhsa_user_sgpr_queue_ptr 0
		.amdhsa_user_sgpr_kernarg_segment_ptr 1
		.amdhsa_user_sgpr_dispatch_id 0
		.amdhsa_user_sgpr_flat_scratch_init 0
		.amdhsa_user_sgpr_kernarg_preload_length 0
		.amdhsa_user_sgpr_kernarg_preload_offset 0
		.amdhsa_user_sgpr_private_segment_size 0
		.amdhsa_uses_dynamic_stack 0
		.amdhsa_system_sgpr_private_segment_wavefront_offset 0
		.amdhsa_system_sgpr_workgroup_id_x 1
		.amdhsa_system_sgpr_workgroup_id_y 1
		.amdhsa_system_sgpr_workgroup_id_z 1
		.amdhsa_system_sgpr_workgroup_info 0
		.amdhsa_system_vgpr_workitem_id 2
		.amdhsa_next_free_vgpr 103
		.amdhsa_next_free_sgpr 93
		.amdhsa_accum_offset 104
		.amdhsa_reserve_vcc 1
		.amdhsa_reserve_flat_scratch 0
		.amdhsa_float_round_mode_32 0
		.amdhsa_float_round_mode_16_64 0
		.amdhsa_float_denorm_mode_32 3
		.amdhsa_float_denorm_mode_16_64 3
		.amdhsa_dx10_clamp 1
		.amdhsa_ieee_mode 1
		.amdhsa_fp16_overflow 0
		.amdhsa_tg_split 0
		.amdhsa_exception_fp_ieee_invalid_op 0
		.amdhsa_exception_fp_denorm_src 0
		.amdhsa_exception_fp_ieee_div_zero 0
		.amdhsa_exception_fp_ieee_overflow 0
		.amdhsa_exception_fp_ieee_underflow 0
		.amdhsa_exception_fp_ieee_inexact 0
		.amdhsa_exception_int_div_zero 0
	.end_amdhsa_kernel
	.section	.text._ZL9mul_mat_fIfLi64ELi4ELi8ELb1EEvPKT_PKfPKiPfiiiiiiiiiiiiiiii,"axG",@progbits,_ZL9mul_mat_fIfLi64ELi4ELi8ELb1EEvPKT_PKfPKiPfiiiiiiiiiiiiiiii,comdat
.Lfunc_end97:
	.size	_ZL9mul_mat_fIfLi64ELi4ELi8ELb1EEvPKT_PKfPKiPfiiiiiiiiiiiiiiii, .Lfunc_end97-_ZL9mul_mat_fIfLi64ELi4ELi8ELb1EEvPKT_PKfPKiPfiiiiiiiiiiiiiiii
                                        ; -- End function
	.section	.AMDGPU.csdata,"",@progbits
; Kernel info:
; codeLenInByte = 6440
; NumSgprs: 97
; NumVgprs: 103
; NumAgprs: 0
; TotalNumVgprs: 103
; ScratchSize: 0
; MemoryBound: 0
; FloatMode: 240
; IeeeMode: 1
; LDSByteSize: 256 bytes/workgroup (compile time only)
; SGPRBlocks: 12
; VGPRBlocks: 12
; NumSGPRsForWavesPerEU: 97
; NumVGPRsForWavesPerEU: 103
; AccumOffset: 104
; Occupancy: 4
; WaveLimiterHint : 0
; COMPUTE_PGM_RSRC2:SCRATCH_EN: 0
; COMPUTE_PGM_RSRC2:USER_SGPR: 6
; COMPUTE_PGM_RSRC2:TRAP_HANDLER: 0
; COMPUTE_PGM_RSRC2:TGID_X_EN: 1
; COMPUTE_PGM_RSRC2:TGID_Y_EN: 1
; COMPUTE_PGM_RSRC2:TGID_Z_EN: 1
; COMPUTE_PGM_RSRC2:TIDIG_COMP_CNT: 2
; COMPUTE_PGM_RSRC3_GFX90A:ACCUM_OFFSET: 25
; COMPUTE_PGM_RSRC3_GFX90A:TG_SPLIT: 0
	.section	.text._ZL9mul_mat_fIfLi64ELi4ELi8ELb0EEvPKT_PKfPKiPfiiiiiiiiiiiiiiii,"axG",@progbits,_ZL9mul_mat_fIfLi64ELi4ELi8ELb0EEvPKT_PKfPKiPfiiiiiiiiiiiiiiii,comdat
	.globl	_ZL9mul_mat_fIfLi64ELi4ELi8ELb0EEvPKT_PKfPKiPfiiiiiiiiiiiiiiii ; -- Begin function _ZL9mul_mat_fIfLi64ELi4ELi8ELb0EEvPKT_PKfPKiPfiiiiiiiiiiiiiiii
	.p2align	8
	.type	_ZL9mul_mat_fIfLi64ELi4ELi8ELb0EEvPKT_PKfPKiPfiiiiiiiiiiiiiiii,@function
_ZL9mul_mat_fIfLi64ELi4ELi8ELb0EEvPKT_PKfPKiPfiiiiiiiiiiiiiiii: ; @_ZL9mul_mat_fIfLi64ELi4ELi8ELb0EEvPKT_PKfPKiPfiiiiiiiiiiiiiiii
; %bb.0:
	s_load_dwordx8 s[12:19], s[4:5], 0x40
	s_load_dword s9, s[4:5], 0x20
	s_load_dwordx4 s[0:3], s[4:5], 0x2c
	v_bfe_u32 v25, v0, 10, 10
	v_lshlrev_b32_e32 v91, 6, v25
	v_and_b32_e32 v90, 0x3ff, v0
	s_waitcnt lgkmcnt(0)
	s_abs_i32 s27, s12
	s_abs_i32 s26, s16
	v_cvt_f32_u32_e32 v1, s27
	v_cvt_f32_u32_e32 v2, s26
	v_add_u32_e32 v93, v91, v90
	s_mov_b32 s22, 0
	v_rcp_iflag_f32_e32 v1, v1
	v_rcp_iflag_f32_e32 v2, v2
	s_ashr_i32 s28, s8, 31
	v_cmp_le_i32_e32 vcc, s9, v93
	v_mul_f32_e32 v1, 0x4f7ffffe, v1
	v_mul_f32_e32 v2, 0x4f7ffffe, v2
	v_cvt_u32_f32_e32 v1, v1
	v_cvt_u32_f32_e32 v2, v2
	v_and_b32_e32 v92, 15, v90
	v_readfirstlane_b32 s21, v1
	v_readfirstlane_b32 s20, v2
	s_and_saveexec_b64 s[10:11], vcc
	s_xor_b64 s[10:11], exec, s[10:11]
; %bb.1:
	v_and_b32_e32 v92, 15, v90
                                        ; implicit-def: $vgpr93
; %bb.2:
	s_or_saveexec_b64 s[24:25], s[10:11]
	s_load_dwordx2 s[10:11], s[4:5], 0x18
	s_lshl_b32 s3, s6, 6
	v_mov_b32_e32 v3, s22
	v_lshlrev_b32_e32 v16, 2, v90
	v_mov_b32_e32 v2, s22
	v_mov_b32_e32 v1, s22
	v_mov_b32_e32 v0, s22
	v_mov_b32_e32 v15, s22
	v_mov_b32_e32 v14, s22
	v_mov_b32_e32 v13, s22
	v_mov_b32_e32 v12, s22
	v_mov_b32_e32 v11, s22
	v_mov_b32_e32 v10, s22
	v_mov_b32_e32 v9, s22
	v_mov_b32_e32 v8, s22
	v_mov_b32_e32 v7, s22
	v_mov_b32_e32 v6, s22
	v_mov_b32_e32 v5, s22
	v_mov_b32_e32 v4, s22
	s_xor_b64 exec, exec, s[24:25]
	s_cbranch_execz .LBB98_6
; %bb.3:
	s_sub_i32 s6, 0, s27
	s_sub_i32 s22, 0, s26
	s_mul_i32 s6, s6, s21
	s_mul_i32 s22, s22, s20
	s_mul_hi_u32 s6, s21, s6
	s_mul_hi_u32 s22, s20, s22
	s_abs_i32 s29, s7
	s_add_i32 s6, s21, s6
	s_add_i32 s31, s20, s22
	s_load_dwordx4 s[20:23], s[4:5], 0x0
	s_mul_hi_u32 s4, s29, s6
	s_ashr_i32 s6, s7, 31
	s_ashr_i32 s12, s12, 31
	s_xor_b32 s6, s6, s12
	s_mul_i32 s12, s4, s27
	s_abs_i32 s30, s8
	s_sub_i32 s12, s29, s12
	s_mul_hi_u32 s5, s30, s31
	s_ashr_i32 s16, s16, 31
	s_add_i32 s29, s4, 1
	s_sub_i32 s31, s12, s27
	s_cmp_ge_u32 s12, s27
	s_cselect_b32 s4, s29, s4
	s_cselect_b32 s12, s31, s12
	s_add_i32 s29, s4, 1
	s_cmp_ge_u32 s12, s27
	s_cselect_b32 s4, s29, s4
	s_mul_i32 s12, s5, s26
	s_xor_b32 s4, s4, s6
	s_sub_i32 s12, s30, s12
	s_sub_i32 s6, s4, s6
	s_xor_b32 s4, s28, s16
	s_add_i32 s16, s5, 1
	s_sub_i32 s27, s12, s26
	s_cmp_ge_u32 s12, s26
	s_cselect_b32 s5, s16, s5
	s_cselect_b32 s12, s27, s12
	s_add_i32 s16, s5, 1
	s_cmp_ge_u32 s12, s26
	s_cselect_b32 s5, s16, s5
	s_xor_b32 s5, s5, s4
	s_sub_i32 s4, s5, s4
	s_mul_i32 s12, s6, s13
	s_mul_i32 s16, s3, s0
	s_mul_hi_i32 s5, s4, s17
	s_mul_i32 s4, s4, s17
	s_ashr_i32 s13, s12, 31
	s_ashr_i32 s17, s16, 31
	s_lshl_b64 s[30:31], s[4:5], 2
	s_lshl_b64 s[4:5], s[16:17], 2
	;; [unrolled: 1-line block ×3, first 2 shown]
	s_waitcnt lgkmcnt(0)
	s_add_u32 s6, s20, s12
	s_addc_u32 s12, s21, s13
	s_add_u32 s6, s6, s4
	s_mul_i32 s28, s7, s14
	s_addc_u32 s14, s12, s5
	s_add_u32 s4, s6, s30
	s_mul_hi_i32 s27, s18, s8
	s_mul_i32 s26, s18, s8
	s_addc_u32 s73, s14, s31
	s_ashr_i32 s29, s28, 31
	s_lshl_b64 s[12:13], s[26:27], 2
	s_lshl_b64 s[16:17], s[28:29], 2
	s_add_u32 s18, s22, s16
	s_addc_u32 s22, s23, s17
	s_add_u32 s5, s18, s12
	s_movk_i32 s16, 0x1080
	v_lshrrev_b32_e32 v2, 1, v90
	s_addc_u32 s74, s22, s13
	v_mad_u32_u24 v0, v25, s16, 0
	v_mul_u32_u24_e32 v1, 0x108, v92
	v_and_b32_e32 v2, 0x1f8, v2
	s_ashr_i32 s17, s0, 31
	s_mov_b32 s16, s0
	v_add_u32_e32 v94, v0, v16
	v_add3_u32 v95, v0, v1, v2
	s_ashr_i32 s21, s1, 31
	v_lshlrev_b32_e32 v0, 8, v25
	s_lshl_b64 s[16:17], s[16:17], 2
	v_mov_b32_e32 v1, s31
	v_add_co_u32_e32 v2, vcc, s30, v0
	s_add_u32 s16, s6, s16
	v_addc_co_u32_e32 v1, vcc, 0, v1, vcc
	s_addc_u32 s17, s14, s17
	v_mov_b32_e32 v3, s17
	v_add_co_u32_e32 v18, vcc, s16, v2
	v_addc_co_u32_e32 v17, vcc, v3, v1, vcc
	v_mov_b32_e32 v3, s14
	v_add_co_u32_e32 v20, vcc, s6, v2
	s_mov_b32 s20, s1
	v_addc_co_u32_e32 v19, vcc, v3, v1, vcc
	v_mov_b32_e32 v1, s13
	v_add_co_u32_e32 v0, vcc, s12, v0
	s_lshl_b64 s[12:13], s[20:21], 2
	s_add_u32 s6, s18, s12
	v_addc_co_u32_e32 v1, vcc, 0, v1, vcc
	s_addc_u32 s12, s22, s13
	v_mov_b32_e32 v2, s12
	v_add_co_u32_e32 v22, vcc, s6, v0
	v_addc_co_u32_e32 v21, vcc, v2, v1, vcc
	v_mov_b32_e32 v96, 0
	v_mov_b32_e32 v2, s22
	v_add_co_u32_e32 v24, vcc, s18, v0
	v_addc_co_u32_e32 v23, vcc, v2, v1, vcc
	s_lshl_b32 s6, s1, 1
	s_mul_i32 s12, s1, 3
	s_lshl_b32 s13, s0, 1
	s_mul_i32 s14, s0, 3
	;; [unrolled: 2-line block ×3, first 2 shown]
	s_mul_i32 s18, s0, 6
	s_mul_i32 s20, s0, 7
	s_lshl_b32 s21, s0, 3
	s_mul_i32 s22, s0, 9
	s_mul_i32 s23, s0, 10
	;; [unrolled: 1-line block ×7, first 2 shown]
	s_lshl_b32 s31, s0, 4
	s_mul_i32 s33, s0, 17
	s_mul_i32 s34, s0, 18
	;; [unrolled: 1-line block ×15, first 2 shown]
	s_lshl_b32 s48, s0, 5
	s_mul_i32 s49, s0, 33
	s_mul_i32 s50, s0, 34
	;; [unrolled: 1-line block ×24, first 2 shown]
	v_mov_b32_e32 v97, s73
	s_mul_i32 s73, s0, 57
	v_mov_b32_e32 v98, s74
	s_mul_i32 s74, s0, 58
	v_mov_b32_e32 v4, 0
	v_mov_b32_e32 v5, v96
	;; [unrolled: 1-line block ×16, first 2 shown]
	s_mul_i32 s75, s0, 59
	s_mul_i32 s76, s0, 60
	;; [unrolled: 1-line block ×5, first 2 shown]
	s_movk_i32 s80, 0x800
	s_mov_b64 s[0:1], 0
.LBB98_4:                               ; =>This Inner Loop Header: Depth=1
	v_add_co_u32_e32 v26, vcc, v20, v16
	v_addc_co_u32_e32 v27, vcc, 0, v19, vcc
	global_load_dword v26, v[26:27], off
	v_add_u32_e32 v42, s31, v93
	v_ashrrev_i32_e32 v43, 31, v42
	v_lshlrev_b64 v[42:43], 2, v[42:43]
	v_add_u32_e32 v58, s48, v93
	v_ashrrev_i32_e32 v59, 31, v58
	v_lshlrev_b64 v[58:59], 2, v[58:59]
	;; [unrolled: 3-line block ×3, first 2 shown]
	s_waitcnt vmcnt(0)
	ds_write_b32 v94, v26
	v_add_co_u32_e32 v26, vcc, v18, v16
	v_addc_co_u32_e32 v27, vcc, 0, v17, vcc
	global_load_dword v26, v[26:27], off
	s_waitcnt vmcnt(0)
	ds_write_b32 v94, v26 offset:264
	v_add_u32_e32 v26, s13, v93
	v_ashrrev_i32_e32 v27, 31, v26
	v_lshlrev_b64 v[26:27], 2, v[26:27]
	v_add_co_u32_e32 v26, vcc, s4, v26
	v_addc_co_u32_e32 v27, vcc, v97, v27, vcc
	global_load_dword v26, v[26:27], off
	s_waitcnt vmcnt(0)
	ds_write_b32 v94, v26 offset:528
	v_add_u32_e32 v26, s14, v93
	v_ashrrev_i32_e32 v27, 31, v26
	v_lshlrev_b64 v[26:27], 2, v[26:27]
	;; [unrolled: 8-line block ×14, first 2 shown]
	v_add_co_u32_e32 v26, vcc, s4, v26
	v_addc_co_u32_e32 v27, vcc, v97, v27, vcc
	global_load_dword v26, v[26:27], off
	v_add_co_u32_e32 v42, vcc, s4, v42
	v_addc_co_u32_e32 v43, vcc, v97, v43, vcc
	s_waitcnt vmcnt(0)
	ds_write_b32 v94, v26 offset:3960
	ds_read_b64 v[40:41], v95
	ds_read_b64 v[38:39], v95 offset:32
	ds_read_b64 v[36:37], v95 offset:64
	;; [unrolled: 1-line block ×7, first 2 shown]
	global_load_dword v42, v[42:43], off
	s_waitcnt vmcnt(0)
	ds_write_b32 v94, v42
	v_add_u32_e32 v42, s33, v93
	v_ashrrev_i32_e32 v43, 31, v42
	v_lshlrev_b64 v[42:43], 2, v[42:43]
	v_add_co_u32_e32 v42, vcc, s4, v42
	v_addc_co_u32_e32 v43, vcc, v97, v43, vcc
	global_load_dword v42, v[42:43], off
	s_waitcnt vmcnt(0)
	ds_write_b32 v94, v42 offset:264
	v_add_u32_e32 v42, s34, v93
	v_ashrrev_i32_e32 v43, 31, v42
	v_lshlrev_b64 v[42:43], 2, v[42:43]
	v_add_co_u32_e32 v42, vcc, s4, v42
	v_addc_co_u32_e32 v43, vcc, v97, v43, vcc
	global_load_dword v42, v[42:43], off
	s_waitcnt vmcnt(0)
	ds_write_b32 v94, v42 offset:528
	;; [unrolled: 8-line block ×14, first 2 shown]
	v_add_u32_e32 v42, s47, v93
	v_ashrrev_i32_e32 v43, 31, v42
	v_lshlrev_b64 v[42:43], 2, v[42:43]
	v_add_co_u32_e32 v42, vcc, s4, v42
	v_addc_co_u32_e32 v43, vcc, v97, v43, vcc
	global_load_dword v42, v[42:43], off
	v_add_co_u32_e32 v58, vcc, s4, v58
	v_addc_co_u32_e32 v59, vcc, v97, v59, vcc
	s_waitcnt vmcnt(0)
	ds_write_b32 v94, v42 offset:3960
	ds_read_b64 v[56:57], v95
	ds_read_b64 v[54:55], v95 offset:32
	ds_read_b64 v[52:53], v95 offset:64
	;; [unrolled: 1-line block ×7, first 2 shown]
	global_load_dword v58, v[58:59], off
	s_waitcnt vmcnt(0)
	ds_write_b32 v94, v58
	v_add_u32_e32 v58, s49, v93
	v_ashrrev_i32_e32 v59, 31, v58
	v_lshlrev_b64 v[58:59], 2, v[58:59]
	v_add_co_u32_e32 v58, vcc, s4, v58
	v_addc_co_u32_e32 v59, vcc, v97, v59, vcc
	global_load_dword v58, v[58:59], off
	s_waitcnt vmcnt(0)
	ds_write_b32 v94, v58 offset:264
	v_add_u32_e32 v58, s50, v93
	v_ashrrev_i32_e32 v59, 31, v58
	v_lshlrev_b64 v[58:59], 2, v[58:59]
	v_add_co_u32_e32 v58, vcc, s4, v58
	v_addc_co_u32_e32 v59, vcc, v97, v59, vcc
	global_load_dword v58, v[58:59], off
	s_waitcnt vmcnt(0)
	ds_write_b32 v94, v58 offset:528
	;; [unrolled: 8-line block ×14, first 2 shown]
	v_add_u32_e32 v58, s63, v93
	v_ashrrev_i32_e32 v59, 31, v58
	v_lshlrev_b64 v[58:59], 2, v[58:59]
	v_add_co_u32_e32 v58, vcc, s4, v58
	v_addc_co_u32_e32 v59, vcc, v97, v59, vcc
	global_load_dword v58, v[58:59], off
	v_add_co_u32_e32 v74, vcc, s4, v74
	v_addc_co_u32_e32 v75, vcc, v97, v75, vcc
	s_waitcnt vmcnt(0)
	ds_write_b32 v94, v58 offset:3960
	ds_read_b64 v[72:73], v95
	ds_read_b64 v[70:71], v95 offset:32
	ds_read_b64 v[68:69], v95 offset:64
	;; [unrolled: 1-line block ×7, first 2 shown]
	global_load_dword v74, v[74:75], off
	s_waitcnt vmcnt(0)
	ds_write_b32 v94, v74
	v_add_u32_e32 v74, s65, v93
	v_ashrrev_i32_e32 v75, 31, v74
	v_lshlrev_b64 v[74:75], 2, v[74:75]
	v_add_co_u32_e32 v74, vcc, s4, v74
	v_addc_co_u32_e32 v75, vcc, v97, v75, vcc
	global_load_dword v74, v[74:75], off
	s_waitcnt vmcnt(0)
	ds_write_b32 v94, v74 offset:264
	v_add_u32_e32 v74, s66, v93
	v_ashrrev_i32_e32 v75, 31, v74
	v_lshlrev_b64 v[74:75], 2, v[74:75]
	v_add_co_u32_e32 v74, vcc, s4, v74
	v_addc_co_u32_e32 v75, vcc, v97, v75, vcc
	global_load_dword v74, v[74:75], off
	s_waitcnt vmcnt(0)
	ds_write_b32 v94, v74 offset:528
	;; [unrolled: 8-line block ×14, first 2 shown]
	v_add_u32_e32 v74, s79, v93
	v_ashrrev_i32_e32 v75, 31, v74
	v_lshlrev_b64 v[74:75], 2, v[74:75]
	v_add_co_u32_e32 v74, vcc, s4, v74
	v_addc_co_u32_e32 v75, vcc, v97, v75, vcc
	global_load_dword v74, v[74:75], off
	v_add_co_u32_e32 v100, vcc, v24, v16
	v_addc_co_u32_e32 v101, vcc, 0, v23, vcc
	s_waitcnt vmcnt(0)
	ds_write_b32 v94, v74 offset:3960
	ds_read_b64 v[88:89], v95
	ds_read_b64 v[86:87], v95 offset:32
	ds_read_b64 v[84:85], v95 offset:64
	;; [unrolled: 1-line block ×7, first 2 shown]
	global_load_dword v99, v[100:101], off
	v_add_co_u32_e32 v100, vcc, v22, v16
	v_addc_co_u32_e32 v101, vcc, 0, v21, vcc
	s_waitcnt vmcnt(0)
	ds_write_b32 v94, v99
	global_load_dword v99, v[100:101], off
	v_add_u32_e32 v100, s6, v93
	v_ashrrev_i32_e32 v101, 31, v100
	v_lshlrev_b64 v[100:101], 2, v[100:101]
	v_add_co_u32_e32 v100, vcc, s5, v100
	v_addc_co_u32_e32 v101, vcc, v98, v101, vcc
	s_waitcnt vmcnt(0)
	ds_write_b32 v94, v99 offset:264
	global_load_dword v99, v[100:101], off
	v_add_u32_e32 v100, s12, v93
	v_ashrrev_i32_e32 v101, 31, v100
	v_lshlrev_b64 v[100:101], 2, v[100:101]
	v_add_co_u32_e32 v100, vcc, s5, v100
	v_addc_co_u32_e32 v101, vcc, v98, v101, vcc
	v_add_co_u32_e32 v18, vcc, s80, v18
	v_addc_co_u32_e32 v17, vcc, 0, v17, vcc
	;; [unrolled: 2-line block ×4, first 2 shown]
	v_add_co_u32_e32 v24, vcc, 0x800, v24
	v_add_u32_e32 v93, 0x200, v93
	v_addc_co_u32_e32 v23, vcc, 0, v23, vcc
	v_cmp_le_i32_e32 vcc, s9, v93
	s_or_b64 s[0:1], vcc, s[0:1]
	s_waitcnt vmcnt(0)
	ds_write_b32 v94, v99 offset:528
	global_load_dword v99, v[100:101], off
	s_waitcnt vmcnt(0)
	ds_write_b32 v94, v99 offset:792
	ds_write_b32 v94, v96 offset:1056
	;; [unrolled: 1-line block ×13, first 2 shown]
	ds_read_b64 v[100:101], v95
	ds_read_b64 v[102:103], v95 offset:32
	s_waitcnt lgkmcnt(1)
	v_mfma_f32_16x16x4f32 v[0:3], v40, v100, v[0:3]
	v_mfma_f32_16x16x4f32 v[12:15], v56, v100, v[12:15]
	;; [unrolled: 1-line block ×8, first 2 shown]
	s_waitcnt lgkmcnt(0)
	v_mfma_f32_16x16x4f32 v[0:3], v38, v102, v[0:3]
	v_mfma_f32_16x16x4f32 v[12:15], v54, v102, v[12:15]
	v_mfma_f32_16x16x4f32 v[8:11], v70, v102, v[8:11]
	v_mfma_f32_16x16x4f32 v[4:7], v86, v102, v[4:7]
	v_mfma_f32_16x16x4f32 v[0:3], v39, v103, v[0:3]
	ds_read_b64 v[38:39], v95 offset:64
	v_mfma_f32_16x16x4f32 v[12:15], v55, v103, v[12:15]
	v_mfma_f32_16x16x4f32 v[8:11], v71, v103, v[8:11]
	v_mfma_f32_16x16x4f32 v[4:7], v87, v103, v[4:7]
	s_waitcnt lgkmcnt(0)
	v_mfma_f32_16x16x4f32 v[0:3], v36, v38, v[0:3]
	v_mfma_f32_16x16x4f32 v[12:15], v52, v38, v[12:15]
	v_mfma_f32_16x16x4f32 v[8:11], v68, v38, v[8:11]
	v_mfma_f32_16x16x4f32 v[4:7], v84, v38, v[4:7]
	v_mfma_f32_16x16x4f32 v[0:3], v37, v39, v[0:3]
	ds_read_b64 v[36:37], v95 offset:96
	v_mfma_f32_16x16x4f32 v[12:15], v53, v39, v[12:15]
	v_mfma_f32_16x16x4f32 v[8:11], v69, v39, v[8:11]
	v_mfma_f32_16x16x4f32 v[4:7], v85, v39, v[4:7]
	;; [unrolled: 10-line block ×6, first 2 shown]
	s_waitcnt lgkmcnt(0)
	v_mfma_f32_16x16x4f32 v[0:3], v26, v28, v[0:3]
	v_mfma_f32_16x16x4f32 v[12:15], v42, v28, v[12:15]
	;; [unrolled: 1-line block ×8, first 2 shown]
	s_andn2_b64 exec, exec, s[0:1]
	s_cbranch_execnz .LBB98_4
; %bb.5:
	s_or_b64 exec, exec, s[0:1]
.LBB98_6:
	s_or_b64 exec, exec, s[24:25]
	v_mul_u32_u24_e32 v17, 0x808, v92
	v_lshlrev_b32_e32 v18, 2, v91
	v_add3_u32 v17, 0, v17, v18
	v_and_b32_e32 v18, 0x3f0, v90
	v_add_u32_e32 v18, v17, v18
	s_waitcnt lgkmcnt(0)
	s_barrier
	ds_write2_b32 v18, v0, v1 offset1:1
	ds_write_b32 v18, v2 offset:8
	v_or_b32_e32 v0, 12, v90
	v_and_b32_e32 v0, 0x3fc, v0
	v_add_u32_e32 v0, v17, v0
	v_cmp_gt_u32_e32 vcc, 4, v25
	ds_write_b32 v0, v3
	ds_write2_b32 v18, v12, v13 offset0:16 offset1:17
	ds_write_b32 v18, v14 offset:72
	ds_write_b32 v0, v15 offset:64
	ds_write2_b32 v18, v8, v9 offset0:32 offset1:33
	ds_write_b32 v18, v10 offset:136
	ds_write_b32 v0, v11 offset:128
	;; [unrolled: 3-line block ×3, first 2 shown]
	s_waitcnt lgkmcnt(0)
	s_barrier
	s_and_saveexec_b64 s[0:1], vcc
	s_cbranch_execz .LBB98_8
; %bb.7:
	v_mul_u32_u24_e32 v0, 0x808, v25
	v_add3_u32 v6, 0, v0, v16
	ds_read2st64_b32 v[0:1], v6 offset1:1
	ds_read2st64_b32 v[2:3], v6 offset0:2 offset1:3
	ds_read2st64_b32 v[4:5], v6 offset0:4 offset1:5
	;; [unrolled: 1-line block ×3, first 2 shown]
	s_mul_hi_i32 s1, s19, s8
	s_mul_i32 s0, s19, s8
	s_lshl_b64 s[0:1], s[0:1], 2
	s_waitcnt lgkmcnt(3)
	v_add_f32_e32 v0, 0, v0
	v_add_f32_e32 v0, v0, v1
	s_waitcnt lgkmcnt(2)
	v_add_f32_e32 v0, v0, v2
	v_add_f32_e32 v0, v0, v3
	s_waitcnt lgkmcnt(1)
	v_add_f32_e32 v0, v0, v4
	s_mul_i32 s4, s7, s15
	s_add_u32 s6, s10, s0
	v_add_f32_e32 v0, v0, v5
	s_addc_u32 s7, s11, s1
	s_ashr_i32 s5, s4, 31
	s_waitcnt lgkmcnt(0)
	v_add_f32_e32 v0, v0, v6
	s_lshl_b64 s[0:1], s[4:5], 2
	v_add_f32_e32 v2, v0, v7
	v_mul_lo_u32 v0, v25, s2
	s_add_u32 s0, s6, s0
	v_add3_u32 v0, s3, v90, v0
	v_mov_b32_e32 v1, 0
	s_addc_u32 s1, s7, s1
	v_lshlrev_b64 v[0:1], 2, v[0:1]
	v_mov_b32_e32 v3, s1
	v_add_co_u32_e32 v0, vcc, s0, v0
	v_addc_co_u32_e32 v1, vcc, v3, v1, vcc
	global_store_dword v[0:1], v2, off
.LBB98_8:
	s_endpgm
	.section	.rodata,"a",@progbits
	.p2align	6, 0x0
	.amdhsa_kernel _ZL9mul_mat_fIfLi64ELi4ELi8ELb0EEvPKT_PKfPKiPfiiiiiiiiiiiiiiii
		.amdhsa_group_segment_fixed_size 0
		.amdhsa_private_segment_fixed_size 0
		.amdhsa_kernarg_size 96
		.amdhsa_user_sgpr_count 6
		.amdhsa_user_sgpr_private_segment_buffer 1
		.amdhsa_user_sgpr_dispatch_ptr 0
		.amdhsa_user_sgpr_queue_ptr 0
		.amdhsa_user_sgpr_kernarg_segment_ptr 1
		.amdhsa_user_sgpr_dispatch_id 0
		.amdhsa_user_sgpr_flat_scratch_init 0
		.amdhsa_user_sgpr_kernarg_preload_length 0
		.amdhsa_user_sgpr_kernarg_preload_offset 0
		.amdhsa_user_sgpr_private_segment_size 0
		.amdhsa_uses_dynamic_stack 0
		.amdhsa_system_sgpr_private_segment_wavefront_offset 0
		.amdhsa_system_sgpr_workgroup_id_x 1
		.amdhsa_system_sgpr_workgroup_id_y 1
		.amdhsa_system_sgpr_workgroup_id_z 1
		.amdhsa_system_sgpr_workgroup_info 0
		.amdhsa_system_vgpr_workitem_id 1
		.amdhsa_next_free_vgpr 104
		.amdhsa_next_free_sgpr 81
		.amdhsa_accum_offset 104
		.amdhsa_reserve_vcc 1
		.amdhsa_reserve_flat_scratch 0
		.amdhsa_float_round_mode_32 0
		.amdhsa_float_round_mode_16_64 0
		.amdhsa_float_denorm_mode_32 3
		.amdhsa_float_denorm_mode_16_64 3
		.amdhsa_dx10_clamp 1
		.amdhsa_ieee_mode 1
		.amdhsa_fp16_overflow 0
		.amdhsa_tg_split 0
		.amdhsa_exception_fp_ieee_invalid_op 0
		.amdhsa_exception_fp_denorm_src 0
		.amdhsa_exception_fp_ieee_div_zero 0
		.amdhsa_exception_fp_ieee_overflow 0
		.amdhsa_exception_fp_ieee_underflow 0
		.amdhsa_exception_fp_ieee_inexact 0
		.amdhsa_exception_int_div_zero 0
	.end_amdhsa_kernel
	.section	.text._ZL9mul_mat_fIfLi64ELi4ELi8ELb0EEvPKT_PKfPKiPfiiiiiiiiiiiiiiii,"axG",@progbits,_ZL9mul_mat_fIfLi64ELi4ELi8ELb0EEvPKT_PKfPKiPfiiiiiiiiiiiiiiii,comdat
.Lfunc_end98:
	.size	_ZL9mul_mat_fIfLi64ELi4ELi8ELb0EEvPKT_PKfPKiPfiiiiiiiiiiiiiiii, .Lfunc_end98-_ZL9mul_mat_fIfLi64ELi4ELi8ELb0EEvPKT_PKfPKiPfiiiiiiiiiiiiiiii
                                        ; -- End function
	.section	.AMDGPU.csdata,"",@progbits
; Kernel info:
; codeLenInByte = 5328
; NumSgprs: 85
; NumVgprs: 104
; NumAgprs: 0
; TotalNumVgprs: 104
; ScratchSize: 0
; MemoryBound: 0
; FloatMode: 240
; IeeeMode: 1
; LDSByteSize: 0 bytes/workgroup (compile time only)
; SGPRBlocks: 10
; VGPRBlocks: 12
; NumSGPRsForWavesPerEU: 85
; NumVGPRsForWavesPerEU: 104
; AccumOffset: 104
; Occupancy: 4
; WaveLimiterHint : 0
; COMPUTE_PGM_RSRC2:SCRATCH_EN: 0
; COMPUTE_PGM_RSRC2:USER_SGPR: 6
; COMPUTE_PGM_RSRC2:TRAP_HANDLER: 0
; COMPUTE_PGM_RSRC2:TGID_X_EN: 1
; COMPUTE_PGM_RSRC2:TGID_Y_EN: 1
; COMPUTE_PGM_RSRC2:TGID_Z_EN: 1
; COMPUTE_PGM_RSRC2:TIDIG_COMP_CNT: 1
; COMPUTE_PGM_RSRC3_GFX90A:ACCUM_OFFSET: 25
; COMPUTE_PGM_RSRC3_GFX90A:TG_SPLIT: 0
	.section	.text._ZL13mul_mat_f_idsI7__half2Li64ELi4ELi1EEvPKT_PKfPKiS7_S7_Pfiiiiiiiiiiiiii15HIP_vector_typeIjLj3EESA_,"axG",@progbits,_ZL13mul_mat_f_idsI7__half2Li64ELi4ELi1EEvPKT_PKfPKiS7_S7_Pfiiiiiiiiiiiiii15HIP_vector_typeIjLj3EESA_,comdat
	.globl	_ZL13mul_mat_f_idsI7__half2Li64ELi4ELi1EEvPKT_PKfPKiS7_S7_Pfiiiiiiiiiiiiii15HIP_vector_typeIjLj3EESA_ ; -- Begin function _ZL13mul_mat_f_idsI7__half2Li64ELi4ELi1EEvPKT_PKfPKiS7_S7_Pfiiiiiiiiiiiiii15HIP_vector_typeIjLj3EESA_
	.p2align	8
	.type	_ZL13mul_mat_f_idsI7__half2Li64ELi4ELi1EEvPKT_PKfPKiS7_S7_Pfiiiiiiiiiiiiii15HIP_vector_typeIjLj3EESA_,@function
_ZL13mul_mat_f_idsI7__half2Li64ELi4ELi1EEvPKT_PKfPKiS7_S7_Pfiiiiiiiiiiiiii15HIP_vector_typeIjLj3EESA_: ; @_ZL13mul_mat_f_idsI7__half2Li64ELi4ELi1EEvPKT_PKfPKiS7_S7_Pfiiiiiiiiiiiiii15HIP_vector_typeIjLj3EESA_
; %bb.0:
	s_load_dwordx2 s[0:1], s[4:5], 0x20
	s_mov_b32 s34, s7
	s_ashr_i32 s35, s7, 31
	s_lshl_b64 s[2:3], s[34:35], 2
	s_waitcnt lgkmcnt(0)
	s_add_u32 s0, s0, s2
	s_addc_u32 s1, s1, s3
	s_load_dwordx2 s[26:27], s[0:1], 0x0
	s_waitcnt lgkmcnt(0)
	s_sub_i32 s33, s27, s26
	s_add_i32 s0, s33, 3
	s_ashr_i32 s1, s0, 31
	s_lshr_b32 s1, s1, 30
	s_add_i32 s0, s0, s1
	s_ashr_i32 s0, s0, 2
	s_cmp_ge_i32 s8, s0
	s_cbranch_scc1 .LBB99_31
; %bb.1:
	v_bfe_u32 v90, v0, 10, 10
	v_lshlrev_b32_e32 v92, 6, v90
	v_and_b32_e32 v91, 0x3ff, v0
	s_load_dwordx4 s[12:15], s[4:5], 0x30
	s_load_dwordx2 s[20:21], s[4:5], 0x40
	s_load_dwordx4 s[0:3], s[4:5], 0x4c
	s_load_dwordx4 s[16:19], s[4:5], 0x68
	s_load_dwordx2 s[24:25], s[4:5], 0x78
	v_or_b32_e32 v94, v92, v91
	s_ashr_i32 s27, s26, 31
	s_waitcnt lgkmcnt(0)
	v_cmp_le_i32_e32 vcc, s12, v94
	v_and_b32_e32 v0, 15, v91
                                        ; implicit-def: $sgpr3
                                        ; implicit-def: $vgpr93
	s_and_saveexec_b64 s[10:11], vcc
	s_xor_b64 s[10:11], exec, s[10:11]
; %bb.2:
	v_mul_u32_u24_e32 v93, 0x108, v0
	s_mov_b32 s3, 0
                                        ; implicit-def: $vgpr94
                                        ; implicit-def: $vgpr0
; %bb.3:
	s_or_saveexec_b64 s[22:23], s[10:11]
	s_load_dwordx2 s[10:11], s[4:5], 0x18
                                        ; implicit-def: $vgpr101 : SGPR spill to VGPR lane
	s_lshl_b32 s7, s6, 6
	s_lshl_b32 s6, s8, 2
	v_accvgpr_write_b32 a0, s3
	v_accvgpr_write_b32 a1, s3
	s_waitcnt lgkmcnt(0)
	v_writelane_b32 v101, s10, 0
	v_writelane_b32 v101, s11, 1
	s_load_dwordx2 s[10:11], s[4:5], 0x28
	v_accvgpr_write_b32 a2, s3
	v_accvgpr_write_b32 a3, s3
	;; [unrolled: 1-line block ×4, first 2 shown]
	s_waitcnt lgkmcnt(0)
	v_writelane_b32 v101, s10, 2
	v_writelane_b32 v101, s11, 3
	v_accvgpr_write_b32 a6, s3
	v_accvgpr_write_b32 a7, s3
	;; [unrolled: 1-line block ×10, first 2 shown]
	v_writelane_b32 v101, s22, 4
	v_writelane_b32 v101, s23, 5
	s_xor_b64 exec, exec, s[22:23]
	s_cbranch_execz .LBB99_19
; %bb.4:
	v_writelane_b32 v101, s24, 6
	v_writelane_b32 v101, s25, 7
	s_load_dwordx4 s[8:11], s[4:5], 0x0
	s_load_dwordx2 s[22:23], s[4:5], 0x10
	s_mul_i32 s4, s34, s0
	s_mul_i32 s24, s7, s15
	s_ashr_i32 s5, s4, 31
	s_ashr_i32 s25, s24, 31
	s_lshl_b64 s[24:25], s[24:25], 2
	s_lshl_b64 s[4:5], s[4:5], 2
	s_add_u32 s3, s4, s24
	s_addc_u32 s24, s5, s25
	s_waitcnt lgkmcnt(0)
	s_add_u32 s0, s3, s8
	s_addc_u32 s25, s24, s9
	s_lshl_b64 s[4:5], s[26:27], 2
	s_add_u32 s28, s22, s4
	s_addc_u32 s29, s23, s5
	s_movk_i32 s4, 0x1080
	s_cmp_lt_i32 s6, s33
	v_writelane_b32 v101, s7, 8
	v_mad_u32_u24 v1, v90, s4, 0
	s_cselect_b64 s[4:5], -1, 0
	s_ashr_i32 s7, s6, 31
	s_lshl_b64 s[22:23], s[6:7], 2
	s_add_u32 s34, s28, s22
	v_mul_u32_u24_e32 v93, 0x108, v0
	v_lshrrev_b32_e32 v0, 1, v91
	s_addc_u32 s35, s29, s23
	s_or_b32 s7, s6, 1
	v_and_b32_e32 v0, 0x1f8, v0
	s_cmp_lt_i32 s7, s33
	v_lshlrev_b32_e32 v2, 2, v91
	v_add3_u32 v96, v1, v93, v0
	s_cselect_b64 s[36:37], -1, 0
	s_or_b32 s7, s6, 2
	v_lshlrev_b32_e32 v0, 8, v90
	v_add_u32_e32 v95, v1, v2
	s_cmp_lt_i32 s7, s33
	v_mov_b32_e32 v1, s24
	v_add_co_u32_e32 v0, vcc, s3, v0
	s_cselect_b64 s[38:39], -1, 0
	s_or_b32 s7, s6, 3
	v_addc_co_u32_e32 v1, vcc, 0, v1, vcc
	s_cmp_lt_i32 s7, s33
	v_add_co_u32_e32 v0, vcc, v0, v2
	s_cselect_b64 s[40:41], -1, 0
	s_ashr_i32 s23, s15, 31
	s_mov_b32 s22, s15
	v_addc_co_u32_e32 v1, vcc, 0, v1, vcc
	s_lshl_b64 s[42:43], s[22:23], 2
	v_mov_b32_e32 v2, s9
	v_add_co_u32_e32 v16, vcc, s8, v0
	v_addc_co_u32_e32 v17, vcc, v2, v1, vcc
	s_lshl_b32 s7, s15, 1
	s_mul_i32 s44, s15, 3
	s_lshl_b32 s45, s15, 2
	s_mul_i32 s46, s15, 5
	s_mul_i32 s47, s15, 6
	;; [unrolled: 1-line block ×3, first 2 shown]
	s_lshl_b32 s49, s15, 3
	s_mul_i32 s50, s15, 9
	s_mul_i32 s51, s15, 10
	;; [unrolled: 1-line block ×7, first 2 shown]
	s_lshl_b32 s57, s15, 4
	s_mul_i32 s58, s15, 17
	s_mul_i32 s59, s15, 18
	;; [unrolled: 1-line block ×15, first 2 shown]
	s_lshl_b32 s73, s15, 5
	s_mul_i32 s74, s15, 33
	s_mul_i32 s75, s15, 34
	;; [unrolled: 1-line block ×15, first 2 shown]
	v_mov_b32_e32 v97, s25
	s_mul_i32 s89, s15, 48
	v_mov_b32_e32 v98, 0
	v_accvgpr_write_b32 a15, 0
	v_accvgpr_write_b32 a14, 0
	v_accvgpr_write_b32 a13, 0
	v_accvgpr_write_b32 a12, 0
	v_accvgpr_write_b32 a11, 0
	v_accvgpr_write_b32 a10, 0
	v_accvgpr_write_b32 a9, 0
	v_accvgpr_write_b32 a8, 0
	v_accvgpr_write_b32 a7, 0
	v_accvgpr_write_b32 a6, 0
	v_accvgpr_write_b32 a5, 0
	v_accvgpr_write_b32 a4, 0
	v_accvgpr_write_b32 a3, 0
	v_accvgpr_write_b32 a2, 0
	v_accvgpr_write_b32 a1, 0
	v_accvgpr_write_b32 a0, 0
	v_mov_b32_e32 v99, s43
	s_mul_i32 s43, s15, 49
	s_mul_i32 s90, s15, 50
	;; [unrolled: 1-line block ×15, first 2 shown]
	s_mov_b64 s[8:9], 0
	s_branch .LBB99_6
.LBB99_5:                               ;   in Loop: Header=BB99_6 Depth=1
	s_waitcnt vmcnt(0)
	v_cvt_f16_f32_e32 v82, v82
	v_cvt_f16_f32_e32 v83, v83
	;; [unrolled: 1-line block ×4, first 2 shown]
	v_accvgpr_write_b32 a0, v12
	v_pack_b32_f16 v82, v82, v83
	v_cvt_f16_f32_e32 v83, v84
	v_cvt_f16_f32_e32 v84, v85
	v_cvt_f16_f32_e32 v85, v88
	v_cvt_f16_f32_e32 v88, v89
	v_pack_b32_f16 v86, v86, v87
	ds_write2_b32 v95, v82, v86 offset1:66
	v_pack_b32_f16 v82, v83, v84
	v_pack_b32_f16 v83, v85, v88
	ds_write2_b32 v95, v82, v83 offset0:132 offset1:198
	v_add_u32_e32 v82, 0x400, v95
	ds_write2_b32 v82, v98, v98 offset0:8 offset1:74
	ds_write2_b32 v82, v98, v98 offset0:140 offset1:206
	v_add_u32_e32 v82, 0x800, v95
	ds_write2_b32 v82, v98, v98 offset0:16 offset1:82
	ds_write2_b32 v82, v98, v98 offset0:148 offset1:214
	v_add_u32_e32 v82, 0xc00, v95
	ds_write2_b32 v82, v98, v98 offset0:24 offset1:90
	ds_write2_b32 v82, v98, v98 offset0:156 offset1:222
	ds_read2_b64 v[82:85], v96 offset1:4
	v_accvgpr_write_b32 a4, v8
	v_accvgpr_write_b32 a11, v7
	;; [unrolled: 1-line block ×15, first 2 shown]
	s_waitcnt lgkmcnt(0)
	v_mfma_f32_16x16x16f16 a[0:3], v[36:37], v[82:83], a[0:3]
	ds_read2_b64 v[0:3], v96 offset0:8 offset1:12
	v_add_co_u32_e32 v16, vcc, 0x100, v16
	v_add_u32_e32 v94, 64, v94
	v_addc_co_u32_e32 v17, vcc, 0, v17, vcc
	v_cmp_le_i32_e32 vcc, s12, v94
	v_mfma_f32_16x16x16f16 a[4:7], v[50:51], v[82:83], a[4:7]
	s_or_b64 s[8:9], vcc, s[8:9]
	v_mfma_f32_16x16x16f16 a[8:11], v[64:65], v[82:83], a[8:11]
	v_mfma_f32_16x16x16f16 a[12:15], v[80:81], v[82:83], a[12:15]
	;; [unrolled: 1-line block ×6, first 2 shown]
	s_waitcnt lgkmcnt(0)
	v_mfma_f32_16x16x16f16 a[0:3], v[28:29], v[0:1], a[0:3]
	v_mfma_f32_16x16x16f16 a[4:7], v[44:45], v[0:1], a[4:7]
	;; [unrolled: 1-line block ×8, first 2 shown]
	ds_read2_b64 v[0:3], v96 offset0:16 offset1:20
	s_waitcnt lgkmcnt(0)
	v_mfma_f32_16x16x16f16 a[0:3], v[24:25], v[0:1], a[0:3]
	v_mfma_f32_16x16x16f16 a[4:7], v[40:41], v[0:1], a[4:7]
	v_mfma_f32_16x16x16f16 a[8:11], v[56:57], v[0:1], a[8:11]
	v_mfma_f32_16x16x16f16 a[12:15], v[72:73], v[0:1], a[12:15]
	v_mfma_f32_16x16x16f16 a[0:3], v[22:23], v[2:3], a[0:3]
	v_mfma_f32_16x16x16f16 a[4:7], v[38:39], v[2:3], a[4:7]
	v_mfma_f32_16x16x16f16 a[8:11], v[54:55], v[2:3], a[8:11]
	v_mfma_f32_16x16x16f16 a[12:15], v[70:71], v[2:3], a[12:15]
	ds_read2_b64 v[0:3], v96 offset0:24 offset1:28
	s_waitcnt lgkmcnt(0)
	v_mfma_f32_16x16x16f16 a[0:3], v[20:21], v[0:1], a[0:3]
	v_mfma_f32_16x16x16f16 a[4:7], v[34:35], v[0:1], a[4:7]
	;; [unrolled: 1-line block ×8, first 2 shown]
	s_andn2_b64 exec, exec, s[8:9]
	s_cbranch_execz .LBB99_18
.LBB99_6:                               ; =>This Inner Loop Header: Depth=1
	v_add_co_u32_e32 v0, vcc, s42, v16
	v_addc_co_u32_e32 v1, vcc, v17, v99, vcc
	global_load_dword v22, v[16:17], off
	global_load_dword v23, v[0:1], off
	v_add_u32_e32 v0, s7, v94
	v_ashrrev_i32_e32 v1, 31, v0
	v_lshlrev_b64 v[0:1], 2, v[0:1]
	v_add_u32_e32 v2, s44, v94
	v_add_co_u32_e32 v0, vcc, s0, v0
	v_ashrrev_i32_e32 v3, 31, v2
	v_addc_co_u32_e32 v1, vcc, v97, v1, vcc
	v_lshlrev_b64 v[2:3], 2, v[2:3]
	v_add_u32_e32 v4, s45, v94
	v_add_co_u32_e32 v2, vcc, s0, v2
	v_ashrrev_i32_e32 v5, 31, v4
	v_addc_co_u32_e32 v3, vcc, v97, v3, vcc
	;; [unrolled: 5-line block ×5, first 2 shown]
	v_lshlrev_b64 v[10:11], 2, v[10:11]
	v_add_co_u32_e32 v10, vcc, s0, v10
	v_addc_co_u32_e32 v11, vcc, v97, v11, vcc
	global_load_dword v24, v[0:1], off
	global_load_dword v25, v[2:3], off
	;; [unrolled: 1-line block ×6, first 2 shown]
	v_add_u32_e32 v18, s49, v94
	v_ashrrev_i32_e32 v19, 31, v18
	v_add_u32_e32 v20, s50, v94
	v_lshlrev_b64 v[18:19], 2, v[18:19]
	v_ashrrev_i32_e32 v21, 31, v20
	v_add_co_u32_e32 v18, vcc, s0, v18
	v_lshlrev_b64 v[20:21], 2, v[20:21]
	v_addc_co_u32_e32 v19, vcc, v97, v19, vcc
	v_add_co_u32_e32 v20, vcc, s0, v20
	v_addc_co_u32_e32 v21, vcc, v97, v21, vcc
	v_add_u32_e32 v30, s56, v94
	v_ashrrev_i32_e32 v31, 31, v30
	v_lshlrev_b64 v[30:31], 2, v[30:31]
	v_add_u32_e32 v32, s57, v94
	v_ashrrev_i32_e32 v33, 31, v32
	v_lshlrev_b64 v[32:33], 2, v[32:33]
	v_add_u32_e32 v34, s58, v94
	v_ashrrev_i32_e32 v35, 31, v34
	v_lshlrev_b64 v[34:35], 2, v[34:35]
	v_add_u32_e32 v58, s82, v94
	v_ashrrev_i32_e32 v59, 31, v58
	v_lshlrev_b64 v[58:59], 2, v[58:59]
	v_accvgpr_read_b32 v3, a15
	v_accvgpr_read_b32 v2, a14
	;; [unrolled: 1-line block ×6, first 2 shown]
	s_waitcnt vmcnt(7)
	ds_write_b32 v95, v22
	s_waitcnt vmcnt(6)
	ds_write_b32 v95, v23 offset:264
	global_load_dword v18, v[18:19], off
	s_nop 0
	global_load_dword v19, v[20:21], off
	v_add_u32_e32 v20, s51, v94
	v_ashrrev_i32_e32 v21, 31, v20
	v_lshlrev_b64 v[20:21], 2, v[20:21]
	v_add_u32_e32 v22, s52, v94
	v_add_co_u32_e32 v20, vcc, s0, v20
	v_ashrrev_i32_e32 v23, 31, v22
	v_addc_co_u32_e32 v21, vcc, v97, v21, vcc
	v_lshlrev_b64 v[22:23], 2, v[22:23]
	s_waitcnt vmcnt(7)
	ds_write_b32 v95, v24 offset:528
	s_waitcnt vmcnt(6)
	ds_write_b32 v95, v25 offset:792
	;; [unrolled: 2-line block ×6, first 2 shown]
	v_add_u32_e32 v24, s53, v94
	v_add_co_u32_e32 v22, vcc, s0, v22
	v_ashrrev_i32_e32 v25, 31, v24
	v_addc_co_u32_e32 v23, vcc, v97, v23, vcc
	v_lshlrev_b64 v[24:25], 2, v[24:25]
	v_add_u32_e32 v26, s54, v94
	v_add_co_u32_e32 v24, vcc, s0, v24
	v_ashrrev_i32_e32 v27, 31, v26
	v_addc_co_u32_e32 v25, vcc, v97, v25, vcc
	v_lshlrev_b64 v[26:27], 2, v[26:27]
	;; [unrolled: 5-line block ×3, first 2 shown]
	v_add_co_u32_e32 v28, vcc, s0, v28
	v_addc_co_u32_e32 v29, vcc, v97, v29, vcc
	v_add_co_u32_e32 v30, vcc, s0, v30
	v_addc_co_u32_e32 v31, vcc, v97, v31, vcc
	;; [unrolled: 2-line block ×4, first 2 shown]
	global_load_dword v20, v[20:21], off
	s_nop 0
	global_load_dword v21, v[22:23], off
	s_nop 0
	global_load_dword v22, v[24:25], off
	global_load_dword v23, v[26:27], off
	s_nop 0
	global_load_dword v24, v[28:29], off
	;; [unrolled: 3-line block ×3, first 2 shown]
	s_nop 0
	global_load_dword v33, v[34:35], off
	v_add_u32_e32 v26, s59, v94
	v_ashrrev_i32_e32 v27, 31, v26
	v_lshlrev_b64 v[26:27], 2, v[26:27]
	v_add_u32_e32 v28, s60, v94
	v_add_co_u32_e32 v26, vcc, s0, v26
	v_ashrrev_i32_e32 v29, 31, v28
	v_addc_co_u32_e32 v27, vcc, v97, v27, vcc
	v_lshlrev_b64 v[28:29], 2, v[28:29]
	v_add_u32_e32 v30, s61, v94
	v_add_co_u32_e32 v28, vcc, s0, v28
	v_ashrrev_i32_e32 v31, 31, v30
	v_addc_co_u32_e32 v29, vcc, v97, v29, vcc
	;; [unrolled: 5-line block ×3, first 2 shown]
	v_lshlrev_b64 v[34:35], 2, v[34:35]
	v_add_co_u32_e32 v36, vcc, s0, v34
	v_add_u32_e32 v34, s63, v94
	v_addc_co_u32_e32 v37, vcc, v97, v35, vcc
	v_ashrrev_i32_e32 v35, 31, v34
	v_lshlrev_b64 v[34:35], 2, v[34:35]
	v_add_co_u32_e32 v40, vcc, s0, v34
	v_add_u32_e32 v34, s64, v94
	v_addc_co_u32_e32 v41, vcc, v97, v35, vcc
	v_ashrrev_i32_e32 v35, 31, v34
	;; [unrolled: 5-line block ×4, first 2 shown]
	v_lshlrev_b64 v[34:35], 2, v[34:35]
	v_add_co_u32_e32 v46, vcc, s0, v34
	v_addc_co_u32_e32 v47, vcc, v97, v35, vcc
	global_load_dword v34, v[26:27], off
	global_load_dword v35, v[28:29], off
	global_load_dword v38, v[30:31], off
	global_load_dword v39, v[36:37], off
	s_nop 0
	global_load_dword v40, v[40:41], off
	s_nop 0
	global_load_dword v41, v[42:43], off
	;; [unrolled: 2-line block ×3, first 2 shown]
	global_load_dword v43, v[46:47], off
	v_add_u32_e32 v26, s67, v94
	v_ashrrev_i32_e32 v27, 31, v26
	v_lshlrev_b64 v[26:27], 2, v[26:27]
	v_add_u32_e32 v28, s68, v94
	v_add_co_u32_e32 v26, vcc, s0, v26
	v_ashrrev_i32_e32 v29, 31, v28
	v_addc_co_u32_e32 v27, vcc, v97, v27, vcc
	v_lshlrev_b64 v[28:29], 2, v[28:29]
	v_add_u32_e32 v30, s69, v94
	v_add_co_u32_e32 v28, vcc, s0, v28
	v_ashrrev_i32_e32 v31, 31, v30
	v_addc_co_u32_e32 v29, vcc, v97, v29, vcc
	;; [unrolled: 5-line block ×4, first 2 shown]
	v_lshlrev_b64 v[44:45], 2, v[44:45]
	v_add_co_u32_e32 v48, vcc, s0, v44
	v_add_u32_e32 v44, s72, v94
	v_addc_co_u32_e32 v49, vcc, v97, v45, vcc
	v_ashrrev_i32_e32 v45, 31, v44
	v_lshlrev_b64 v[44:45], 2, v[44:45]
	v_add_co_u32_e32 v52, vcc, s0, v44
	v_add_u32_e32 v44, s73, v94
	v_addc_co_u32_e32 v53, vcc, v97, v45, vcc
	v_ashrrev_i32_e32 v45, 31, v44
	;; [unrolled: 5-line block ×3, first 2 shown]
	v_lshlrev_b64 v[44:45], 2, v[44:45]
	v_add_co_u32_e32 v56, vcc, s0, v44
	v_addc_co_u32_e32 v57, vcc, v97, v45, vcc
	global_load_dword v44, v[26:27], off
	global_load_dword v45, v[28:29], off
	;; [unrolled: 1-line block ×6, first 2 shown]
	s_nop 0
	global_load_dword v48, v[54:55], off
	global_load_dword v49, v[56:57], off
	v_add_u32_e32 v26, s75, v94
	v_ashrrev_i32_e32 v27, 31, v26
	v_lshlrev_b64 v[26:27], 2, v[26:27]
	v_add_u32_e32 v28, s76, v94
	v_add_co_u32_e32 v26, vcc, s0, v26
	v_ashrrev_i32_e32 v29, 31, v28
	v_addc_co_u32_e32 v27, vcc, v97, v27, vcc
	v_lshlrev_b64 v[28:29], 2, v[28:29]
	v_add_u32_e32 v30, s77, v94
	v_add_co_u32_e32 v28, vcc, s0, v28
	v_ashrrev_i32_e32 v31, 31, v30
	v_addc_co_u32_e32 v29, vcc, v97, v29, vcc
	;; [unrolled: 5-line block ×6, first 2 shown]
	v_lshlrev_b64 v[56:57], 2, v[56:57]
	v_add_co_u32_e32 v56, vcc, s0, v56
	v_addc_co_u32_e32 v57, vcc, v97, v57, vcc
	v_add_co_u32_e32 v58, vcc, s0, v58
	v_addc_co_u32_e32 v59, vcc, v97, v59, vcc
	global_load_dword v60, v[26:27], off
	global_load_dword v61, v[28:29], off
	global_load_dword v62, v[30:31], off
	global_load_dword v63, v[36:37], off
	global_load_dword v64, v[52:53], off
	global_load_dword v65, v[54:55], off
	global_load_dword v66, v[56:57], off
	global_load_dword v67, v[58:59], off
	v_add_u32_e32 v26, s83, v94
	v_ashrrev_i32_e32 v27, 31, v26
	v_lshlrev_b64 v[26:27], 2, v[26:27]
	v_add_u32_e32 v28, s84, v94
	v_add_co_u32_e32 v26, vcc, s0, v26
	v_ashrrev_i32_e32 v29, 31, v28
	v_addc_co_u32_e32 v27, vcc, v97, v27, vcc
	v_lshlrev_b64 v[28:29], 2, v[28:29]
	v_add_u32_e32 v30, s85, v94
	v_add_co_u32_e32 v28, vcc, s0, v28
	v_ashrrev_i32_e32 v31, 31, v30
	v_addc_co_u32_e32 v29, vcc, v97, v29, vcc
	;; [unrolled: 5-line block ×7, first 2 shown]
	v_lshlrev_b64 v[58:59], 2, v[58:59]
	v_add_co_u32_e32 v58, vcc, s0, v58
	v_addc_co_u32_e32 v59, vcc, v97, v59, vcc
	global_load_dword v68, v[26:27], off
	global_load_dword v69, v[28:29], off
	;; [unrolled: 1-line block ×8, first 2 shown]
	v_add_u32_e32 v26, s90, v94
	v_ashrrev_i32_e32 v27, 31, v26
	v_lshlrev_b64 v[26:27], 2, v[26:27]
	v_add_u32_e32 v28, s91, v94
	v_add_co_u32_e32 v26, vcc, s0, v26
	v_ashrrev_i32_e32 v29, 31, v28
	v_addc_co_u32_e32 v27, vcc, v97, v27, vcc
	v_lshlrev_b64 v[28:29], 2, v[28:29]
	v_add_u32_e32 v30, s92, v94
	v_add_co_u32_e32 v28, vcc, s0, v28
	v_ashrrev_i32_e32 v31, 31, v30
	v_addc_co_u32_e32 v29, vcc, v97, v29, vcc
	;; [unrolled: 5-line block ×7, first 2 shown]
	v_lshlrev_b64 v[58:59], 2, v[58:59]
	v_add_co_u32_e32 v58, vcc, s0, v58
	v_addc_co_u32_e32 v59, vcc, v97, v59, vcc
	global_load_dword v76, v[26:27], off
	global_load_dword v77, v[28:29], off
	;; [unrolled: 1-line block ×8, first 2 shown]
	v_add_u32_e32 v26, s28, v94
	v_ashrrev_i32_e32 v27, 31, v26
	v_lshlrev_b64 v[26:27], 2, v[26:27]
	v_add_u32_e32 v28, s29, v94
	v_add_co_u32_e32 v26, vcc, s0, v26
	v_ashrrev_i32_e32 v29, 31, v28
	v_addc_co_u32_e32 v27, vcc, v97, v27, vcc
	v_lshlrev_b64 v[28:29], 2, v[28:29]
	v_add_u32_e32 v30, s22, v94
	v_add_co_u32_e32 v28, vcc, s0, v28
	v_ashrrev_i32_e32 v31, 31, v30
	v_addc_co_u32_e32 v29, vcc, v97, v29, vcc
	v_lshlrev_b64 v[30:31], 2, v[30:31]
	v_add_u32_e32 v36, s23, v94
	v_add_co_u32_e32 v30, vcc, s0, v30
	v_ashrrev_i32_e32 v37, 31, v36
	v_addc_co_u32_e32 v31, vcc, v97, v31, vcc
	v_lshlrev_b64 v[36:37], 2, v[36:37]
	v_add_u32_e32 v52, s3, v94
	v_add_co_u32_e32 v36, vcc, s0, v36
	v_ashrrev_i32_e32 v53, 31, v52
	v_addc_co_u32_e32 v37, vcc, v97, v37, vcc
	v_lshlrev_b64 v[52:53], 2, v[52:53]
	v_add_u32_e32 v54, s15, v94
	v_add_co_u32_e32 v52, vcc, s0, v52
	v_ashrrev_i32_e32 v55, 31, v54
	v_addc_co_u32_e32 v53, vcc, v97, v53, vcc
	v_lshlrev_b64 v[54:55], 2, v[54:55]
	v_add_co_u32_e32 v54, vcc, s0, v54
	v_addc_co_u32_e32 v55, vcc, v97, v55, vcc
	global_load_dword v84, v[26:27], off
	global_load_dword v85, v[28:29], off
	;; [unrolled: 1-line block ×6, first 2 shown]
	s_waitcnt vmcnt(55)
	ds_write_b32 v95, v18 offset:2112
	s_waitcnt vmcnt(54)
	ds_write_b32 v95, v19 offset:2376
	s_waitcnt vmcnt(53)
	ds_write_b32 v95, v20 offset:2640
	s_waitcnt vmcnt(52)
	ds_write_b32 v95, v21 offset:2904
	s_waitcnt vmcnt(51)
	ds_write_b32 v95, v22 offset:3168
	s_waitcnt vmcnt(50)
	ds_write_b32 v95, v23 offset:3432
	s_waitcnt vmcnt(49)
	ds_write_b32 v95, v24 offset:3696
	s_waitcnt vmcnt(48)
	ds_write_b32 v95, v25 offset:3960
	ds_read_b64 v[36:37], v96
	ds_read_b64 v[30:31], v96 offset:32
	ds_read_b64 v[28:29], v96 offset:64
	ds_read_b64 v[26:27], v96 offset:96
	ds_read_b64 v[24:25], v96 offset:128
	ds_read_b64 v[22:23], v96 offset:160
	ds_read_b64 v[20:21], v96 offset:192
	ds_read_b64 v[18:19], v96 offset:224
	s_waitcnt vmcnt(47)
	ds_write_b32 v95, v32
	s_waitcnt vmcnt(46)
	ds_write_b32 v95, v33 offset:264
	s_waitcnt vmcnt(45)
	ds_write_b32 v95, v34 offset:528
	s_waitcnt vmcnt(44)
	ds_write_b32 v95, v35 offset:792
	s_waitcnt vmcnt(43)
	ds_write_b32 v95, v38 offset:1056
	s_waitcnt vmcnt(42)
	ds_write_b32 v95, v39 offset:1320
	s_waitcnt vmcnt(41)
	ds_write_b32 v95, v40 offset:1584
	s_waitcnt vmcnt(40)
	ds_write_b32 v95, v41 offset:1848
	s_waitcnt vmcnt(39)
	ds_write_b32 v95, v42 offset:2112
	s_waitcnt vmcnt(38)
	ds_write_b32 v95, v43 offset:2376
	s_waitcnt vmcnt(37)
	ds_write_b32 v95, v44 offset:2640
	s_waitcnt vmcnt(36)
	ds_write_b32 v95, v45 offset:2904
	s_waitcnt vmcnt(35)
	ds_write_b32 v95, v46 offset:3168
	s_waitcnt vmcnt(34)
	ds_write_b32 v95, v47 offset:3432
	s_waitcnt vmcnt(33)
	ds_write_b32 v95, v50 offset:3696
	s_waitcnt vmcnt(32)
	ds_write_b32 v95, v51 offset:3960
	ds_read_b64 v[50:51], v96
	ds_read_b64 v[46:47], v96 offset:32
	ds_read_b64 v[44:45], v96 offset:64
	ds_read_b64 v[42:43], v96 offset:96
	ds_read_b64 v[40:41], v96 offset:128
	ds_read_b64 v[38:39], v96 offset:160
	ds_read_b64 v[34:35], v96 offset:192
	ds_read_b64 v[32:33], v96 offset:224
	s_waitcnt vmcnt(31)
	ds_write_b32 v95, v48
	s_waitcnt vmcnt(30)
	ds_write_b32 v95, v49 offset:264
	s_waitcnt vmcnt(29)
	ds_write_b32 v95, v60 offset:528
	s_waitcnt vmcnt(28)
	ds_write_b32 v95, v61 offset:792
	s_waitcnt vmcnt(27)
	ds_write_b32 v95, v62 offset:1056
	s_waitcnt vmcnt(26)
	ds_write_b32 v95, v63 offset:1320
	s_waitcnt vmcnt(25)
	ds_write_b32 v95, v64 offset:1584
	s_waitcnt vmcnt(24)
	ds_write_b32 v95, v65 offset:1848
	s_waitcnt vmcnt(23)
	ds_write_b32 v95, v66 offset:2112
	s_waitcnt vmcnt(22)
	ds_write_b32 v95, v67 offset:2376
	s_waitcnt vmcnt(21)
	ds_write_b32 v95, v68 offset:2640
	s_waitcnt vmcnt(20)
	ds_write_b32 v95, v69 offset:2904
	s_waitcnt vmcnt(19)
	ds_write_b32 v95, v70 offset:3168
	s_waitcnt vmcnt(18)
	ds_write_b32 v95, v71 offset:3432
	s_waitcnt vmcnt(17)
	ds_write_b32 v95, v72 offset:3696
	s_waitcnt vmcnt(16)
	ds_write_b32 v95, v73 offset:3960
	ds_read_b64 v[64:65], v96
	ds_read_b64 v[62:63], v96 offset:32
	ds_read_b64 v[60:61], v96 offset:64
	ds_read_b64 v[58:59], v96 offset:96
	ds_read_b64 v[56:57], v96 offset:128
	ds_read_b64 v[54:55], v96 offset:160
	ds_read_b64 v[52:53], v96 offset:192
	ds_read_b64 v[48:49], v96 offset:224
	s_waitcnt vmcnt(15)
	ds_write_b32 v95, v74
	s_waitcnt vmcnt(14)
	ds_write_b32 v95, v75 offset:264
	s_waitcnt vmcnt(13)
	ds_write_b32 v95, v76 offset:528
	s_waitcnt vmcnt(12)
	ds_write_b32 v95, v77 offset:792
	s_waitcnt vmcnt(11)
	ds_write_b32 v95, v78 offset:1056
	s_waitcnt vmcnt(10)
	ds_write_b32 v95, v79 offset:1320
	s_waitcnt vmcnt(9)
	ds_write_b32 v95, v80 offset:1584
	s_waitcnt vmcnt(8)
	ds_write_b32 v95, v81 offset:1848
	s_waitcnt vmcnt(7)
	ds_write_b32 v95, v82 offset:2112
	s_waitcnt vmcnt(6)
	ds_write_b32 v95, v83 offset:2376
	;; [unrolled: 2-line block ×8, first 2 shown]
	ds_read_b64 v[80:81], v96
	ds_read_b64 v[78:79], v96 offset:32
	ds_read_b64 v[76:77], v96 offset:64
	;; [unrolled: 1-line block ×7, first 2 shown]
	v_accvgpr_read_b32 v5, a9
	v_accvgpr_read_b32 v4, a8
	;; [unrolled: 1-line block ×10, first 2 shown]
	s_andn2_b64 vcc, exec, s[4:5]
	v_mov_b32_e32 v82, 0
	v_mov_b32_e32 v83, 0
	s_cbranch_vccnz .LBB99_9
; %bb.7:                                ;   in Loop: Header=BB99_6 Depth=1
	s_load_dword vcc_lo, s[34:35], 0x0
	v_mov_b32_e32 v83, 0
	v_mov_b32_e32 v82, 0
	s_waitcnt lgkmcnt(0)
	s_mul_hi_u32 vcc_hi, vcc_lo, s16
	s_add_i32 vcc_hi, vcc_lo, vcc_hi
	s_lshr_b32 s30, vcc_hi, s17
	s_cmp_ge_i32 s30, s13
	s_cbranch_scc1 .LBB99_9
; %bb.8:                                ;   in Loop: Header=BB99_6 Depth=1
	s_mul_i32 vcc_hi, s30, s18
	s_sub_i32 s31, vcc_lo, vcc_hi
	s_mul_i32 s30, s30, s20
	s_mul_i32 s31, s31, s1
	v_add_u32_e32 v82, s30, v94
	v_lshl_add_u32 v82, v82, 1, s31
	v_ashrrev_i32_e32 v83, 31, v82
	v_lshlrev_b64 v[82:83], 2, v[82:83]
	v_mov_b32_e32 v84, s11
	v_add_co_u32_e32 v82, vcc, s10, v82
	v_addc_co_u32_e32 v83, vcc, v84, v83, vcc
	global_load_dwordx2 v[82:83], v[82:83], off
.LBB99_9:                               ;   in Loop: Header=BB99_6 Depth=1
	s_andn2_b64 vcc, exec, s[36:37]
	v_mov_b32_e32 v84, 0
	v_mov_b32_e32 v86, 0
	;; [unrolled: 1-line block ×3, first 2 shown]
	s_cbranch_vccnz .LBB99_12
; %bb.10:                               ;   in Loop: Header=BB99_6 Depth=1
	s_load_dword vcc_lo, s[34:35], 0x4
	v_mov_b32_e32 v87, 0
	v_mov_b32_e32 v86, 0
	s_waitcnt lgkmcnt(0)
	s_mul_hi_u32 s30, vcc_lo, s16
	s_add_i32 s30, vcc_lo, s30
	s_lshr_b32 vcc_hi, s30, s17
	s_cmp_ge_i32 vcc_hi, s13
	s_cbranch_scc1 .LBB99_12
; %bb.11:                               ;   in Loop: Header=BB99_6 Depth=1
	s_mul_i32 s30, vcc_hi, s18
	s_sub_i32 s30, vcc_lo, s30
	s_mul_i32 vcc_hi, vcc_hi, s20
	s_mul_i32 s30, s30, s1
	v_add_u32_e32 v85, vcc_hi, v94
	v_lshl_add_u32 v86, v85, 1, s30
	v_ashrrev_i32_e32 v87, 31, v86
	v_lshlrev_b64 v[86:87], 2, v[86:87]
	v_mov_b32_e32 v85, s11
	v_add_co_u32_e32 v86, vcc, s10, v86
	v_addc_co_u32_e32 v87, vcc, v85, v87, vcc
	global_load_dwordx2 v[86:87], v[86:87], off
.LBB99_12:                              ;   in Loop: Header=BB99_6 Depth=1
	s_andn2_b64 vcc, exec, s[38:39]
	v_mov_b32_e32 v85, 0
	s_cbranch_vccnz .LBB99_15
; %bb.13:                               ;   in Loop: Header=BB99_6 Depth=1
	s_load_dword vcc_lo, s[34:35], 0x8
	v_mov_b32_e32 v85, 0
	v_mov_b32_e32 v84, 0
	s_waitcnt lgkmcnt(0)
	s_mul_hi_u32 s30, vcc_lo, s16
	s_add_i32 s30, vcc_lo, s30
	s_lshr_b32 vcc_hi, s30, s17
	s_cmp_ge_i32 vcc_hi, s13
	s_cbranch_scc1 .LBB99_15
; %bb.14:                               ;   in Loop: Header=BB99_6 Depth=1
	s_mul_i32 s30, vcc_hi, s18
	s_sub_i32 s30, vcc_lo, s30
	s_mul_i32 vcc_hi, vcc_hi, s20
	s_mul_i32 s30, s30, s1
	v_add_u32_e32 v84, vcc_hi, v94
	v_lshl_add_u32 v84, v84, 1, s30
	v_ashrrev_i32_e32 v85, 31, v84
	v_lshlrev_b64 v[84:85], 2, v[84:85]
	v_mov_b32_e32 v88, s11
	v_add_co_u32_e32 v84, vcc, s10, v84
	v_addc_co_u32_e32 v85, vcc, v88, v85, vcc
	global_load_dwordx2 v[84:85], v[84:85], off
.LBB99_15:                              ;   in Loop: Header=BB99_6 Depth=1
	s_andn2_b64 vcc, exec, s[40:41]
	v_mov_b32_e32 v88, 0
	v_mov_b32_e32 v89, 0
	s_cbranch_vccnz .LBB99_5
; %bb.16:                               ;   in Loop: Header=BB99_6 Depth=1
	s_load_dword vcc_lo, s[34:35], 0xc
	v_mov_b32_e32 v89, 0
	v_mov_b32_e32 v88, 0
	s_waitcnt lgkmcnt(0)
	s_mul_hi_u32 s30, vcc_lo, s16
	s_add_i32 s30, vcc_lo, s30
	s_lshr_b32 vcc_hi, s30, s17
	s_cmp_ge_i32 vcc_hi, s13
	s_cbranch_scc1 .LBB99_5
; %bb.17:                               ;   in Loop: Header=BB99_6 Depth=1
	s_mul_i32 s30, vcc_hi, s18
	s_sub_i32 s30, vcc_lo, s30
	s_mul_i32 vcc_hi, vcc_hi, s20
	s_mul_i32 s30, s30, s1
	v_add_u32_e32 v88, vcc_hi, v94
	v_lshl_add_u32 v88, v88, 1, s30
	v_ashrrev_i32_e32 v89, 31, v88
	v_lshlrev_b64 v[88:89], 2, v[88:89]
	v_mov_b32_e32 v100, s11
	v_add_co_u32_e32 v88, vcc, s10, v88
	v_addc_co_u32_e32 v89, vcc, v100, v89, vcc
	global_load_dwordx2 v[88:89], v[88:89], off
	s_branch .LBB99_5
.LBB99_18:
	s_or_b64 exec, exec, s[8:9]
	v_readlane_b32 s24, v101, 6
	v_readlane_b32 s25, v101, 7
	v_readlane_b32 s7, v101, 8
.LBB99_19:
	v_readlane_b32 s0, v101, 4
	v_readlane_b32 s1, v101, 5
	s_or_b64 exec, exec, s[0:1]
	s_lshl_b64 s[0:1], s[26:27], 2
	v_readlane_b32 s4, v101, 0
	v_lshlrev_b32_e32 v0, 2, v92
	v_or_b32_e32 v2, 12, v91
	v_readlane_b32 s5, v101, 1
	s_add_u32 s3, s4, s0
	v_add3_u32 v0, 0, v93, v0
	v_and_b32_e32 v1, 0x3f0, v91
	v_and_b32_e32 v2, 0x3fc, v2
	s_addc_u32 s8, s5, s1
	v_add_u32_e32 v1, v0, v1
	v_add_u32_e32 v0, v0, v2
	ds_write2_b32 v1, a0, a1 offset1:1
	ds_write_b32 v1, a2 offset:8
	ds_write_b32 v0, a3
	ds_write2_b32 v1, a4, a5 offset0:16 offset1:17
	ds_write_b32 v1, a6 offset:72
	ds_write_b32 v0, a7 offset:64
	ds_write2_b32 v1, a8, a9 offset0:32 offset1:33
	ds_write_b32 v1, a10 offset:136
	ds_write_b32 v0, a11 offset:128
	;; [unrolled: 3-line block ×3, first 2 shown]
	s_cmp_gt_i32 s14, 0
	v_add_u32_e32 v0, s6, v90
	s_cselect_b64 s[4:5], -1, 0
	v_cmp_gt_i32_e64 s[0:1], s33, v0
	v_cmp_gt_u32_e32 vcc, 4, v90
	s_and_b64 s[0:1], s[4:5], s[0:1]
	v_lshl_add_u32 v5, v91, 2, 0
	v_add_u32_e32 v4, s7, v91
	v_mul_u32_u24_e32 v6, 0x108, v90
	s_and_b64 s[10:11], vcc, s[0:1]
	s_and_saveexec_b64 s[0:1], s[10:11]
	s_cbranch_execz .LBB99_22
; %bb.20:
	v_ashrrev_i32_e32 v1, 31, v0
	v_lshlrev_b64 v[2:3], 2, v[0:1]
	v_mov_b32_e32 v1, s8
	v_add_co_u32_e32 v2, vcc, s3, v2
	v_addc_co_u32_e32 v3, vcc, v1, v3, vcc
	global_load_dword v1, v[2:3], off
	s_waitcnt vmcnt(0)
	v_mul_hi_u32 v2, v1, s19
	v_add_u32_e32 v2, v1, v2
	v_lshrrev_b32_e32 v2, s24, v2
	v_cmp_gt_i32_e32 vcc, s13, v2
	s_and_b64 exec, exec, vcc
	s_cbranch_execz .LBB99_22
; %bb.21:
	v_add_u32_e32 v3, v5, v6
	ds_read_b32 v3, v3
	v_mul_lo_u32 v7, v2, s25
	v_sub_u32_e32 v1, v1, v7
	v_mul_lo_u32 v2, v2, s21
	v_mul_lo_u32 v1, v1, s2
	s_waitcnt lgkmcnt(0)
	v_add_f32_e32 v7, 0, v3
	v_add3_u32 v2, v4, v2, v1
	v_mov_b32_e32 v3, 0
	v_readlane_b32 s10, v101, 2
	v_lshlrev_b64 v[2:3], 2, v[2:3]
	v_readlane_b32 s11, v101, 3
	v_mov_b32_e32 v1, s11
	v_add_co_u32_e32 v2, vcc, s10, v2
	v_addc_co_u32_e32 v3, vcc, v1, v3, vcc
	global_store_dword v[2:3], v7, off
.LBB99_22:
	s_or_b64 exec, exec, s[0:1]
	v_add_u32_e32 v1, 1, v0
	v_cmp_gt_i32_e64 s[0:1], s33, v1
	v_cmp_gt_u32_e32 vcc, 3, v90
	s_and_b64 s[0:1], s[4:5], s[0:1]
	s_and_b64 s[10:11], vcc, s[0:1]
	s_and_saveexec_b64 s[0:1], s[10:11]
	s_cbranch_execz .LBB99_25
; %bb.23:
	s_ashr_i32 s7, s6, 31
	v_mov_b32_e32 v1, s7
	v_add_co_u32_e32 v2, vcc, s6, v90
	v_addc_co_u32_e32 v3, vcc, 0, v1, vcc
	v_lshlrev_b64 v[2:3], 2, v[2:3]
	v_mov_b32_e32 v1, s8
	v_add_co_u32_e32 v2, vcc, s3, v2
	v_addc_co_u32_e32 v3, vcc, v1, v3, vcc
	global_load_dword v1, v[2:3], off offset:4
	v_mov_b32_e32 v3, 0
	s_waitcnt vmcnt(0)
	v_mul_hi_u32 v2, v1, s19
	v_add_u32_e32 v2, v1, v2
	v_lshrrev_b32_e32 v2, s24, v2
	v_cmp_gt_i32_e32 vcc, s13, v2
	s_and_b64 exec, exec, vcc
	s_cbranch_execz .LBB99_25
; %bb.24:
	v_add_u32_e32 v7, v6, v5
	v_mul_lo_u32 v8, v2, s25
	ds_read_b32 v7, v7 offset:264
	v_sub_u32_e32 v1, v1, v8
	v_mul_lo_u32 v2, v2, s21
	v_mul_lo_u32 v1, v1, s2
	v_add3_u32 v2, v4, v2, v1
	v_readlane_b32 s10, v101, 2
	v_lshlrev_b64 v[2:3], 2, v[2:3]
	v_readlane_b32 s11, v101, 3
	v_mov_b32_e32 v1, s11
	v_add_co_u32_e32 v2, vcc, s10, v2
	s_waitcnt lgkmcnt(0)
	v_add_f32_e32 v7, 0, v7
	v_addc_co_u32_e32 v3, vcc, v1, v3, vcc
	global_store_dword v[2:3], v7, off
.LBB99_25:
	s_or_b64 exec, exec, s[0:1]
	v_add_u32_e32 v1, 2, v0
	v_cmp_gt_i32_e64 s[0:1], s33, v1
	v_cmp_gt_u32_e32 vcc, 2, v90
	s_and_b64 s[0:1], s[4:5], s[0:1]
	s_and_b64 s[10:11], vcc, s[0:1]
	s_and_saveexec_b64 s[0:1], s[10:11]
	s_cbranch_execz .LBB99_28
; %bb.26:
	s_ashr_i32 s7, s6, 31
	v_mov_b32_e32 v1, s7
	v_add_co_u32_e32 v2, vcc, s6, v90
	v_addc_co_u32_e32 v3, vcc, 0, v1, vcc
	v_lshlrev_b64 v[2:3], 2, v[2:3]
	v_mov_b32_e32 v1, s8
	v_add_co_u32_e32 v2, vcc, s3, v2
	v_addc_co_u32_e32 v3, vcc, v1, v3, vcc
	global_load_dword v1, v[2:3], off offset:8
	v_mov_b32_e32 v3, 0
	s_waitcnt vmcnt(0)
	v_mul_hi_u32 v2, v1, s19
	v_add_u32_e32 v2, v1, v2
	v_lshrrev_b32_e32 v2, s24, v2
	v_cmp_gt_i32_e32 vcc, s13, v2
	s_and_b64 exec, exec, vcc
	s_cbranch_execz .LBB99_28
; %bb.27:
	v_add_u32_e32 v7, v5, v6
	v_mul_lo_u32 v8, v2, s25
	ds_read_b32 v7, v7 offset:528
	v_sub_u32_e32 v1, v1, v8
	v_mul_lo_u32 v2, v2, s21
	v_mul_lo_u32 v1, v1, s2
	v_add3_u32 v2, v4, v2, v1
	v_readlane_b32 s10, v101, 2
	v_lshlrev_b64 v[2:3], 2, v[2:3]
	v_readlane_b32 s11, v101, 3
	v_mov_b32_e32 v1, s11
	v_add_co_u32_e32 v2, vcc, s10, v2
	s_waitcnt lgkmcnt(0)
	v_add_f32_e32 v7, 0, v7
	v_addc_co_u32_e32 v3, vcc, v1, v3, vcc
	global_store_dword v[2:3], v7, off
.LBB99_28:
	s_or_b64 exec, exec, s[0:1]
	v_add_u32_e32 v0, 3, v0
	v_cmp_gt_i32_e64 s[0:1], s33, v0
	v_cmp_eq_u32_e32 vcc, 0, v90
	s_and_b64 s[0:1], s[4:5], s[0:1]
	s_and_b64 s[0:1], vcc, s[0:1]
	s_and_saveexec_b64 s[4:5], s[0:1]
	s_cbranch_execz .LBB99_31
; %bb.29:
	s_ashr_i32 s7, s6, 31
	s_lshl_b64 s[0:1], s[6:7], 2
	s_add_u32 s0, s3, s0
	s_addc_u32 s1, s8, s1
	s_load_dword s0, s[0:1], 0xc
	s_waitcnt lgkmcnt(0)
	s_mul_hi_u32 s1, s0, s19
	s_add_i32 s1, s0, s1
	s_lshr_b32 s1, s1, s24
	s_cmp_ge_i32 s1, s13
	s_cbranch_scc1 .LBB99_31
; %bb.30:
	v_add_u32_e32 v0, v5, v6
	ds_read_b32 v0, v0 offset:792
	s_mul_i32 s3, s1, s25
	s_sub_i32 s0, s0, s3
	s_mul_i32 s1, s1, s21
	s_mul_i32 s0, s0, s2
	s_add_i32 s0, s0, s1
	s_waitcnt lgkmcnt(0)
	v_add_f32_e32 v2, 0, v0
	v_add_u32_e32 v0, s0, v4
	v_mov_b32_e32 v1, 0
	v_readlane_b32 s0, v101, 2
	v_lshlrev_b64 v[0:1], 2, v[0:1]
	v_readlane_b32 s1, v101, 3
	v_mov_b32_e32 v3, s1
	v_add_co_u32_e32 v0, vcc, s0, v0
	v_addc_co_u32_e32 v1, vcc, v3, v1, vcc
	global_store_dword v[0:1], v2, off
.LBB99_31:
	s_endpgm
	.section	.rodata,"a",@progbits
	.p2align	6, 0x0
	.amdhsa_kernel _ZL13mul_mat_f_idsI7__half2Li64ELi4ELi1EEvPKT_PKfPKiS7_S7_Pfiiiiiiiiiiiiii15HIP_vector_typeIjLj3EESA_
		.amdhsa_group_segment_fixed_size 0
		.amdhsa_private_segment_fixed_size 0
		.amdhsa_kernarg_size 128
		.amdhsa_user_sgpr_count 6
		.amdhsa_user_sgpr_private_segment_buffer 1
		.amdhsa_user_sgpr_dispatch_ptr 0
		.amdhsa_user_sgpr_queue_ptr 0
		.amdhsa_user_sgpr_kernarg_segment_ptr 1
		.amdhsa_user_sgpr_dispatch_id 0
		.amdhsa_user_sgpr_flat_scratch_init 0
		.amdhsa_user_sgpr_kernarg_preload_length 0
		.amdhsa_user_sgpr_kernarg_preload_offset 0
		.amdhsa_user_sgpr_private_segment_size 0
		.amdhsa_uses_dynamic_stack 0
		.amdhsa_system_sgpr_private_segment_wavefront_offset 0
		.amdhsa_system_sgpr_workgroup_id_x 1
		.amdhsa_system_sgpr_workgroup_id_y 1
		.amdhsa_system_sgpr_workgroup_id_z 1
		.amdhsa_system_sgpr_workgroup_info 0
		.amdhsa_system_vgpr_workitem_id 1
		.amdhsa_next_free_vgpr 120
		.amdhsa_next_free_sgpr 96
		.amdhsa_accum_offset 104
		.amdhsa_reserve_vcc 1
		.amdhsa_reserve_flat_scratch 0
		.amdhsa_float_round_mode_32 0
		.amdhsa_float_round_mode_16_64 0
		.amdhsa_float_denorm_mode_32 3
		.amdhsa_float_denorm_mode_16_64 3
		.amdhsa_dx10_clamp 1
		.amdhsa_ieee_mode 1
		.amdhsa_fp16_overflow 0
		.amdhsa_tg_split 0
		.amdhsa_exception_fp_ieee_invalid_op 0
		.amdhsa_exception_fp_denorm_src 0
		.amdhsa_exception_fp_ieee_div_zero 0
		.amdhsa_exception_fp_ieee_overflow 0
		.amdhsa_exception_fp_ieee_underflow 0
		.amdhsa_exception_fp_ieee_inexact 0
		.amdhsa_exception_int_div_zero 0
	.end_amdhsa_kernel
	.section	.text._ZL13mul_mat_f_idsI7__half2Li64ELi4ELi1EEvPKT_PKfPKiS7_S7_Pfiiiiiiiiiiiiii15HIP_vector_typeIjLj3EESA_,"axG",@progbits,_ZL13mul_mat_f_idsI7__half2Li64ELi4ELi1EEvPKT_PKfPKiS7_S7_Pfiiiiiiiiiiiiii15HIP_vector_typeIjLj3EESA_,comdat
.Lfunc_end99:
	.size	_ZL13mul_mat_f_idsI7__half2Li64ELi4ELi1EEvPKT_PKfPKiS7_S7_Pfiiiiiiiiiiiiii15HIP_vector_typeIjLj3EESA_, .Lfunc_end99-_ZL13mul_mat_f_idsI7__half2Li64ELi4ELi1EEvPKT_PKfPKiS7_S7_Pfiiiiiiiiiiiiii15HIP_vector_typeIjLj3EESA_
                                        ; -- End function
	.section	.AMDGPU.csdata,"",@progbits
; Kernel info:
; codeLenInByte = 6384
; NumSgprs: 100
; NumVgprs: 102
; NumAgprs: 16
; TotalNumVgprs: 120
; ScratchSize: 0
; MemoryBound: 0
; FloatMode: 240
; IeeeMode: 1
; LDSByteSize: 0 bytes/workgroup (compile time only)
; SGPRBlocks: 12
; VGPRBlocks: 14
; NumSGPRsForWavesPerEU: 100
; NumVGPRsForWavesPerEU: 120
; AccumOffset: 104
; Occupancy: 4
; WaveLimiterHint : 1
; COMPUTE_PGM_RSRC2:SCRATCH_EN: 0
; COMPUTE_PGM_RSRC2:USER_SGPR: 6
; COMPUTE_PGM_RSRC2:TRAP_HANDLER: 0
; COMPUTE_PGM_RSRC2:TGID_X_EN: 1
; COMPUTE_PGM_RSRC2:TGID_Y_EN: 1
; COMPUTE_PGM_RSRC2:TGID_Z_EN: 1
; COMPUTE_PGM_RSRC2:TIDIG_COMP_CNT: 1
; COMPUTE_PGM_RSRC3_GFX90A:ACCUM_OFFSET: 25
; COMPUTE_PGM_RSRC3_GFX90A:TG_SPLIT: 0
	.section	.text._ZL9mul_mat_fI7__half2Li64ELi4ELi1ELb1EEvPKT_PKfPKiPfiiiiiiiiiiiiiiii,"axG",@progbits,_ZL9mul_mat_fI7__half2Li64ELi4ELi1ELb1EEvPKT_PKfPKiPfiiiiiiiiiiiiiiii,comdat
	.globl	_ZL9mul_mat_fI7__half2Li64ELi4ELi1ELb1EEvPKT_PKfPKiPfiiiiiiiiiiiiiiii ; -- Begin function _ZL9mul_mat_fI7__half2Li64ELi4ELi1ELb1EEvPKT_PKfPKiPfiiiiiiiiiiiiiiii
	.p2align	8
	.type	_ZL9mul_mat_fI7__half2Li64ELi4ELi1ELb1EEvPKT_PKfPKiPfiiiiiiiiiiiiiiii,@function
_ZL9mul_mat_fI7__half2Li64ELi4ELi1ELb1EEvPKT_PKfPKiPfiiiiiiiiiiiiiiii: ; @_ZL9mul_mat_fI7__half2Li64ELi4ELi1ELb1EEvPKT_PKfPKiPfiiiiiiiiiiiiiiii
; %bb.0:
	s_load_dwordx8 s[20:27], s[4:5], 0x20
	v_and_b32_e32 v16, 0x3ff, v0
	v_bfe_u32 v17, v0, 10, 10
	v_cmp_eq_u32_e32 vcc, 0, v16
	s_waitcnt lgkmcnt(0)
	s_add_i32 s0, s21, 3
	s_ashr_i32 s1, s0, 31
	s_lshr_b32 s1, s1, 30
	s_add_i32 s0, s0, s1
	s_ashr_i32 s0, s0, 2
	v_cvt_f32_u32_e32 v1, s0
	s_load_dwordx4 s[28:31], s[4:5], 0x44
	s_load_dword s1, s[4:5], 0x64
	s_sub_i32 s2, 0, s0
	s_add_u32 s34, s4, 0x60
	v_rcp_iflag_f32_e32 v1, v1
	s_addc_u32 s35, s5, 0
	v_mul_f32_e32 v1, 0x4f7ffffe, v1
	v_cvt_u32_f32_e32 v1, v1
	v_readfirstlane_b32 s3, v1
	s_mul_i32 s2, s2, s3
	s_mul_hi_u32 s2, s3, s2
	s_add_i32 s3, s3, s2
	s_waitcnt lgkmcnt(0)
	s_mul_hi_u32 s2, s1, s3
	s_mul_i32 s3, s2, s0
	s_sub_i32 s1, s1, s3
	s_add_i32 s9, s2, 1
	s_sub_i32 s3, s1, s0
	s_cmp_ge_u32 s1, s0
	s_cselect_b32 s2, s9, s2
	s_cselect_b32 s1, s3, s1
	s_add_i32 s3, s2, 1
	s_cmp_ge_u32 s1, s0
	s_cselect_b32 s9, s3, s2
	v_cvt_f32_u32_e32 v1, s9
	s_abs_i32 s33, s31
	v_cvt_f32_u32_e32 v2, s33
	s_load_dwordx2 s[0:1], s[4:5], 0x10
	v_rcp_iflag_f32_e32 v1, v1
	s_sub_i32 s2, 0, s9
	v_rcp_iflag_f32_e32 v2, v2
	v_mul_f32_e32 v1, 0x4f7ffffe, v1
	v_cvt_u32_f32_e32 v1, v1
	v_mul_f32_e32 v2, 0x4f7ffffe, v2
	v_cvt_u32_f32_e32 v2, v2
	v_readfirstlane_b32 s3, v1
	s_mul_i32 s2, s2, s3
	s_mul_hi_u32 s2, s3, s2
	s_add_i32 s3, s3, s2
	v_readfirstlane_b32 s42, v2
	s_mul_hi_u32 s10, s7, s3
	s_and_saveexec_b64 s[2:3], vcc
	s_cbranch_execz .LBB100_2
; %bb.1:
	v_mov_b32_e32 v1, 0x100
	v_lshl_add_u32 v1, v17, 2, v1
	v_mov_b32_e32 v2, -1
	ds_write_b32 v1, v2
.LBB100_2:
	s_or_b64 exec, exec, s[2:3]
	s_mul_i32 s2, s10, s9
	s_sub_i32 s2, s7, s2
	s_add_i32 s3, s10, 1
	s_sub_i32 s11, s2, s9
	s_cmp_ge_u32 s2, s9
	s_cselect_b32 s3, s3, s10
	s_cselect_b32 s2, s11, s2
	s_add_i32 s10, s3, 1
	s_cmp_ge_u32 s2, s9
	s_cselect_b32 s2, s10, s3
	s_mul_i32 s3, s2, s9
	s_lshl_b32 s9, s2, 2
	s_sub_i32 s7, s7, s3
	s_mul_hi_i32 s3, s9, s27
	s_mul_i32 s2, s9, s27
	s_lshl_b64 s[2:3], s[2:3], 2
	s_waitcnt lgkmcnt(0)
	s_add_u32 s43, s0, s2
	v_add_u32_e32 v1, s9, v17
	s_addc_u32 s44, s1, s3
	v_cmp_gt_i32_e64 s[10:11], s22, v16
	v_cmp_gt_i32_e64 s[0:1], s21, v1
	v_mov_b32_e32 v1, 0
	s_and_saveexec_b64 s[14:15], s[0:1]
	s_cbranch_execz .LBB100_10
; %bb.3:
	v_mov_b32_e32 v1, 0
	s_and_saveexec_b64 s[16:17], s[10:11]
	s_cbranch_execz .LBB100_9
; %bb.4:
	v_mul_lo_u32 v2, v17, s27
	v_ashrrev_i32_e32 v3, 31, v2
	v_lshlrev_b64 v[2:3], 2, v[2:3]
	v_mov_b32_e32 v1, s44
	v_add_co_u32_e64 v4, s[2:3], s43, v2
	v_addc_co_u32_e64 v5, s[2:3], v1, v3, s[2:3]
	v_mov_b32_e32 v1, 0x100
	v_lshl_add_u32 v6, v17, 2, v1
	v_mul_lo_u32 v2, v16, s26
	s_lshl_b32 s38, s26, 6
	s_mov_b64 s[18:19], 0
	v_mov_b32_e32 v1, 0
	v_mov_b32_e32 v7, v16
	s_branch .LBB100_6
.LBB100_5:                              ;   in Loop: Header=BB100_6 Depth=1
	s_or_b64 exec, exec, s[36:37]
	v_add_u32_e32 v7, 64, v7
	v_cmp_le_i32_e64 s[12:13], s22, v7
	s_xor_b64 s[2:3], s[2:3], -1
	s_or_b64 s[2:3], s[2:3], s[12:13]
	s_and_b64 s[2:3], exec, s[2:3]
	s_or_b64 s[18:19], s[2:3], s[18:19]
	v_add_u32_e32 v2, s38, v2
	s_andn2_b64 exec, exec, s[18:19]
	s_cbranch_execz .LBB100_8
.LBB100_6:                              ; =>This Inner Loop Header: Depth=1
	v_ashrrev_i32_e32 v3, 31, v2
	v_lshlrev_b64 v[8:9], 2, v[2:3]
	v_add_co_u32_e64 v8, s[2:3], v4, v8
	v_addc_co_u32_e64 v9, s[2:3], v5, v9, s[2:3]
	global_load_dword v3, v[8:9], off
	s_waitcnt vmcnt(0)
	v_cmp_ne_u32_e64 s[2:3], s7, v3
	v_cmp_eq_u32_e64 s[12:13], s7, v3
	s_and_saveexec_b64 s[36:37], s[12:13]
	s_cbranch_execz .LBB100_5
; %bb.7:                                ;   in Loop: Header=BB100_6 Depth=1
	v_mov_b32_e32 v1, 1
	ds_write_b32 v6, v7
	s_branch .LBB100_5
.LBB100_8:
	s_or_b64 exec, exec, s[18:19]
.LBB100_9:
	s_or_b64 exec, exec, s[16:17]
.LBB100_10:
	s_or_b64 exec, exec, s[14:15]
	s_and_saveexec_b64 s[2:3], vcc
	s_cbranch_execz .LBB100_12
; %bb.11:
	v_mov_b32_e32 v2, 0x100
	v_lshl_add_u32 v2, v17, 2, v2
	v_mov_b32_e32 v3, -1
	ds_write_b32 v2, v3 offset:4
.LBB100_12:
	s_or_b64 exec, exec, s[2:3]
	v_add_u32_e32 v88, 1, v17
	v_add_u32_e32 v2, s9, v88
	v_cmp_gt_i32_e64 s[2:3], s21, v2
	s_and_saveexec_b64 s[16:17], s[2:3]
	s_cbranch_execz .LBB100_20
; %bb.13:
	s_and_saveexec_b64 s[18:19], s[10:11]
	s_cbranch_execz .LBB100_19
; %bb.14:
	v_mul_lo_u32 v2, v88, s27
	v_ashrrev_i32_e32 v3, 31, v2
	v_lshlrev_b64 v[2:3], 2, v[2:3]
	v_mov_b32_e32 v5, s44
	v_add_co_u32_e64 v4, s[12:13], s43, v2
	v_mov_b32_e32 v2, 0x100
	v_addc_co_u32_e64 v5, s[12:13], v5, v3, s[12:13]
	v_lshl_add_u32 v6, v17, 2, v2
	v_mul_lo_u32 v2, v16, s26
	s_lshl_b32 s40, s26, 6
	s_mov_b64 s[36:37], 0
	v_mov_b32_e32 v7, v16
	s_branch .LBB100_16
.LBB100_15:                             ;   in Loop: Header=BB100_16 Depth=1
	s_or_b64 exec, exec, s[38:39]
	v_add_u32_e32 v7, 64, v7
	v_cmp_le_i32_e64 s[14:15], s22, v7
	s_xor_b64 s[12:13], s[12:13], -1
	s_or_b64 s[12:13], s[12:13], s[14:15]
	s_and_b64 s[12:13], exec, s[12:13]
	s_or_b64 s[36:37], s[12:13], s[36:37]
	v_add_u32_e32 v2, s40, v2
	s_andn2_b64 exec, exec, s[36:37]
	s_cbranch_execz .LBB100_18
.LBB100_16:                             ; =>This Inner Loop Header: Depth=1
	v_ashrrev_i32_e32 v3, 31, v2
	v_lshlrev_b64 v[8:9], 2, v[2:3]
	v_add_co_u32_e64 v8, s[12:13], v4, v8
	v_addc_co_u32_e64 v9, s[12:13], v5, v9, s[12:13]
	global_load_dword v3, v[8:9], off
	s_waitcnt vmcnt(0)
	v_cmp_ne_u32_e64 s[12:13], s7, v3
	v_cmp_eq_u32_e64 s[14:15], s7, v3
	s_and_saveexec_b64 s[38:39], s[14:15]
	s_cbranch_execz .LBB100_15
; %bb.17:                               ;   in Loop: Header=BB100_16 Depth=1
	v_mov_b32_e32 v1, 1
	ds_write_b32 v6, v7 offset:4
	s_branch .LBB100_15
.LBB100_18:
	s_or_b64 exec, exec, s[36:37]
.LBB100_19:
	s_or_b64 exec, exec, s[18:19]
.LBB100_20:
	s_or_b64 exec, exec, s[16:17]
	s_sub_i32 s45, 0, s33
	s_and_saveexec_b64 s[12:13], vcc
	s_cbranch_execz .LBB100_22
; %bb.21:
	v_mov_b32_e32 v2, 0x100
	v_lshl_add_u32 v2, v17, 2, v2
	v_mov_b32_e32 v3, -1
	ds_write_b32 v2, v3 offset:8
.LBB100_22:
	s_or_b64 exec, exec, s[12:13]
	v_add_u32_e32 v89, 2, v17
	v_add_u32_e32 v2, s9, v89
	s_mul_i32 s45, s45, s42
	v_cmp_gt_i32_e64 s[12:13], s21, v2
	s_and_saveexec_b64 s[18:19], s[12:13]
	s_cbranch_execz .LBB100_30
; %bb.23:
	s_and_saveexec_b64 s[36:37], s[10:11]
	s_cbranch_execz .LBB100_29
; %bb.24:
	v_mul_lo_u32 v2, v89, s27
	v_ashrrev_i32_e32 v3, 31, v2
	v_lshlrev_b64 v[2:3], 2, v[2:3]
	v_mov_b32_e32 v5, s44
	v_add_co_u32_e64 v4, s[14:15], s43, v2
	v_mov_b32_e32 v2, 0x100
	v_addc_co_u32_e64 v5, s[14:15], v5, v3, s[14:15]
	v_lshl_add_u32 v6, v17, 2, v2
	v_mul_lo_u32 v2, v16, s26
	s_lshl_b32 s46, s26, 6
	s_mov_b64 s[38:39], 0
	v_mov_b32_e32 v7, v16
	s_branch .LBB100_26
.LBB100_25:                             ;   in Loop: Header=BB100_26 Depth=1
	s_or_b64 exec, exec, s[40:41]
	v_add_u32_e32 v7, 64, v7
	v_cmp_le_i32_e64 s[16:17], s22, v7
	s_xor_b64 s[14:15], s[14:15], -1
	s_or_b64 s[14:15], s[14:15], s[16:17]
	s_and_b64 s[14:15], exec, s[14:15]
	s_or_b64 s[38:39], s[14:15], s[38:39]
	v_add_u32_e32 v2, s46, v2
	s_andn2_b64 exec, exec, s[38:39]
	s_cbranch_execz .LBB100_28
.LBB100_26:                             ; =>This Inner Loop Header: Depth=1
	v_ashrrev_i32_e32 v3, 31, v2
	v_lshlrev_b64 v[8:9], 2, v[2:3]
	v_add_co_u32_e64 v8, s[14:15], v4, v8
	v_addc_co_u32_e64 v9, s[14:15], v5, v9, s[14:15]
	global_load_dword v3, v[8:9], off
	s_waitcnt vmcnt(0)
	v_cmp_ne_u32_e64 s[14:15], s7, v3
	v_cmp_eq_u32_e64 s[16:17], s7, v3
	s_and_saveexec_b64 s[40:41], s[16:17]
	s_cbranch_execz .LBB100_25
; %bb.27:                               ;   in Loop: Header=BB100_26 Depth=1
	v_mov_b32_e32 v1, 1
	ds_write_b32 v6, v7 offset:8
	s_branch .LBB100_25
.LBB100_28:
	s_or_b64 exec, exec, s[38:39]
.LBB100_29:
	s_or_b64 exec, exec, s[36:37]
.LBB100_30:
	s_or_b64 exec, exec, s[18:19]
	s_mul_hi_u32 s17, s42, s45
	s_and_saveexec_b64 s[14:15], vcc
	s_cbranch_execz .LBB100_32
; %bb.31:
	v_mov_b32_e32 v2, 0x100
	v_lshl_add_u32 v2, v17, 2, v2
	v_mov_b32_e32 v3, -1
	ds_write_b32 v2, v3 offset:12
.LBB100_32:
	s_or_b64 exec, exec, s[14:15]
	s_load_dwordx4 s[48:51], s[4:5], 0x54
	v_add_u32_e32 v90, 3, v17
	v_add_u32_e32 v2, s9, v90
	s_abs_i32 s16, s8
	s_add_i32 s42, s42, s17
	v_cmp_gt_i32_e64 s[14:15], s21, v2
	s_and_saveexec_b64 s[36:37], s[14:15]
	s_cbranch_execz .LBB100_40
; %bb.33:
	s_and_saveexec_b64 s[38:39], s[10:11]
	s_cbranch_execz .LBB100_39
; %bb.34:
	v_mul_lo_u32 v2, v90, s27
	v_ashrrev_i32_e32 v3, 31, v2
	v_lshlrev_b64 v[2:3], 2, v[2:3]
	v_mov_b32_e32 v5, s44
	v_add_co_u32_e32 v4, vcc, s43, v2
	v_mov_b32_e32 v2, 0x100
	v_addc_co_u32_e32 v5, vcc, v5, v3, vcc
	v_lshl_add_u32 v6, v17, 2, v2
	v_mul_lo_u32 v2, v16, s26
	s_lshl_b32 s17, s26, 6
	s_mov_b64 s[26:27], 0
	v_mov_b32_e32 v7, v16
	s_branch .LBB100_36
.LBB100_35:                             ;   in Loop: Header=BB100_36 Depth=1
	s_or_b64 exec, exec, s[40:41]
	v_add_u32_e32 v7, 64, v7
	v_cmp_le_i32_e64 s[10:11], s22, v7
	s_xor_b64 s[18:19], vcc, -1
	s_or_b64 s[10:11], s[18:19], s[10:11]
	s_and_b64 s[10:11], exec, s[10:11]
	s_or_b64 s[26:27], s[10:11], s[26:27]
	v_add_u32_e32 v2, s17, v2
	s_andn2_b64 exec, exec, s[26:27]
	s_cbranch_execz .LBB100_38
.LBB100_36:                             ; =>This Inner Loop Header: Depth=1
	v_ashrrev_i32_e32 v3, 31, v2
	v_lshlrev_b64 v[8:9], 2, v[2:3]
	v_add_co_u32_e32 v8, vcc, v4, v8
	v_addc_co_u32_e32 v9, vcc, v5, v9, vcc
	global_load_dword v3, v[8:9], off
	s_waitcnt vmcnt(0)
	v_cmp_ne_u32_e32 vcc, s7, v3
	v_cmp_eq_u32_e64 s[10:11], s7, v3
	s_and_saveexec_b64 s[40:41], s[10:11]
	s_cbranch_execz .LBB100_35
; %bb.37:                               ;   in Loop: Header=BB100_36 Depth=1
	v_mov_b32_e32 v1, 1
	ds_write_b32 v6, v7 offset:12
	s_branch .LBB100_35
.LBB100_38:
	s_or_b64 exec, exec, s[26:27]
.LBB100_39:
	s_or_b64 exec, exec, s[38:39]
.LBB100_40:
	s_or_b64 exec, exec, s[36:37]
	s_load_dwordx2 s[18:19], s[34:35], 0xc
	s_load_dwordx4 s[36:39], s[4:5], 0x0
	s_load_dwordx2 s[40:41], s[4:5], 0x18
	v_cmp_ne_u32_e32 vcc, 0, v1
	v_cndmask_b32_e64 v1, 0, 1, vcc
	s_waitcnt lgkmcnt(0)
	s_lshr_b32 s5, s18, 16
	s_and_b32 s4, s18, 0xffff
	v_or_b32_dpp v1, v1, v1 row_shl:1 row_mask:0xf bank_mask:0xf bound_ctrl:1
	s_mul_i32 s17, s5, s4
	s_and_b32 s11, s19, 0xffff
	v_or_b32_dpp v1, v1, v1 row_shl:2 row_mask:0xf bank_mask:0xf bound_ctrl:1
	s_bfe_i32 s17, s17, 0x180000
	s_mul_i32 s11, s17, s11
	v_or_b32_dpp v1, v1, v1 row_shl:4 row_mask:0xf bank_mask:0xf bound_ctrl:1
	s_add_i32 s17, s11, 63
	s_bitcmp1_b32 exec_hi, 0
	v_or_b32_dpp v1, v1, v1 row_shl:8 row_mask:0xf bank_mask:0xf bound_ctrl:1
	s_mul_hi_u32 s10, s16, s42
	s_nop 0
	v_mov_b32_dpp v2, v1 wave_shl:1 row_mask:0xf bank_mask:0xf bound_ctrl:1
	s_nop 1
	v_or_b32_dpp v1, v2, v1 row_mirror row_mask:0xf bank_mask:0xf bound_ctrl:1
	v_readlane_b32 s11, v1, 32
	s_cselect_b32 s11, s11, 0
	v_readlane_b32 s18, v1, 0
	s_or_b32 s11, s11, s18
	s_andn2_b32 s17, s17, 63
	s_cmp_lg_u32 s17, 64
	v_mov_b32_e32 v1, s11
	s_cbranch_scc0 .LBB100_47
; %bb.41:
	v_bfe_u32 v0, v0, 20, 10
	v_mbcnt_lo_u32_b32 v1, -1, 0
	v_mad_u32_u24 v0, v0, s5, v17
	v_mbcnt_hi_u32_b32 v2, -1, v1
	v_mad_u64_u32 v[0:1], s[4:5], v0, s4, v[16:17]
	v_lshrrev_b32_e32 v1, 6, v0
	v_or_b32_e32 v1, v2, v1
	v_cmp_eq_u32_e32 vcc, 0, v1
	s_and_saveexec_b64 s[4:5], vcc
	s_cbranch_execz .LBB100_43
; %bb.42:
	v_mov_b32_e32 v1, 0
	v_mov_b32_e32 v3, s11
	ds_write_b32 v1, v3
.LBB100_43:
	s_or_b64 exec, exec, s[4:5]
	v_cmp_eq_u32_e32 vcc, 0, v2
	v_cmp_lt_u32_e64 s[4:5], 63, v0
	s_and_b64 s[18:19], s[4:5], vcc
	s_waitcnt lgkmcnt(0)
	; wave barrier
	s_waitcnt lgkmcnt(0)
	s_and_saveexec_b64 s[4:5], s[18:19]
	s_cbranch_execz .LBB100_46
; %bb.44:
	v_mbcnt_lo_u32_b32 v0, exec_lo, 0
	v_mbcnt_hi_u32_b32 v0, exec_hi, v0
	v_cmp_eq_u32_e32 vcc, 0, v0
	s_and_b64 exec, exec, vcc
	s_cbranch_execz .LBB100_46
; %bb.45:
	v_mov_b32_e32 v0, 0
	v_mov_b32_e32 v1, s11
	ds_or_b32 v0, v1
.LBB100_46:
	s_or_b64 exec, exec, s[4:5]
	v_mov_b32_e32 v0, 0
	s_waitcnt lgkmcnt(0)
	; wave barrier
	s_waitcnt lgkmcnt(0)
	ds_read_b32 v1, v0
	s_waitcnt lgkmcnt(0)
	; wave barrier
	s_waitcnt lgkmcnt(0)
.LBB100_47:
	v_cmp_ne_u32_e32 vcc, 0, v1
	s_ashr_i32 s11, s8, 31
	s_ashr_i32 s17, s31, 31
	s_cbranch_vccz .LBB100_82
; %bb.48:
	v_lshlrev_b32_e32 v91, 6, v17
	v_add_u32_e32 v92, v91, v16
	v_cmp_le_i32_e32 vcc, s20, v92
	v_and_b32_e32 v0, 15, v16
                                        ; implicit-def: $sgpr18
                                        ; implicit-def: $vgpr93
	s_and_saveexec_b64 s[4:5], vcc
	s_xor_b64 s[4:5], exec, s[4:5]
; %bb.49:
	v_mul_u32_u24_e32 v93, 0x108, v0
	s_mov_b32 s18, 0
                                        ; implicit-def: $vgpr92
                                        ; implicit-def: $vgpr0
; %bb.50:
	s_or_saveexec_b64 s[4:5], s[4:5]
	s_lshl_b32 s19, s6, 6
	v_accvgpr_write_b32 a8, s18
	v_accvgpr_write_b32 a9, s18
	;; [unrolled: 1-line block ×16, first 2 shown]
	s_xor_b64 exec, exec, s[4:5]
	s_cbranch_execz .LBB100_66
; %bb.51:
	s_xor_b32 s6, s11, s17
	s_mul_i32 s11, s10, s33
	s_sub_i32 s11, s16, s11
	s_add_i32 s16, s10, 1
	s_sub_i32 s17, s11, s33
	s_cmp_ge_u32 s11, s33
	s_cselect_b32 s10, s16, s10
	s_cselect_b32 s11, s17, s11
	s_add_i32 s16, s10, 1
	s_cmp_ge_u32 s11, s33
	s_cselect_b32 s10, s16, s10
	s_xor_b32 s10, s10, s6
	s_sub_i32 s6, s10, s6
                                        ; implicit-def: $vgpr105 : SGPR spill to VGPR lane
	s_mul_hi_i32 s11, s6, s48
	s_mul_i32 s10, s6, s48
	s_mul_i32 s6, s7, s28
	v_writelane_b32 v105, s40, 0
	s_ashr_i32 s7, s6, 31
	s_lshl_b64 s[10:11], s[10:11], 2
	v_writelane_b32 v105, s41, 1
	s_add_u32 s17, s36, s10
	v_writelane_b32 v105, s19, 2
	s_mul_i32 s16, s19, s23
	s_addc_u32 s22, s37, s11
	s_lshl_b64 s[18:19], s[6:7], 2
	s_add_u32 s6, s17, s18
	s_addc_u32 s7, s22, s19
	s_ashr_i32 s17, s16, 31
	s_lshl_b64 s[42:43], s[16:17], 2
	s_add_u32 s28, s6, s42
	s_movk_i32 s6, 0x1080
	v_mov_b32_e32 v94, 0x100
	s_addc_u32 s22, s7, s43
	v_mad_u32_u24 v1, v17, s6, v94
	s_mul_hi_i32 s7, s49, s8
	v_writelane_b32 v105, s48, 3
	s_mul_i32 s6, s49, s8
	s_mul_hi_i32 s17, s24, s9
	s_mul_i32 s16, s24, s9
	s_lshl_b64 s[16:17], s[16:17], 3
	s_lshl_b64 s[6:7], s[6:7], 2
	s_add_u32 s6, s38, s6
	s_addc_u32 s7, s39, s7
	s_add_u32 s31, s6, s16
	s_addc_u32 s33, s7, s17
	s_cmp_lt_i32 s9, s21
	s_cselect_b64 s[6:7], -1, 0
	s_or_b32 s16, s9, 1
	s_cmp_lt_i32 s16, s21
	s_cselect_b64 s[16:17], -1, 0
	s_or_b32 s26, s9, 2
	s_cmp_lt_i32 s26, s21
	s_cselect_b64 s[26:27], -1, 0
	s_lshl_b32 s40, s24, 2
	s_or_b32 s34, s9, 3
	s_cmp_lt_i32 s34, s21
	s_cselect_b64 s[34:35], -1, 0
	s_ashr_i32 s39, s23, 31
	s_mov_b32 s38, s23
	s_lshl_b64 s[38:39], s[38:39], 2
	s_add_u32 s10, s10, s42
	s_addc_u32 s11, s11, s43
	v_mul_u32_u24_e32 v93, 0x108, v0
	v_lshrrev_b32_e32 v0, 1, v16
	s_add_u32 s10, s10, s18
	v_and_b32_e32 v0, 0x1f8, v0
	s_addc_u32 s11, s11, s19
	v_add3_u32 v96, v1, v93, v0
	v_lshlrev_b32_e32 v0, 1, v16
	s_add_u32 s10, s36, s10
	v_writelane_b32 v105, s49, 4
	v_lshl_add_u32 v97, v17, 7, v0
	v_lshlrev_b32_e32 v0, 2, v92
	s_addc_u32 s11, s37, s11
	v_writelane_b32 v105, s50, 5
	v_lshl_add_u32 v95, v16, 2, v1
	v_mov_b32_e32 v1, s11
	v_add_co_u32_e32 v18, vcc, s10, v0
	v_writelane_b32 v105, s51, 6
	v_addc_co_u32_e32 v19, vcc, 0, v1, vcc
	s_mul_i32 s21, s24, 6
	s_lshl_b32 s24, s24, 1
	s_lshl_b32 s36, s23, 1
	s_mul_i32 s37, s23, 3
	s_lshl_b32 s41, s23, 2
	s_mul_i32 s42, s23, 5
	s_mul_i32 s43, s23, 6
	;; [unrolled: 1-line block ×3, first 2 shown]
	s_lshl_b32 s45, s23, 3
	s_mul_i32 s46, s23, 9
	s_mul_i32 s47, s23, 10
	;; [unrolled: 1-line block ×7, first 2 shown]
	s_lshl_b32 s53, s23, 4
	s_mul_i32 s54, s23, 17
	s_mul_i32 s55, s23, 18
	;; [unrolled: 1-line block ×15, first 2 shown]
	s_lshl_b32 s69, s23, 5
	s_mul_i32 s70, s23, 33
	s_mul_i32 s71, s23, 34
	;; [unrolled: 1-line block ×11, first 2 shown]
	v_mov_b32_e32 v98, s22
	s_mul_i32 s81, s23, 44
	v_mov_b32_e32 v99, 0
	v_accvgpr_write_b32 a15, 0
	v_accvgpr_write_b32 a14, 0
	v_accvgpr_write_b32 a13, 0
	v_accvgpr_write_b32 a12, 0
	v_accvgpr_write_b32 a7, 0
	v_accvgpr_write_b32 a6, 0
	v_accvgpr_write_b32 a5, 0
	v_accvgpr_write_b32 a4, 0
	v_accvgpr_write_b32 a3, 0
	v_accvgpr_write_b32 a2, 0
	v_accvgpr_write_b32 a1, 0
	v_accvgpr_write_b32 a0, 0
	v_accvgpr_write_b32 a11, 0
	v_accvgpr_write_b32 a10, 0
	v_accvgpr_write_b32 a9, 0
	v_accvgpr_write_b32 a8, 0
	v_mov_b32_e32 v100, s39
	s_mul_i32 s39, s23, 45
	s_mul_i32 s82, s23, 46
	s_mul_i32 s83, s23, 47
	s_mul_i32 s84, s23, 48
	s_mul_i32 s85, s23, 49
	s_mul_i32 s86, s23, 50
	s_mul_i32 s87, s23, 51
	s_mul_i32 s88, s23, 52
	s_mul_i32 s89, s23, 53
	s_mul_i32 s90, s23, 54
	s_mul_i32 s91, s23, 55
	s_mul_i32 s92, s23, 56
	s_mul_i32 s93, s23, 57
	s_mul_i32 s94, s23, 58
	s_mul_i32 s95, s23, 59
	s_mul_i32 s10, s23, 60
	s_mul_i32 s11, s23, 61
	s_mul_i32 s18, s23, 62
	s_mul_i32 s19, s23, 63
	s_mov_b64 s[22:23], 0
	s_branch .LBB100_53
.LBB100_52:                             ;   in Loop: Header=BB100_53 Depth=1
	s_waitcnt vmcnt(0)
	v_cvt_f16_f32_e32 v84, v84
	v_cvt_f16_f32_e32 v85, v85
	v_add_u32_e32 v86, 0x200, v95
	v_add_u32_e32 v87, 0x400, v95
	v_accvgpr_write_b32 a0, v0
	v_pack_b32_f16 v84, v84, v85
	ds_write2_b32 v86, v84, v99 offset0:86 offset1:152
	ds_write2_b32 v87, v99, v99 offset0:90 offset1:156
	v_add_u32_e32 v84, 0x600, v95
	ds_write2_b32 v84, v99, v99 offset0:94 offset1:160
	v_add_u32_e32 v84, 0x800, v95
	;; [unrolled: 2-line block ×4, first 2 shown]
	ds_write2_b32 v84, v99, v99 offset0:106 offset1:172
	ds_write_b32 v95, v99 offset:4024
	ds_read2_b64 v[84:87], v96 offset0:8 offset1:12
	v_accvgpr_write_b32 a4, v4
	v_accvgpr_write_b32 a8, v8
	;; [unrolled: 1-line block ×15, first 2 shown]
	s_waitcnt lgkmcnt(0)
	v_mfma_f32_16x16x16f16 a[0:3], v[38:39], v[84:85], a[0:3]
	ds_read2_b64 v[0:3], v96 offset0:16 offset1:20
	v_add_co_u32_e32 v18, vcc, 0x100, v18
	v_add_u32_e32 v92, 64, v92
	v_addc_co_u32_e32 v19, vcc, 0, v19, vcc
	v_cmp_le_i32_e32 vcc, s20, v92
	v_mfma_f32_16x16x16f16 a[4:7], v[52:53], v[84:85], a[4:7]
	v_add_u32_e32 v97, 0x80, v97
	s_or_b64 s[22:23], vcc, s[22:23]
	v_mfma_f32_16x16x16f16 a[8:11], v[66:67], v[84:85], a[8:11]
	v_mfma_f32_16x16x16f16 a[12:15], v[82:83], v[84:85], a[12:15]
	;; [unrolled: 1-line block ×6, first 2 shown]
	s_waitcnt lgkmcnt(0)
	v_mfma_f32_16x16x16f16 a[0:3], v[30:31], v[0:1], a[0:3]
	v_mfma_f32_16x16x16f16 a[4:7], v[46:47], v[0:1], a[4:7]
	;; [unrolled: 1-line block ×8, first 2 shown]
	ds_read2_b64 v[0:3], v96 offset0:24 offset1:28
	s_waitcnt lgkmcnt(0)
	v_mfma_f32_16x16x16f16 a[0:3], v[26:27], v[0:1], a[0:3]
	v_mfma_f32_16x16x16f16 a[4:7], v[42:43], v[0:1], a[4:7]
	;; [unrolled: 1-line block ×8, first 2 shown]
	ds_read2_b64 v[0:3], v96 offset0:32 offset1:36
	s_waitcnt lgkmcnt(0)
	v_mfma_f32_16x16x16f16 a[0:3], v[22:23], v[0:1], a[0:3]
	v_mfma_f32_16x16x16f16 a[4:7], v[36:37], v[0:1], a[4:7]
	v_mfma_f32_16x16x16f16 a[8:11], v[54:55], v[0:1], a[8:11]
	v_mfma_f32_16x16x16f16 a[16:19], v[70:71], v[0:1], a[12:15]
	v_mfma_f32_16x16x16f16 a[12:15], v[20:21], v[2:3], a[0:3]
	v_mfma_f32_16x16x16f16 a[4:7], v[34:35], v[2:3], a[4:7]
	v_mfma_f32_16x16x16f16 a[0:3], v[48:49], v[2:3], a[8:11]
	v_mfma_f32_16x16x16f16 a[8:11], v[68:69], v[2:3], a[16:19]
	s_andn2_b64 exec, exec, s[22:23]
	s_cbranch_execz .LBB100_65
.LBB100_53:                             ; =>This Inner Loop Header: Depth=1
	v_add_co_u32_e32 v0, vcc, s38, v18
	v_addc_co_u32_e32 v1, vcc, v19, v100, vcc
	global_load_dword v24, v[18:19], off
	global_load_dword v25, v[0:1], off
	v_add_u32_e32 v0, s36, v92
	v_ashrrev_i32_e32 v1, 31, v0
	v_lshlrev_b64 v[0:1], 2, v[0:1]
	v_add_u32_e32 v2, s37, v92
	v_add_co_u32_e32 v0, vcc, s28, v0
	v_ashrrev_i32_e32 v3, 31, v2
	v_addc_co_u32_e32 v1, vcc, v98, v1, vcc
	v_lshlrev_b64 v[2:3], 2, v[2:3]
	v_add_u32_e32 v4, s41, v92
	v_add_co_u32_e32 v2, vcc, s28, v2
	v_ashrrev_i32_e32 v5, 31, v4
	v_addc_co_u32_e32 v3, vcc, v98, v3, vcc
	;; [unrolled: 5-line block ×5, first 2 shown]
	v_lshlrev_b64 v[10:11], 2, v[10:11]
	v_add_co_u32_e32 v10, vcc, s28, v10
	v_addc_co_u32_e32 v11, vcc, v98, v11, vcc
	global_load_dword v26, v[0:1], off
	global_load_dword v27, v[2:3], off
	;; [unrolled: 1-line block ×6, first 2 shown]
	v_add_u32_e32 v20, s45, v92
	v_ashrrev_i32_e32 v21, 31, v20
	v_add_u32_e32 v22, s46, v92
	v_lshlrev_b64 v[20:21], 2, v[20:21]
	v_ashrrev_i32_e32 v23, 31, v22
	v_add_co_u32_e32 v20, vcc, s28, v20
	v_lshlrev_b64 v[22:23], 2, v[22:23]
	v_addc_co_u32_e32 v21, vcc, v98, v21, vcc
	v_add_co_u32_e32 v22, vcc, s28, v22
	v_addc_co_u32_e32 v23, vcc, v98, v23, vcc
	v_add_u32_e32 v32, s52, v92
	v_ashrrev_i32_e32 v33, 31, v32
	v_lshlrev_b64 v[32:33], 2, v[32:33]
	v_add_u32_e32 v34, s53, v92
	v_ashrrev_i32_e32 v35, 31, v34
	v_lshlrev_b64 v[34:35], 2, v[34:35]
	;; [unrolled: 3-line block ×4, first 2 shown]
	v_accvgpr_read_b32 v3, a15
	v_accvgpr_read_b32 v2, a14
	;; [unrolled: 1-line block ×6, first 2 shown]
	s_waitcnt vmcnt(7)
	ds_write_b32 v95, v24 offset:64
	s_waitcnt vmcnt(6)
	ds_write_b32 v95, v25 offset:328
	global_load_dword v20, v[20:21], off
	s_nop 0
	global_load_dword v21, v[22:23], off
	v_add_u32_e32 v22, s47, v92
	v_ashrrev_i32_e32 v23, 31, v22
	v_lshlrev_b64 v[22:23], 2, v[22:23]
	v_add_u32_e32 v24, s48, v92
	v_add_co_u32_e32 v22, vcc, s28, v22
	v_ashrrev_i32_e32 v25, 31, v24
	v_addc_co_u32_e32 v23, vcc, v98, v23, vcc
	v_lshlrev_b64 v[24:25], 2, v[24:25]
	s_waitcnt vmcnt(7)
	ds_write_b32 v95, v26 offset:592
	s_waitcnt vmcnt(6)
	ds_write_b32 v95, v27 offset:856
	;; [unrolled: 2-line block ×6, first 2 shown]
	v_add_u32_e32 v26, s49, v92
	v_add_co_u32_e32 v24, vcc, s28, v24
	v_ashrrev_i32_e32 v27, 31, v26
	v_addc_co_u32_e32 v25, vcc, v98, v25, vcc
	v_lshlrev_b64 v[26:27], 2, v[26:27]
	v_add_u32_e32 v28, s50, v92
	v_add_co_u32_e32 v26, vcc, s28, v26
	v_ashrrev_i32_e32 v29, 31, v28
	v_addc_co_u32_e32 v27, vcc, v98, v27, vcc
	v_lshlrev_b64 v[28:29], 2, v[28:29]
	;; [unrolled: 5-line block ×3, first 2 shown]
	v_add_co_u32_e32 v30, vcc, s28, v30
	v_addc_co_u32_e32 v31, vcc, v98, v31, vcc
	v_add_co_u32_e32 v32, vcc, s28, v32
	v_addc_co_u32_e32 v33, vcc, v98, v33, vcc
	;; [unrolled: 2-line block ×4, first 2 shown]
	global_load_dword v22, v[22:23], off
	s_nop 0
	global_load_dword v23, v[24:25], off
	s_nop 0
	global_load_dword v24, v[26:27], off
	global_load_dword v25, v[28:29], off
	s_nop 0
	global_load_dword v26, v[30:31], off
	;; [unrolled: 3-line block ×3, first 2 shown]
	s_nop 0
	global_load_dword v35, v[36:37], off
	v_add_u32_e32 v28, s55, v92
	v_ashrrev_i32_e32 v29, 31, v28
	v_lshlrev_b64 v[28:29], 2, v[28:29]
	v_add_u32_e32 v30, s56, v92
	v_add_co_u32_e32 v28, vcc, s28, v28
	v_ashrrev_i32_e32 v31, 31, v30
	v_addc_co_u32_e32 v29, vcc, v98, v29, vcc
	v_lshlrev_b64 v[30:31], 2, v[30:31]
	v_add_u32_e32 v32, s57, v92
	v_add_co_u32_e32 v30, vcc, s28, v30
	v_ashrrev_i32_e32 v33, 31, v32
	v_addc_co_u32_e32 v31, vcc, v98, v31, vcc
	;; [unrolled: 5-line block ×3, first 2 shown]
	v_lshlrev_b64 v[36:37], 2, v[36:37]
	v_add_co_u32_e32 v38, vcc, s28, v36
	v_add_u32_e32 v36, s59, v92
	v_addc_co_u32_e32 v39, vcc, v98, v37, vcc
	v_ashrrev_i32_e32 v37, 31, v36
	v_lshlrev_b64 v[36:37], 2, v[36:37]
	v_add_co_u32_e32 v42, vcc, s28, v36
	v_add_u32_e32 v36, s60, v92
	v_addc_co_u32_e32 v43, vcc, v98, v37, vcc
	v_ashrrev_i32_e32 v37, 31, v36
	;; [unrolled: 5-line block ×4, first 2 shown]
	v_lshlrev_b64 v[36:37], 2, v[36:37]
	v_add_co_u32_e32 v48, vcc, s28, v36
	v_addc_co_u32_e32 v49, vcc, v98, v37, vcc
	global_load_dword v36, v[28:29], off
	global_load_dword v37, v[30:31], off
	;; [unrolled: 1-line block ×4, first 2 shown]
	s_nop 0
	global_load_dword v42, v[42:43], off
	s_nop 0
	global_load_dword v43, v[44:45], off
	;; [unrolled: 2-line block ×3, first 2 shown]
	global_load_dword v45, v[48:49], off
	v_add_u32_e32 v28, s63, v92
	v_ashrrev_i32_e32 v29, 31, v28
	v_lshlrev_b64 v[28:29], 2, v[28:29]
	v_add_u32_e32 v30, s64, v92
	v_add_co_u32_e32 v28, vcc, s28, v28
	v_ashrrev_i32_e32 v31, 31, v30
	v_addc_co_u32_e32 v29, vcc, v98, v29, vcc
	v_lshlrev_b64 v[30:31], 2, v[30:31]
	v_add_u32_e32 v32, s65, v92
	v_add_co_u32_e32 v30, vcc, s28, v30
	v_ashrrev_i32_e32 v33, 31, v32
	v_addc_co_u32_e32 v31, vcc, v98, v31, vcc
	;; [unrolled: 5-line block ×4, first 2 shown]
	v_lshlrev_b64 v[46:47], 2, v[46:47]
	v_add_co_u32_e32 v48, vcc, s28, v46
	v_add_u32_e32 v46, s68, v92
	v_addc_co_u32_e32 v49, vcc, v98, v47, vcc
	v_ashrrev_i32_e32 v47, 31, v46
	v_lshlrev_b64 v[46:47], 2, v[46:47]
	v_add_co_u32_e32 v54, vcc, s28, v46
	v_add_u32_e32 v46, s69, v92
	v_addc_co_u32_e32 v55, vcc, v98, v47, vcc
	v_ashrrev_i32_e32 v47, 31, v46
	;; [unrolled: 5-line block ×3, first 2 shown]
	v_lshlrev_b64 v[46:47], 2, v[46:47]
	v_add_co_u32_e32 v58, vcc, s28, v46
	v_addc_co_u32_e32 v59, vcc, v98, v47, vcc
	global_load_dword v46, v[28:29], off
	global_load_dword v47, v[30:31], off
	;; [unrolled: 1-line block ×6, first 2 shown]
	s_nop 0
	global_load_dword v48, v[56:57], off
	global_load_dword v49, v[58:59], off
	v_add_u32_e32 v28, s71, v92
	v_ashrrev_i32_e32 v29, 31, v28
	v_lshlrev_b64 v[28:29], 2, v[28:29]
	v_add_u32_e32 v30, s72, v92
	v_add_co_u32_e32 v28, vcc, s28, v28
	v_ashrrev_i32_e32 v31, 31, v30
	v_addc_co_u32_e32 v29, vcc, v98, v29, vcc
	v_lshlrev_b64 v[30:31], 2, v[30:31]
	v_add_u32_e32 v32, s73, v92
	v_add_co_u32_e32 v30, vcc, s28, v30
	v_ashrrev_i32_e32 v33, 31, v32
	v_addc_co_u32_e32 v31, vcc, v98, v31, vcc
	;; [unrolled: 5-line block ×6, first 2 shown]
	v_lshlrev_b64 v[58:59], 2, v[58:59]
	v_add_co_u32_e32 v58, vcc, s28, v58
	v_addc_co_u32_e32 v59, vcc, v98, v59, vcc
	v_add_co_u32_e32 v60, vcc, s28, v60
	v_addc_co_u32_e32 v61, vcc, v98, v61, vcc
	global_load_dword v62, v[28:29], off
	global_load_dword v63, v[30:31], off
	;; [unrolled: 1-line block ×8, first 2 shown]
	v_add_u32_e32 v28, s79, v92
	v_ashrrev_i32_e32 v29, 31, v28
	v_lshlrev_b64 v[28:29], 2, v[28:29]
	v_add_u32_e32 v30, s80, v92
	v_add_co_u32_e32 v28, vcc, s28, v28
	v_ashrrev_i32_e32 v31, 31, v30
	v_addc_co_u32_e32 v29, vcc, v98, v29, vcc
	v_lshlrev_b64 v[30:31], 2, v[30:31]
	v_add_u32_e32 v32, s81, v92
	v_add_co_u32_e32 v30, vcc, s28, v30
	v_ashrrev_i32_e32 v33, 31, v32
	v_addc_co_u32_e32 v31, vcc, v98, v31, vcc
	;; [unrolled: 5-line block ×7, first 2 shown]
	v_lshlrev_b64 v[60:61], 2, v[60:61]
	v_add_co_u32_e32 v60, vcc, s28, v60
	v_addc_co_u32_e32 v61, vcc, v98, v61, vcc
	global_load_dword v70, v[28:29], off
	global_load_dword v71, v[30:31], off
	;; [unrolled: 1-line block ×8, first 2 shown]
	v_add_u32_e32 v28, s86, v92
	v_ashrrev_i32_e32 v29, 31, v28
	v_lshlrev_b64 v[28:29], 2, v[28:29]
	v_add_u32_e32 v30, s87, v92
	v_add_co_u32_e32 v28, vcc, s28, v28
	v_ashrrev_i32_e32 v31, 31, v30
	v_addc_co_u32_e32 v29, vcc, v98, v29, vcc
	v_lshlrev_b64 v[30:31], 2, v[30:31]
	v_add_u32_e32 v32, s88, v92
	v_add_co_u32_e32 v30, vcc, s28, v30
	v_ashrrev_i32_e32 v33, 31, v32
	v_addc_co_u32_e32 v31, vcc, v98, v31, vcc
	;; [unrolled: 5-line block ×7, first 2 shown]
	v_lshlrev_b64 v[60:61], 2, v[60:61]
	v_add_co_u32_e32 v60, vcc, s28, v60
	v_addc_co_u32_e32 v61, vcc, v98, v61, vcc
	global_load_dword v78, v[28:29], off
	global_load_dword v79, v[30:31], off
	;; [unrolled: 1-line block ×8, first 2 shown]
	v_add_u32_e32 v28, s94, v92
	v_ashrrev_i32_e32 v29, 31, v28
	v_lshlrev_b64 v[28:29], 2, v[28:29]
	v_add_u32_e32 v30, s95, v92
	v_add_co_u32_e32 v28, vcc, s28, v28
	v_ashrrev_i32_e32 v31, 31, v30
	v_addc_co_u32_e32 v29, vcc, v98, v29, vcc
	v_lshlrev_b64 v[30:31], 2, v[30:31]
	v_add_u32_e32 v32, s10, v92
	v_add_co_u32_e32 v30, vcc, s28, v30
	v_ashrrev_i32_e32 v33, 31, v32
	v_addc_co_u32_e32 v31, vcc, v98, v31, vcc
	;; [unrolled: 5-line block ×5, first 2 shown]
	v_lshlrev_b64 v[56:57], 2, v[56:57]
	v_add_co_u32_e32 v56, vcc, s28, v56
	v_addc_co_u32_e32 v57, vcc, v98, v57, vcc
	global_load_dword v86, v[28:29], off
	global_load_dword v87, v[30:31], off
	;; [unrolled: 1-line block ×6, first 2 shown]
	s_waitcnt vmcnt(55)
	ds_write_b32 v95, v20 offset:2176
	s_waitcnt vmcnt(54)
	ds_write_b32 v95, v21 offset:2440
	s_waitcnt vmcnt(53)
	ds_write_b32 v95, v22 offset:2704
	s_waitcnt vmcnt(52)
	ds_write_b32 v95, v23 offset:2968
	s_waitcnt vmcnt(51)
	ds_write_b32 v95, v24 offset:3232
	s_waitcnt vmcnt(50)
	ds_write_b32 v95, v25 offset:3496
	s_waitcnt vmcnt(49)
	ds_write_b32 v95, v26 offset:3760
	s_waitcnt vmcnt(48)
	ds_write_b32 v95, v27 offset:4024
	ds_read_b64 v[38:39], v96 offset:64
	ds_read_b64 v[32:33], v96 offset:96
	ds_read_b64 v[30:31], v96 offset:128
	ds_read_b64 v[28:29], v96 offset:160
	ds_read_b64 v[26:27], v96 offset:192
	ds_read_b64 v[24:25], v96 offset:224
	ds_read_b64 v[22:23], v96 offset:256
	ds_read_b64 v[20:21], v96 offset:288
	s_waitcnt vmcnt(47)
	ds_write_b32 v95, v34 offset:64
	s_waitcnt vmcnt(46)
	ds_write_b32 v95, v35 offset:328
	s_waitcnt vmcnt(45)
	ds_write_b32 v95, v36 offset:592
	s_waitcnt vmcnt(44)
	ds_write_b32 v95, v37 offset:856
	s_waitcnt vmcnt(43)
	ds_write_b32 v95, v40 offset:1120
	s_waitcnt vmcnt(42)
	ds_write_b32 v95, v41 offset:1384
	s_waitcnt vmcnt(41)
	ds_write_b32 v95, v42 offset:1648
	s_waitcnt vmcnt(40)
	ds_write_b32 v95, v43 offset:1912
	s_waitcnt vmcnt(39)
	ds_write_b32 v95, v44 offset:2176
	s_waitcnt vmcnt(38)
	ds_write_b32 v95, v45 offset:2440
	s_waitcnt vmcnt(37)
	ds_write_b32 v95, v46 offset:2704
	s_waitcnt vmcnt(36)
	ds_write_b32 v95, v47 offset:2968
	s_waitcnt vmcnt(35)
	ds_write_b32 v95, v50 offset:3232
	s_waitcnt vmcnt(34)
	ds_write_b32 v95, v51 offset:3496
	s_waitcnt vmcnt(33)
	ds_write_b32 v95, v52 offset:3760
	s_waitcnt vmcnt(32)
	ds_write_b32 v95, v53 offset:4024
	ds_read_b64 v[52:53], v96 offset:64
	ds_read_b64 v[50:51], v96 offset:96
	ds_read_b64 v[46:47], v96 offset:128
	ds_read_b64 v[44:45], v96 offset:160
	ds_read_b64 v[42:43], v96 offset:192
	ds_read_b64 v[40:41], v96 offset:224
	ds_read_b64 v[36:37], v96 offset:256
	ds_read_b64 v[34:35], v96 offset:288
	s_waitcnt vmcnt(31)
	ds_write_b32 v95, v48 offset:64
	s_waitcnt vmcnt(30)
	ds_write_b32 v95, v49 offset:328
	s_waitcnt vmcnt(29)
	ds_write_b32 v95, v62 offset:592
	s_waitcnt vmcnt(28)
	ds_write_b32 v95, v63 offset:856
	s_waitcnt vmcnt(27)
	ds_write_b32 v95, v64 offset:1120
	s_waitcnt vmcnt(26)
	ds_write_b32 v95, v65 offset:1384
	s_waitcnt vmcnt(25)
	ds_write_b32 v95, v66 offset:1648
	s_waitcnt vmcnt(24)
	ds_write_b32 v95, v67 offset:1912
	;; [unrolled: 40-line block ×3, first 2 shown]
	s_waitcnt vmcnt(7)
	ds_write_b32 v95, v84 offset:2176
	s_waitcnt vmcnt(6)
	ds_write_b32 v95, v85 offset:2440
	;; [unrolled: 2-line block ×8, first 2 shown]
	ds_read_b64 v[82:83], v96 offset:64
	ds_read_b64 v[80:81], v96 offset:96
	;; [unrolled: 1-line block ×8, first 2 shown]
	v_accvgpr_read_b32 v5, a5
	v_accvgpr_read_b32 v4, a4
	;; [unrolled: 1-line block ×10, first 2 shown]
	s_andn2_b64 vcc, exec, s[6:7]
	v_mov_b32_e32 v84, 0
	v_mov_b32_e32 v85, 0
	s_cbranch_vccnz .LBB100_56
; %bb.54:                               ;   in Loop: Header=BB100_53 Depth=1
	ds_read_b32 v86, v94
	v_mov_b32_e32 v85, 0
	v_mov_b32_e32 v84, 0
	s_waitcnt lgkmcnt(0)
	v_cmp_gt_i32_e32 vcc, 0, v86
	s_cbranch_vccnz .LBB100_56
; %bb.55:                               ;   in Loop: Header=BB100_53 Depth=1
	v_mul_lo_u32 v84, v86, s29
	v_add_u32_e32 v84, v97, v84
	v_ashrrev_i32_e32 v85, 31, v84
	v_lshlrev_b64 v[84:85], 2, v[84:85]
	v_mov_b32_e32 v86, s33
	v_add_co_u32_e32 v84, vcc, s31, v84
	v_addc_co_u32_e32 v85, vcc, v86, v85, vcc
	global_load_dwordx2 v[84:85], v[84:85], off
.LBB100_56:                             ;   in Loop: Header=BB100_53 Depth=1
	s_waitcnt vmcnt(0)
	v_cvt_f16_f32_e32 v84, v84
	v_cvt_f16_f32_e32 v85, v85
	s_andn2_b64 vcc, exec, s[16:17]
	v_mov_b32_e32 v86, 0
	v_mov_b32_e32 v87, 0
	v_pack_b32_f16 v84, v84, v85
	ds_write_b32 v95, v84 offset:64
	v_mov_b32_e32 v84, 0
	s_cbranch_vccnz .LBB100_59
; %bb.57:                               ;   in Loop: Header=BB100_53 Depth=1
	ds_read_b32 v85, v94 offset:4
	v_mov_b32_e32 v87, 0
	v_mov_b32_e32 v86, 0
	s_waitcnt lgkmcnt(0)
	v_cmp_gt_i32_e32 vcc, 0, v85
	s_cbranch_vccnz .LBB100_59
; %bb.58:                               ;   in Loop: Header=BB100_53 Depth=1
	v_mul_lo_u32 v85, v85, s29
	v_add_u32_e32 v85, s24, v85
	v_add_u32_e32 v86, v85, v97
	v_ashrrev_i32_e32 v87, 31, v86
	v_lshlrev_b64 v[86:87], 2, v[86:87]
	v_mov_b32_e32 v85, s33
	v_add_co_u32_e32 v86, vcc, s31, v86
	v_addc_co_u32_e32 v87, vcc, v85, v87, vcc
	global_load_dwordx2 v[86:87], v[86:87], off
.LBB100_59:                             ;   in Loop: Header=BB100_53 Depth=1
	s_waitcnt vmcnt(0)
	v_cvt_f16_f32_e32 v85, v86
	v_cvt_f16_f32_e32 v86, v87
	s_andn2_b64 vcc, exec, s[26:27]
	v_pack_b32_f16 v85, v85, v86
	ds_write_b32 v95, v85 offset:328
	v_mov_b32_e32 v85, 0
	s_cbranch_vccnz .LBB100_62
; %bb.60:                               ;   in Loop: Header=BB100_53 Depth=1
	ds_read_b32 v86, v94 offset:8
	v_mov_b32_e32 v85, 0
	v_mov_b32_e32 v84, 0
	s_waitcnt lgkmcnt(0)
	v_cmp_gt_i32_e32 vcc, 0, v86
	s_cbranch_vccnz .LBB100_62
; %bb.61:                               ;   in Loop: Header=BB100_53 Depth=1
	v_mul_lo_u32 v84, v86, s29
	v_add_u32_e32 v84, s40, v84
	v_add_u32_e32 v84, v84, v97
	v_ashrrev_i32_e32 v85, 31, v84
	v_lshlrev_b64 v[84:85], 2, v[84:85]
	v_mov_b32_e32 v86, s33
	v_add_co_u32_e32 v84, vcc, s31, v84
	v_addc_co_u32_e32 v85, vcc, v86, v85, vcc
	global_load_dwordx2 v[84:85], v[84:85], off
.LBB100_62:                             ;   in Loop: Header=BB100_53 Depth=1
	s_waitcnt vmcnt(0)
	v_cvt_f16_f32_e32 v84, v84
	v_cvt_f16_f32_e32 v85, v85
	s_andn2_b64 vcc, exec, s[34:35]
	v_pack_b32_f16 v84, v84, v85
	ds_write_b32 v95, v84 offset:592
	v_mov_b32_e32 v84, 0
	v_mov_b32_e32 v85, 0
	s_cbranch_vccnz .LBB100_52
; %bb.63:                               ;   in Loop: Header=BB100_53 Depth=1
	ds_read_b32 v86, v94 offset:12
	v_mov_b32_e32 v85, 0
	v_mov_b32_e32 v84, 0
	s_waitcnt lgkmcnt(0)
	v_cmp_gt_i32_e32 vcc, 0, v86
	s_cbranch_vccnz .LBB100_52
; %bb.64:                               ;   in Loop: Header=BB100_53 Depth=1
	v_mul_lo_u32 v84, v86, s29
	v_add_u32_e32 v84, s21, v84
	v_add_u32_e32 v84, v84, v97
	v_ashrrev_i32_e32 v85, 31, v84
	v_lshlrev_b64 v[84:85], 2, v[84:85]
	v_mov_b32_e32 v86, s33
	v_add_co_u32_e32 v84, vcc, s31, v84
	v_addc_co_u32_e32 v85, vcc, v86, v85, vcc
	global_load_dwordx2 v[84:85], v[84:85], off
	s_branch .LBB100_52
.LBB100_65:
	s_or_b64 exec, exec, s[22:23]
	v_readlane_b32 s48, v105, 3
	v_readlane_b32 s40, v105, 0
	;; [unrolled: 1-line block ×7, first 2 shown]
.LBB100_66:
	s_or_b64 exec, exec, s[4:5]
	s_movk_i32 s4, 0x100
	v_lshlrev_b32_e32 v0, 2, v91
	v_add3_u32 v0, s4, v93, v0
	v_and_b32_e32 v2, 0x3f0, v16
	v_add_u32_e32 v3, v0, v2
	ds_write2_b32 v3, a12, a13 offset0:16 offset1:17
	v_or_b32_e32 v3, 12, v16
	v_add_u32_e32 v1, 64, v0
	v_and_b32_e32 v3, 0x3fc, v3
	v_add_u32_e32 v2, v1, v2
	v_add_u32_e32 v0, v0, v3
	ds_write_b32 v2, a14 offset:8
	ds_write_b32 v0, a15 offset:64
	ds_write2_b32 v2, a4, a5 offset0:16 offset1:17
	ds_write_b32 v2, a6 offset:72
	v_add_u32_e32 v0, v1, v3
	ds_write_b32 v0, a7 offset:64
	ds_write2_b32 v2, a0, a1 offset0:32 offset1:33
	ds_write_b32 v2, a2 offset:136
	ds_write_b32 v0, a3 offset:128
	ds_write2_b32 v2, a8, a9 offset0:48 offset1:49
	ds_write_b32 v2, a10 offset:200
	ds_write_b32 v0, a11 offset:192
	v_mov_b32_e32 v0, 0x100
	v_lshl_add_u32 v1, v16, 2, v0
	s_movk_i32 s4, 0x108
	v_mad_u32_u24 v2, v17, s4, v1
	ds_read_b32 v3, v2 offset:64
	v_cmp_gt_u32_e32 vcc, 4, v17
	v_mov_b32_e32 v4, -1
	s_and_saveexec_b64 s[4:5], vcc
	s_cbranch_execz .LBB100_68
; %bb.67:
	v_lshl_add_u32 v0, v17, 2, v0
	ds_read_b32 v4, v0
.LBB100_68:
	s_or_b64 exec, exec, s[4:5]
	s_mul_hi_i32 s5, s50, s8
	s_mul_i32 s4, s50, s8
	s_lshl_b64 s[4:5], s[4:5], 2
	s_mul_hi_i32 s7, s9, s25
	s_mul_i32 s6, s9, s25
	s_add_u32 s8, s40, s4
	s_addc_u32 s9, s41, s5
	s_lshl_b64 s[4:5], s[6:7], 2
	s_add_u32 s4, s8, s4
	s_waitcnt lgkmcnt(0)
	v_cmp_lt_i32_e32 vcc, -1, v4
	v_mul_u32_u24_e32 v2, 0x108, v17
	v_add_u32_e32 v0, s19, v16
	s_addc_u32 s5, s9, s5
	s_and_b64 s[6:7], vcc, s[0:1]
	s_and_saveexec_b64 s[0:1], s[6:7]
	s_cbranch_execz .LBB100_70
; %bb.69:
	v_mul_lo_u32 v4, v4, s30
	v_mul_lo_u32 v5, v17, s25
	v_add3_u32 v4, v0, v5, v4
	v_mov_b32_e32 v5, 0
	v_lshlrev_b64 v[4:5], 2, v[4:5]
	v_mov_b32_e32 v6, s5
	v_add_co_u32_e32 v4, vcc, s4, v4
	v_add_f32_e32 v3, 0, v3
	v_addc_co_u32_e32 v5, vcc, v6, v5, vcc
	global_store_dword v[4:5], v3, off
.LBB100_70:
	s_or_b64 exec, exec, s[0:1]
	v_add_u32_e32 v1, v2, v1
	ds_read_b32 v2, v1 offset:328
	v_cmp_gt_u32_e32 vcc, 3, v17
	v_mov_b32_e32 v3, -1
	s_and_saveexec_b64 s[0:1], vcc
	s_cbranch_execz .LBB100_72
; %bb.71:
	v_mov_b32_e32 v3, 0x100
	v_lshl_add_u32 v3, v17, 2, v3
	ds_read_b32 v3, v3 offset:4
.LBB100_72:
	s_or_b64 exec, exec, s[0:1]
	s_waitcnt lgkmcnt(0)
	v_cmp_lt_i32_e32 vcc, -1, v3
	s_and_b64 s[2:3], vcc, s[2:3]
	s_and_saveexec_b64 s[0:1], s[2:3]
	s_cbranch_execz .LBB100_74
; %bb.73:
	v_add_f32_e32 v4, 0, v2
	v_mul_lo_u32 v2, v3, s30
	v_mul_lo_u32 v3, v88, s25
	v_add3_u32 v2, v0, v3, v2
	v_mov_b32_e32 v3, 0
	v_lshlrev_b64 v[2:3], 2, v[2:3]
	v_mov_b32_e32 v5, s5
	v_add_co_u32_e32 v2, vcc, s4, v2
	v_addc_co_u32_e32 v3, vcc, v5, v3, vcc
	global_store_dword v[2:3], v4, off
.LBB100_74:
	s_or_b64 exec, exec, s[0:1]
	ds_read_b32 v2, v1 offset:592
	v_cmp_gt_u32_e32 vcc, 2, v17
	v_mov_b32_e32 v3, -1
	s_and_saveexec_b64 s[0:1], vcc
	s_cbranch_execz .LBB100_76
; %bb.75:
	v_mov_b32_e32 v3, 0x100
	v_lshl_add_u32 v3, v17, 2, v3
	ds_read_b32 v3, v3 offset:8
.LBB100_76:
	s_or_b64 exec, exec, s[0:1]
	s_waitcnt lgkmcnt(0)
	v_cmp_lt_i32_e32 vcc, -1, v3
	s_and_b64 s[2:3], vcc, s[12:13]
	s_and_saveexec_b64 s[0:1], s[2:3]
	s_cbranch_execz .LBB100_78
; %bb.77:
	v_add_f32_e32 v4, 0, v2
	v_mul_lo_u32 v2, v3, s30
	v_mul_lo_u32 v3, v89, s25
	v_add3_u32 v2, v0, v3, v2
	v_mov_b32_e32 v3, 0
	v_lshlrev_b64 v[2:3], 2, v[2:3]
	v_mov_b32_e32 v5, s5
	v_add_co_u32_e32 v2, vcc, s4, v2
	v_addc_co_u32_e32 v3, vcc, v5, v3, vcc
	global_store_dword v[2:3], v4, off
.LBB100_78:
	s_or_b64 exec, exec, s[0:1]
	ds_read_b32 v1, v1 offset:856
	v_cmp_eq_u32_e32 vcc, 0, v17
	v_mov_b32_e32 v2, -1
	s_and_saveexec_b64 s[0:1], vcc
	s_cbranch_execz .LBB100_80
; %bb.79:
	v_mov_b32_e32 v2, 0x100
	ds_read_b32 v2, v2 offset:12
.LBB100_80:
	s_or_b64 exec, exec, s[0:1]
	s_waitcnt lgkmcnt(0)
	v_cmp_lt_i32_e32 vcc, -1, v2
	s_and_b64 s[0:1], vcc, s[14:15]
	s_and_saveexec_b64 s[2:3], s[0:1]
	s_cbranch_execz .LBB100_82
; %bb.81:
	v_add_f32_e32 v3, 0, v1
	v_mul_lo_u32 v1, v2, s30
	v_mul_lo_u32 v2, v90, s25
	v_add3_u32 v0, v0, v2, v1
	v_mov_b32_e32 v1, 0
	v_lshlrev_b64 v[0:1], 2, v[0:1]
	v_mov_b32_e32 v2, s5
	v_add_co_u32_e32 v0, vcc, s4, v0
	v_addc_co_u32_e32 v1, vcc, v2, v1, vcc
	global_store_dword v[0:1], v3, off
.LBB100_82:
	s_endpgm
	.section	.rodata,"a",@progbits
	.p2align	6, 0x0
	.amdhsa_kernel _ZL9mul_mat_fI7__half2Li64ELi4ELi1ELb1EEvPKT_PKfPKiPfiiiiiiiiiiiiiiii
		.amdhsa_group_segment_fixed_size 256
		.amdhsa_private_segment_fixed_size 0
		.amdhsa_kernarg_size 352
		.amdhsa_user_sgpr_count 6
		.amdhsa_user_sgpr_private_segment_buffer 1
		.amdhsa_user_sgpr_dispatch_ptr 0
		.amdhsa_user_sgpr_queue_ptr 0
		.amdhsa_user_sgpr_kernarg_segment_ptr 1
		.amdhsa_user_sgpr_dispatch_id 0
		.amdhsa_user_sgpr_flat_scratch_init 0
		.amdhsa_user_sgpr_kernarg_preload_length 0
		.amdhsa_user_sgpr_kernarg_preload_offset 0
		.amdhsa_user_sgpr_private_segment_size 0
		.amdhsa_uses_dynamic_stack 0
		.amdhsa_system_sgpr_private_segment_wavefront_offset 0
		.amdhsa_system_sgpr_workgroup_id_x 1
		.amdhsa_system_sgpr_workgroup_id_y 1
		.amdhsa_system_sgpr_workgroup_id_z 1
		.amdhsa_system_sgpr_workgroup_info 0
		.amdhsa_system_vgpr_workitem_id 2
		.amdhsa_next_free_vgpr 128
		.amdhsa_next_free_sgpr 96
		.amdhsa_accum_offset 108
		.amdhsa_reserve_vcc 1
		.amdhsa_reserve_flat_scratch 0
		.amdhsa_float_round_mode_32 0
		.amdhsa_float_round_mode_16_64 0
		.amdhsa_float_denorm_mode_32 3
		.amdhsa_float_denorm_mode_16_64 3
		.amdhsa_dx10_clamp 1
		.amdhsa_ieee_mode 1
		.amdhsa_fp16_overflow 0
		.amdhsa_tg_split 0
		.amdhsa_exception_fp_ieee_invalid_op 0
		.amdhsa_exception_fp_denorm_src 0
		.amdhsa_exception_fp_ieee_div_zero 0
		.amdhsa_exception_fp_ieee_overflow 0
		.amdhsa_exception_fp_ieee_underflow 0
		.amdhsa_exception_fp_ieee_inexact 0
		.amdhsa_exception_int_div_zero 0
	.end_amdhsa_kernel
	.section	.text._ZL9mul_mat_fI7__half2Li64ELi4ELi1ELb1EEvPKT_PKfPKiPfiiiiiiiiiiiiiiii,"axG",@progbits,_ZL9mul_mat_fI7__half2Li64ELi4ELi1ELb1EEvPKT_PKfPKiPfiiiiiiiiiiiiiiii,comdat
.Lfunc_end100:
	.size	_ZL9mul_mat_fI7__half2Li64ELi4ELi1ELb1EEvPKT_PKfPKiPfiiiiiiiiiiiiiiii, .Lfunc_end100-_ZL9mul_mat_fI7__half2Li64ELi4ELi1ELb1EEvPKT_PKfPKiPfiiiiiiiiiiiiiiii
                                        ; -- End function
	.section	.AMDGPU.csdata,"",@progbits
; Kernel info:
; codeLenInByte = 7924
; NumSgprs: 100
; NumVgprs: 106
; NumAgprs: 20
; TotalNumVgprs: 128
; ScratchSize: 0
; MemoryBound: 0
; FloatMode: 240
; IeeeMode: 1
; LDSByteSize: 256 bytes/workgroup (compile time only)
; SGPRBlocks: 12
; VGPRBlocks: 15
; NumSGPRsForWavesPerEU: 100
; NumVGPRsForWavesPerEU: 128
; AccumOffset: 108
; Occupancy: 4
; WaveLimiterHint : 0
; COMPUTE_PGM_RSRC2:SCRATCH_EN: 0
; COMPUTE_PGM_RSRC2:USER_SGPR: 6
; COMPUTE_PGM_RSRC2:TRAP_HANDLER: 0
; COMPUTE_PGM_RSRC2:TGID_X_EN: 1
; COMPUTE_PGM_RSRC2:TGID_Y_EN: 1
; COMPUTE_PGM_RSRC2:TGID_Z_EN: 1
; COMPUTE_PGM_RSRC2:TIDIG_COMP_CNT: 2
; COMPUTE_PGM_RSRC3_GFX90A:ACCUM_OFFSET: 26
; COMPUTE_PGM_RSRC3_GFX90A:TG_SPLIT: 0
	.section	.text._ZL9mul_mat_fI7__half2Li64ELi4ELi1ELb0EEvPKT_PKfPKiPfiiiiiiiiiiiiiiii,"axG",@progbits,_ZL9mul_mat_fI7__half2Li64ELi4ELi1ELb0EEvPKT_PKfPKiPfiiiiiiiiiiiiiiii,comdat
	.globl	_ZL9mul_mat_fI7__half2Li64ELi4ELi1ELb0EEvPKT_PKfPKiPfiiiiiiiiiiiiiiii ; -- Begin function _ZL9mul_mat_fI7__half2Li64ELi4ELi1ELb0EEvPKT_PKfPKiPfiiiiiiiiiiiiiiii
	.p2align	8
	.type	_ZL9mul_mat_fI7__half2Li64ELi4ELi1ELb0EEvPKT_PKfPKiPfiiiiiiiiiiiiiiii,@function
_ZL9mul_mat_fI7__half2Li64ELi4ELi1ELb0EEvPKT_PKfPKiPfiiiiiiiiiiiiiiii: ; @_ZL9mul_mat_fI7__half2Li64ELi4ELi1ELb0EEvPKT_PKfPKiPfiiiiiiiiiiiiiiii
; %bb.0:
	s_load_dwordx8 s[12:19], s[4:5], 0x40
	s_load_dword s9, s[4:5], 0x20
	s_load_dwordx4 s[0:3], s[4:5], 0x2c
	v_bfe_u32 v88, v0, 10, 10
	v_lshlrev_b32_e32 v90, 6, v88
	v_and_b32_e32 v89, 0x3ff, v0
	s_waitcnt lgkmcnt(0)
	s_abs_i32 s27, s12
	s_abs_i32 s26, s16
	v_cvt_f32_u32_e32 v1, s27
	v_cvt_f32_u32_e32 v2, s26
	v_or_b32_e32 v92, v90, v89
	s_mov_b32 s22, 0
	v_rcp_iflag_f32_e32 v1, v1
	v_rcp_iflag_f32_e32 v2, v2
	s_ashr_i32 s28, s8, 31
	v_cmp_le_i32_e32 vcc, s9, v92
	v_mul_f32_e32 v1, 0x4f7ffffe, v1
	v_mul_f32_e32 v2, 0x4f7ffffe, v2
	v_cvt_u32_f32_e32 v1, v1
	v_cvt_u32_f32_e32 v2, v2
	v_and_b32_e32 v0, 15, v89
                                        ; implicit-def: $vgpr93
	v_readfirstlane_b32 s21, v1
	v_readfirstlane_b32 s20, v2
	s_and_saveexec_b64 s[10:11], vcc
	s_xor_b64 s[10:11], exec, s[10:11]
; %bb.1:
	v_mul_u32_u24_e32 v93, 0x108, v0
                                        ; implicit-def: $vgpr92
                                        ; implicit-def: $vgpr0
; %bb.2:
	s_or_saveexec_b64 s[24:25], s[10:11]
	s_load_dwordx2 s[10:11], s[4:5], 0x18
	s_lshl_b32 s3, s6, 6
	v_accvgpr_write_b32 a0, s22
	v_accvgpr_write_b32 a1, s22
	v_accvgpr_write_b32 a2, s22
	v_accvgpr_write_b32 a3, s22
	v_accvgpr_write_b32 a4, s22
	v_accvgpr_write_b32 a5, s22
	v_accvgpr_write_b32 a6, s22
	v_accvgpr_write_b32 a7, s22
	v_accvgpr_write_b32 a8, s22
	v_accvgpr_write_b32 a9, s22
	v_accvgpr_write_b32 a10, s22
	v_accvgpr_write_b32 a11, s22
	v_accvgpr_write_b32 a12, s22
	v_accvgpr_write_b32 a13, s22
	v_accvgpr_write_b32 a14, s22
	v_accvgpr_write_b32 a15, s22
	v_lshlrev_b32_e32 v91, 2, v89
	s_xor_b64 exec, exec, s[24:25]
	s_cbranch_execz .LBB101_6
; %bb.3:
	s_sub_i32 s6, 0, s27
	s_sub_i32 s22, 0, s26
	s_mul_i32 s6, s6, s21
	s_mul_i32 s22, s22, s20
	s_mul_hi_u32 s6, s21, s6
	s_mul_hi_u32 s22, s20, s22
	s_abs_i32 s29, s7
	s_add_i32 s6, s21, s6
	s_add_i32 s31, s20, s22
	s_load_dwordx4 s[20:23], s[4:5], 0x0
	s_mul_hi_u32 s4, s29, s6
	s_ashr_i32 s6, s7, 31
	s_ashr_i32 s12, s12, 31
	s_xor_b32 s6, s6, s12
	s_mul_i32 s12, s4, s27
	s_abs_i32 s30, s8
	s_sub_i32 s12, s29, s12
	s_mul_hi_u32 s5, s30, s31
	s_ashr_i32 s16, s16, 31
	s_add_i32 s29, s4, 1
	s_sub_i32 s31, s12, s27
	s_cmp_ge_u32 s12, s27
	s_cselect_b32 s4, s29, s4
	s_cselect_b32 s12, s31, s12
	s_add_i32 s29, s4, 1
	s_cmp_ge_u32 s12, s27
	s_cselect_b32 s4, s29, s4
	s_mul_i32 s12, s5, s26
	s_xor_b32 s4, s4, s6
	s_sub_i32 s12, s30, s12
	s_sub_i32 s6, s4, s6
	s_xor_b32 s4, s28, s16
	s_add_i32 s16, s5, 1
	s_sub_i32 s27, s12, s26
	s_cmp_ge_u32 s12, s26
	s_cselect_b32 s5, s16, s5
	s_cselect_b32 s12, s27, s12
	s_add_i32 s16, s5, 1
	s_cmp_ge_u32 s12, s26
	s_cselect_b32 s5, s16, s5
	s_xor_b32 s5, s5, s4
	s_sub_i32 s4, s5, s4
	s_mul_hi_i32 s5, s4, s17
	s_mul_i32 s4, s4, s17
	s_mul_i32 s12, s6, s13
	s_ashr_i32 s13, s12, 31
	s_lshl_b64 s[26:27], s[4:5], 2
	s_mul_i32 s16, s3, s0
	s_waitcnt lgkmcnt(0)
	s_add_u32 s6, s20, s26
	s_addc_u32 s29, s21, s27
	s_ashr_i32 s17, s16, 31
	s_lshl_b64 s[16:17], s[16:17], 2
	s_lshl_b64 s[12:13], s[12:13], 2
	s_mul_hi_i32 s5, s18, s8
	s_mul_i32 s4, s18, s8
	s_add_u32 s18, s12, s16
	s_addc_u32 s30, s13, s17
	s_mul_i32 s28, s7, s14
	s_add_u32 s6, s18, s6
	s_addc_u32 s73, s30, s29
	s_ashr_i32 s29, s28, 31
	s_lshl_b64 s[16:17], s[4:5], 2
	s_lshl_b64 s[4:5], s[28:29], 2
	s_add_u32 s22, s22, s4
	s_addc_u32 s23, s23, s5
	s_add_u32 s14, s22, s16
	s_movk_i32 s4, 0x1080
	s_addc_u32 s74, s23, s17
	v_mad_u32_u24 v1, v88, s4, 0
	s_ashr_i32 s5, s0, 31
	s_mov_b32 s4, s0
	v_mul_u32_u24_e32 v93, 0x108, v0
	v_lshrrev_b32_e32 v0, 1, v89
	s_ashr_i32 s13, s1, 31
	s_lshl_b64 s[4:5], s[4:5], 2
	v_and_b32_e32 v0, 0x1f8, v0
	s_add_u32 s18, s18, s26
	v_add3_u32 v95, v1, v93, v0
	v_lshlrev_b32_e32 v0, 8, v88
	s_addc_u32 s26, s30, s27
	v_add_u32_e32 v94, v1, v91
	v_mov_b32_e32 v1, s26
	v_add_co_u32_e32 v0, vcc, s18, v0
	v_addc_co_u32_e32 v1, vcc, 0, v1, vcc
	v_add_co_u32_e32 v0, vcc, v0, v91
	v_addc_co_u32_e32 v1, vcc, 0, v1, vcc
	v_mov_b32_e32 v2, s21
	v_add_co_u32_e32 v16, vcc, s20, v0
	v_addc_co_u32_e32 v17, vcc, v2, v1, vcc
	v_lshlrev_b32_e32 v0, 9, v88
	v_mov_b32_e32 v1, s17
	v_add_co_u32_e32 v0, vcc, s16, v0
	v_addc_co_u32_e32 v1, vcc, 0, v1, vcc
	v_lshlrev_b32_e32 v2, 3, v89
	v_add_co_u32_e32 v0, vcc, v0, v2
	s_mov_b32 s12, s1
	v_addc_co_u32_e32 v1, vcc, 0, v1, vcc
	s_lshl_b64 s[12:13], s[12:13], 3
	v_mov_b32_e32 v2, s23
	v_add_co_u32_e32 v18, vcc, s22, v0
	v_addc_co_u32_e32 v19, vcc, v2, v1, vcc
	s_mul_i32 s16, s0, 63
	s_lshl_b32 s17, s1, 1
	s_mul_i32 s18, s1, 3
	s_lshl_b32 s20, s0, 1
	;; [unrolled: 2-line block ×3, first 2 shown]
	s_mul_i32 s23, s0, 5
	s_mul_i32 s26, s0, 6
	s_mul_i32 s27, s0, 7
	s_lshl_b32 s28, s0, 3
	s_mul_i32 s29, s0, 9
	s_mul_i32 s30, s0, 10
	;; [unrolled: 1-line block ×7, first 2 shown]
	s_lshl_b32 s37, s0, 4
	s_mul_i32 s38, s0, 17
	s_mul_i32 s39, s0, 18
	;; [unrolled: 1-line block ×15, first 2 shown]
	s_lshl_b32 s53, s0, 5
	s_mul_i32 s54, s0, 33
	s_mul_i32 s55, s0, 34
	;; [unrolled: 1-line block ×19, first 2 shown]
	v_mov_b32_e32 v96, s73
	s_mul_i32 s73, s0, 52
	v_mov_b32_e32 v97, s74
	s_mul_i32 s74, s0, 53
	v_mov_b32_e32 v98, 0
	v_accvgpr_write_b32 a15, 0
	v_accvgpr_write_b32 a14, 0
	;; [unrolled: 1-line block ×16, first 2 shown]
	v_mov_b32_e32 v99, s5
	v_mov_b32_e32 v100, s13
	s_mul_i32 s5, s0, 54
	s_mul_i32 s13, s0, 55
	;; [unrolled: 1-line block ×9, first 2 shown]
	s_mov_b64 s[0:1], 0
.LBB101_4:                              ; =>This Inner Loop Header: Depth=1
	global_load_dword v20, v[16:17], off
	v_add_u32_e32 v36, s37, v92
	v_ashrrev_i32_e32 v37, 31, v36
	v_lshlrev_b64 v[36:37], 2, v[36:37]
	v_add_u32_e32 v52, s53, v92
	v_ashrrev_i32_e32 v53, 31, v52
	v_lshlrev_b64 v[52:53], 2, v[52:53]
	;; [unrolled: 3-line block ×3, first 2 shown]
	v_accvgpr_read_b32 v0, a12
	v_accvgpr_read_b32 v4, a8
	;; [unrolled: 1-line block ×16, first 2 shown]
	v_accvgpr_write_b32 a0, v0
	v_accvgpr_write_b32 a4, v4
	;; [unrolled: 1-line block ×16, first 2 shown]
	s_waitcnt vmcnt(0)
	ds_write_b32 v94, v20
	v_add_co_u32_e32 v20, vcc, s4, v16
	v_addc_co_u32_e32 v21, vcc, v17, v99, vcc
	global_load_dword v20, v[20:21], off
	s_waitcnt vmcnt(0)
	ds_write_b32 v94, v20 offset:264
	v_add_u32_e32 v20, s20, v92
	v_ashrrev_i32_e32 v21, 31, v20
	v_lshlrev_b64 v[20:21], 2, v[20:21]
	v_add_co_u32_e32 v20, vcc, s6, v20
	v_addc_co_u32_e32 v21, vcc, v96, v21, vcc
	global_load_dword v20, v[20:21], off
	s_waitcnt vmcnt(0)
	ds_write_b32 v94, v20 offset:528
	v_add_u32_e32 v20, s21, v92
	v_ashrrev_i32_e32 v21, 31, v20
	v_lshlrev_b64 v[20:21], 2, v[20:21]
	;; [unrolled: 8-line block ×14, first 2 shown]
	v_add_co_u32_e32 v20, vcc, s6, v20
	v_addc_co_u32_e32 v21, vcc, v96, v21, vcc
	global_load_dword v20, v[20:21], off
	v_add_co_u32_e32 v36, vcc, s6, v36
	v_addc_co_u32_e32 v37, vcc, v96, v37, vcc
	s_waitcnt vmcnt(0)
	ds_write_b32 v94, v20 offset:3960
	ds_read_b64 v[34:35], v95
	ds_read_b64 v[32:33], v95 offset:32
	ds_read_b64 v[30:31], v95 offset:64
	;; [unrolled: 1-line block ×7, first 2 shown]
	global_load_dword v36, v[36:37], off
	s_waitcnt vmcnt(0)
	ds_write_b32 v94, v36
	v_add_u32_e32 v36, s38, v92
	v_ashrrev_i32_e32 v37, 31, v36
	v_lshlrev_b64 v[36:37], 2, v[36:37]
	v_add_co_u32_e32 v36, vcc, s6, v36
	v_addc_co_u32_e32 v37, vcc, v96, v37, vcc
	global_load_dword v36, v[36:37], off
	s_waitcnt vmcnt(0)
	ds_write_b32 v94, v36 offset:264
	v_add_u32_e32 v36, s39, v92
	v_ashrrev_i32_e32 v37, 31, v36
	v_lshlrev_b64 v[36:37], 2, v[36:37]
	v_add_co_u32_e32 v36, vcc, s6, v36
	v_addc_co_u32_e32 v37, vcc, v96, v37, vcc
	global_load_dword v36, v[36:37], off
	s_waitcnt vmcnt(0)
	ds_write_b32 v94, v36 offset:528
	;; [unrolled: 8-line block ×14, first 2 shown]
	v_add_u32_e32 v36, s52, v92
	v_ashrrev_i32_e32 v37, 31, v36
	v_lshlrev_b64 v[36:37], 2, v[36:37]
	v_add_co_u32_e32 v36, vcc, s6, v36
	v_addc_co_u32_e32 v37, vcc, v96, v37, vcc
	global_load_dword v36, v[36:37], off
	v_add_co_u32_e32 v52, vcc, s6, v52
	v_addc_co_u32_e32 v53, vcc, v96, v53, vcc
	s_waitcnt vmcnt(0)
	ds_write_b32 v94, v36 offset:3960
	ds_read_b64 v[50:51], v95
	ds_read_b64 v[48:49], v95 offset:32
	ds_read_b64 v[46:47], v95 offset:64
	;; [unrolled: 1-line block ×7, first 2 shown]
	global_load_dword v52, v[52:53], off
	s_waitcnt vmcnt(0)
	ds_write_b32 v94, v52
	v_add_u32_e32 v52, s54, v92
	v_ashrrev_i32_e32 v53, 31, v52
	v_lshlrev_b64 v[52:53], 2, v[52:53]
	v_add_co_u32_e32 v52, vcc, s6, v52
	v_addc_co_u32_e32 v53, vcc, v96, v53, vcc
	global_load_dword v52, v[52:53], off
	s_waitcnt vmcnt(0)
	ds_write_b32 v94, v52 offset:264
	v_add_u32_e32 v52, s55, v92
	v_ashrrev_i32_e32 v53, 31, v52
	v_lshlrev_b64 v[52:53], 2, v[52:53]
	v_add_co_u32_e32 v52, vcc, s6, v52
	v_addc_co_u32_e32 v53, vcc, v96, v53, vcc
	global_load_dword v52, v[52:53], off
	s_waitcnt vmcnt(0)
	ds_write_b32 v94, v52 offset:528
	;; [unrolled: 8-line block ×14, first 2 shown]
	v_add_u32_e32 v52, s68, v92
	v_ashrrev_i32_e32 v53, 31, v52
	v_lshlrev_b64 v[52:53], 2, v[52:53]
	v_add_co_u32_e32 v52, vcc, s6, v52
	v_addc_co_u32_e32 v53, vcc, v96, v53, vcc
	global_load_dword v52, v[52:53], off
	v_add_co_u32_e32 v68, vcc, s6, v68
	v_addc_co_u32_e32 v69, vcc, v96, v69, vcc
	s_waitcnt vmcnt(0)
	ds_write_b32 v94, v52 offset:3960
	ds_read_b64 v[66:67], v95
	ds_read_b64 v[64:65], v95 offset:32
	ds_read_b64 v[62:63], v95 offset:64
	;; [unrolled: 1-line block ×7, first 2 shown]
	global_load_dword v68, v[68:69], off
	s_waitcnt vmcnt(0)
	ds_write_b32 v94, v68
	v_add_u32_e32 v68, s70, v92
	v_ashrrev_i32_e32 v69, 31, v68
	v_lshlrev_b64 v[68:69], 2, v[68:69]
	v_add_co_u32_e32 v68, vcc, s6, v68
	v_addc_co_u32_e32 v69, vcc, v96, v69, vcc
	global_load_dword v68, v[68:69], off
	s_waitcnt vmcnt(0)
	ds_write_b32 v94, v68 offset:264
	v_add_u32_e32 v68, s71, v92
	v_ashrrev_i32_e32 v69, 31, v68
	v_lshlrev_b64 v[68:69], 2, v[68:69]
	v_add_co_u32_e32 v68, vcc, s6, v68
	v_addc_co_u32_e32 v69, vcc, v96, v69, vcc
	global_load_dword v68, v[68:69], off
	s_waitcnt vmcnt(0)
	ds_write_b32 v94, v68 offset:528
	;; [unrolled: 8-line block ×15, first 2 shown]
	ds_read_b64 v[82:83], v95
	ds_read_b64 v[80:81], v95 offset:32
	ds_read_b64 v[78:79], v95 offset:64
	;; [unrolled: 1-line block ×7, first 2 shown]
	global_load_dwordx2 v[84:85], v[18:19], off
	s_waitcnt vmcnt(0)
	v_cvt_f16_f32_e32 v84, v84
	v_cvt_f16_f32_e32 v85, v85
	v_pack_b32_f16 v84, v84, v85
	ds_write_b32 v94, v84
	v_add_co_u32_e32 v84, vcc, s12, v18
	v_addc_co_u32_e32 v85, vcc, v19, v100, vcc
	global_load_dwordx2 v[84:85], v[84:85], off
	s_waitcnt vmcnt(0)
	v_cvt_f16_f32_e32 v84, v84
	v_cvt_f16_f32_e32 v85, v85
	v_pack_b32_f16 v84, v84, v85
	ds_write_b32 v94, v84 offset:264
	v_add_u32_e32 v84, s17, v92
	v_ashrrev_i32_e32 v85, 31, v84
	v_lshlrev_b64 v[84:85], 3, v[84:85]
	v_add_co_u32_e32 v84, vcc, s14, v84
	v_addc_co_u32_e32 v85, vcc, v97, v85, vcc
	global_load_dwordx2 v[84:85], v[84:85], off
	s_waitcnt vmcnt(0)
	v_cvt_f16_f32_e32 v84, v84
	v_cvt_f16_f32_e32 v85, v85
	v_pack_b32_f16 v84, v84, v85
	ds_write_b32 v94, v84 offset:528
	v_add_u32_e32 v84, s18, v92
	v_ashrrev_i32_e32 v85, 31, v84
	v_lshlrev_b64 v[84:85], 3, v[84:85]
	v_add_co_u32_e32 v84, vcc, s14, v84
	v_addc_co_u32_e32 v85, vcc, v97, v85, vcc
	global_load_dwordx2 v[84:85], v[84:85], off
	v_add_co_u32_e32 v16, vcc, 0x100, v16
	v_addc_co_u32_e32 v17, vcc, 0, v17, vcc
	v_add_co_u32_e32 v18, vcc, 0x200, v18
	v_add_u32_e32 v92, 64, v92
	v_addc_co_u32_e32 v19, vcc, 0, v19, vcc
	v_cmp_le_i32_e32 vcc, s9, v92
	s_or_b64 s[0:1], vcc, s[0:1]
	s_waitcnt vmcnt(0)
	v_cvt_f16_f32_e32 v84, v84
	v_cvt_f16_f32_e32 v85, v85
	v_pack_b32_f16 v84, v84, v85
	ds_write_b32 v94, v84 offset:792
	ds_write_b32 v94, v98 offset:1056
	;; [unrolled: 1-line block ×13, first 2 shown]
	ds_read_b64 v[86:87], v95
	ds_read_b64 v[84:85], v95 offset:32
	s_waitcnt lgkmcnt(1)
	v_mfma_f32_16x16x16f16 a[0:3], v[34:35], v[86:87], a[0:3]
	ds_read_b64 v[0:1], v95 offset:64
	v_mfma_f32_16x16x16f16 a[4:7], v[50:51], v[86:87], a[4:7]
	v_mfma_f32_16x16x16f16 a[8:11], v[66:67], v[86:87], a[8:11]
	;; [unrolled: 1-line block ×3, first 2 shown]
	s_waitcnt lgkmcnt(1)
	v_mfma_f32_16x16x16f16 a[0:3], v[32:33], v[84:85], a[0:3]
	v_mfma_f32_16x16x16f16 a[4:7], v[48:49], v[84:85], a[4:7]
	;; [unrolled: 1-line block ×4, first 2 shown]
	s_waitcnt lgkmcnt(0)
	v_mfma_f32_16x16x16f16 a[0:3], v[30:31], v[0:1], a[0:3]
	v_mfma_f32_16x16x16f16 a[4:7], v[46:47], v[0:1], a[4:7]
	v_mfma_f32_16x16x16f16 a[8:11], v[62:63], v[0:1], a[8:11]
	v_mfma_f32_16x16x16f16 a[12:15], v[78:79], v[0:1], a[12:15]
	ds_read_b64 v[0:1], v95 offset:96
	s_waitcnt lgkmcnt(0)
	v_mfma_f32_16x16x16f16 a[0:3], v[28:29], v[0:1], a[0:3]
	v_mfma_f32_16x16x16f16 a[4:7], v[44:45], v[0:1], a[4:7]
	v_mfma_f32_16x16x16f16 a[8:11], v[60:61], v[0:1], a[8:11]
	v_mfma_f32_16x16x16f16 a[12:15], v[76:77], v[0:1], a[12:15]
	ds_read_b64 v[0:1], v95 offset:128
	;; [unrolled: 6-line block ×5, first 2 shown]
	s_waitcnt lgkmcnt(0)
	v_mfma_f32_16x16x16f16 a[12:15], v[20:21], v[0:1], a[0:3]
	v_mfma_f32_16x16x16f16 a[8:11], v[36:37], v[0:1], a[4:7]
	;; [unrolled: 1-line block ×4, first 2 shown]
	s_andn2_b64 exec, exec, s[0:1]
	s_cbranch_execnz .LBB101_4
; %bb.5:
	s_or_b64 exec, exec, s[0:1]
.LBB101_6:
	s_or_b64 exec, exec, s[24:25]
	v_lshlrev_b32_e32 v0, 2, v90
	v_or_b32_e32 v2, 12, v89
	v_add3_u32 v0, 0, v93, v0
	v_and_b32_e32 v1, 0x3f0, v89
	v_and_b32_e32 v2, 0x3fc, v2
	s_mul_hi_i32 s1, s19, s8
	s_mul_i32 s0, s19, s8
	v_add_u32_e32 v1, v0, v1
	v_add_u32_e32 v0, v0, v2
	s_lshl_b64 s[0:1], s[0:1], 2
	ds_write2_b32 v1, a12, a13 offset1:1
	ds_write_b32 v1, a14 offset:8
	ds_write_b32 v0, a15
	ds_write2_b32 v1, a8, a9 offset0:16 offset1:17
	ds_write_b32 v1, a10 offset:72
	ds_write_b32 v0, a11 offset:64
	ds_write2_b32 v1, a4, a5 offset0:32 offset1:33
	ds_write_b32 v1, a6 offset:136
	ds_write_b32 v0, a7 offset:128
	;; [unrolled: 3-line block ×3, first 2 shown]
	v_mul_u32_u24_e32 v0, 0x108, v88
	s_waitcnt lgkmcnt(0)
	s_add_u32 s4, s10, s0
	s_mul_i32 s0, s7, s15
	v_add3_u32 v6, 0, v91, v0
	s_addc_u32 s5, s11, s1
	ds_read2_b32 v[0:1], v6 offset1:66
	s_ashr_i32 s1, s0, 31
	s_lshl_b64 s[0:1], s[0:1], 2
	v_mul_lo_u32 v2, v88, s2
	s_add_u32 s0, s4, s0
	v_add3_u32 v2, s3, v89, v2
	v_mov_b32_e32 v3, 0
	s_addc_u32 s1, s5, s1
	v_lshlrev_b64 v[4:5], 2, v[2:3]
	v_mov_b32_e32 v7, s1
	v_add_co_u32_e32 v4, vcc, s0, v4
	s_waitcnt lgkmcnt(0)
	v_add_f32_e32 v0, 0, v0
	v_addc_co_u32_e32 v5, vcc, v7, v5, vcc
	v_add_u32_e32 v2, s2, v2
	global_store_dword v[4:5], v0, off
	v_add_f32_e32 v7, 0, v1
	v_lshlrev_b64 v[0:1], 2, v[2:3]
	ds_read2_b32 v[4:5], v6 offset0:132 offset1:198
	v_mov_b32_e32 v8, s1
	v_add_co_u32_e32 v0, vcc, s0, v0
	v_addc_co_u32_e32 v1, vcc, v8, v1, vcc
	v_add_u32_e32 v2, s2, v2
	global_store_dword v[0:1], v7, off
	v_lshlrev_b64 v[0:1], 2, v[2:3]
	v_mov_b32_e32 v6, s1
	v_add_co_u32_e32 v0, vcc, s0, v0
	s_waitcnt lgkmcnt(0)
	v_add_f32_e32 v4, 0, v4
	v_addc_co_u32_e32 v1, vcc, v6, v1, vcc
	v_add_u32_e32 v2, s2, v2
	global_store_dword v[0:1], v4, off
	v_lshlrev_b64 v[0:1], 2, v[2:3]
	v_mov_b32_e32 v2, s1
	v_add_co_u32_e32 v0, vcc, s0, v0
	v_add_f32_e32 v4, 0, v5
	v_addc_co_u32_e32 v1, vcc, v2, v1, vcc
	global_store_dword v[0:1], v4, off
	s_endpgm
	.section	.rodata,"a",@progbits
	.p2align	6, 0x0
	.amdhsa_kernel _ZL9mul_mat_fI7__half2Li64ELi4ELi1ELb0EEvPKT_PKfPKiPfiiiiiiiiiiiiiiii
		.amdhsa_group_segment_fixed_size 0
		.amdhsa_private_segment_fixed_size 0
		.amdhsa_kernarg_size 96
		.amdhsa_user_sgpr_count 6
		.amdhsa_user_sgpr_private_segment_buffer 1
		.amdhsa_user_sgpr_dispatch_ptr 0
		.amdhsa_user_sgpr_queue_ptr 0
		.amdhsa_user_sgpr_kernarg_segment_ptr 1
		.amdhsa_user_sgpr_dispatch_id 0
		.amdhsa_user_sgpr_flat_scratch_init 0
		.amdhsa_user_sgpr_kernarg_preload_length 0
		.amdhsa_user_sgpr_kernarg_preload_offset 0
		.amdhsa_user_sgpr_private_segment_size 0
		.amdhsa_uses_dynamic_stack 0
		.amdhsa_system_sgpr_private_segment_wavefront_offset 0
		.amdhsa_system_sgpr_workgroup_id_x 1
		.amdhsa_system_sgpr_workgroup_id_y 1
		.amdhsa_system_sgpr_workgroup_id_z 1
		.amdhsa_system_sgpr_workgroup_info 0
		.amdhsa_system_vgpr_workitem_id 1
		.amdhsa_next_free_vgpr 128
		.amdhsa_next_free_sgpr 82
		.amdhsa_accum_offset 104
		.amdhsa_reserve_vcc 1
		.amdhsa_reserve_flat_scratch 0
		.amdhsa_float_round_mode_32 0
		.amdhsa_float_round_mode_16_64 0
		.amdhsa_float_denorm_mode_32 3
		.amdhsa_float_denorm_mode_16_64 3
		.amdhsa_dx10_clamp 1
		.amdhsa_ieee_mode 1
		.amdhsa_fp16_overflow 0
		.amdhsa_tg_split 0
		.amdhsa_exception_fp_ieee_invalid_op 0
		.amdhsa_exception_fp_denorm_src 0
		.amdhsa_exception_fp_ieee_div_zero 0
		.amdhsa_exception_fp_ieee_overflow 0
		.amdhsa_exception_fp_ieee_underflow 0
		.amdhsa_exception_fp_ieee_inexact 0
		.amdhsa_exception_int_div_zero 0
	.end_amdhsa_kernel
	.section	.text._ZL9mul_mat_fI7__half2Li64ELi4ELi1ELb0EEvPKT_PKfPKiPfiiiiiiiiiiiiiiii,"axG",@progbits,_ZL9mul_mat_fI7__half2Li64ELi4ELi1ELb0EEvPKT_PKfPKiPfiiiiiiiiiiiiiiii,comdat
.Lfunc_end101:
	.size	_ZL9mul_mat_fI7__half2Li64ELi4ELi1ELb0EEvPKT_PKfPKiPfiiiiiiiiiiiiiiii, .Lfunc_end101-_ZL9mul_mat_fI7__half2Li64ELi4ELi1ELb0EEvPKT_PKfPKiPfiiiiiiiiiiiiiiii
                                        ; -- End function
	.section	.AMDGPU.csdata,"",@progbits
; Kernel info:
; codeLenInByte = 5504
; NumSgprs: 86
; NumVgprs: 101
; NumAgprs: 24
; TotalNumVgprs: 128
; ScratchSize: 0
; MemoryBound: 0
; FloatMode: 240
; IeeeMode: 1
; LDSByteSize: 0 bytes/workgroup (compile time only)
; SGPRBlocks: 10
; VGPRBlocks: 15
; NumSGPRsForWavesPerEU: 86
; NumVGPRsForWavesPerEU: 128
; AccumOffset: 104
; Occupancy: 4
; WaveLimiterHint : 0
; COMPUTE_PGM_RSRC2:SCRATCH_EN: 0
; COMPUTE_PGM_RSRC2:USER_SGPR: 6
; COMPUTE_PGM_RSRC2:TRAP_HANDLER: 0
; COMPUTE_PGM_RSRC2:TGID_X_EN: 1
; COMPUTE_PGM_RSRC2:TGID_Y_EN: 1
; COMPUTE_PGM_RSRC2:TGID_Z_EN: 1
; COMPUTE_PGM_RSRC2:TIDIG_COMP_CNT: 1
; COMPUTE_PGM_RSRC3_GFX90A:ACCUM_OFFSET: 25
; COMPUTE_PGM_RSRC3_GFX90A:TG_SPLIT: 0
	.section	.text._ZL13mul_mat_f_idsI7__half2Li64ELi4ELi2EEvPKT_PKfPKiS7_S7_Pfiiiiiiiiiiiiii15HIP_vector_typeIjLj3EESA_,"axG",@progbits,_ZL13mul_mat_f_idsI7__half2Li64ELi4ELi2EEvPKT_PKfPKiS7_S7_Pfiiiiiiiiiiiiii15HIP_vector_typeIjLj3EESA_,comdat
	.globl	_ZL13mul_mat_f_idsI7__half2Li64ELi4ELi2EEvPKT_PKfPKiS7_S7_Pfiiiiiiiiiiiiii15HIP_vector_typeIjLj3EESA_ ; -- Begin function _ZL13mul_mat_f_idsI7__half2Li64ELi4ELi2EEvPKT_PKfPKiS7_S7_Pfiiiiiiiiiiiiii15HIP_vector_typeIjLj3EESA_
	.p2align	8
	.type	_ZL13mul_mat_f_idsI7__half2Li64ELi4ELi2EEvPKT_PKfPKiS7_S7_Pfiiiiiiiiiiiiii15HIP_vector_typeIjLj3EESA_,@function
_ZL13mul_mat_f_idsI7__half2Li64ELi4ELi2EEvPKT_PKfPKiS7_S7_Pfiiiiiiiiiiiiii15HIP_vector_typeIjLj3EESA_: ; @_ZL13mul_mat_f_idsI7__half2Li64ELi4ELi2EEvPKT_PKfPKiS7_S7_Pfiiiiiiiiiiiiii15HIP_vector_typeIjLj3EESA_
; %bb.0:
	s_load_dwordx2 s[0:1], s[4:5], 0x20
	s_mov_b32 s34, s7
	s_ashr_i32 s35, s7, 31
	s_lshl_b64 s[2:3], s[34:35], 2
	s_waitcnt lgkmcnt(0)
	s_add_u32 s0, s0, s2
	s_addc_u32 s1, s1, s3
	s_load_dwordx2 s[26:27], s[0:1], 0x0
	s_waitcnt lgkmcnt(0)
	s_sub_i32 s33, s27, s26
	s_add_i32 s0, s33, 3
	s_ashr_i32 s1, s0, 31
	s_lshr_b32 s1, s1, 30
	s_add_i32 s0, s0, s1
	s_ashr_i32 s0, s0, 2
	s_cmp_ge_i32 s8, s0
	s_cbranch_scc1 .LBB102_25
; %bb.1:
	v_bfe_u32 v90, v0, 10, 10
	v_lshlrev_b32_e32 v92, 6, v90
	v_and_b32_e32 v91, 0x3ff, v0
	s_load_dwordx4 s[12:15], s[4:5], 0x30
	s_load_dwordx2 s[20:21], s[4:5], 0x40
	s_load_dwordx4 s[0:3], s[4:5], 0x4c
	s_load_dwordx4 s[16:19], s[4:5], 0x68
	s_load_dwordx2 s[24:25], s[4:5], 0x78
	v_add_u32_e32 v94, v92, v91
	s_ashr_i32 s27, s26, 31
	s_waitcnt lgkmcnt(0)
	v_cmp_le_i32_e32 vcc, s12, v94
	v_and_b32_e32 v93, 15, v91
                                        ; implicit-def: $sgpr3
	s_and_saveexec_b64 s[10:11], vcc
	s_xor_b64 s[10:11], exec, s[10:11]
; %bb.2:
	v_and_b32_e32 v93, 15, v91
	s_mov_b32 s3, 0
                                        ; implicit-def: $vgpr94
; %bb.3:
	s_or_saveexec_b64 s[22:23], s[10:11]
	s_load_dwordx2 s[10:11], s[4:5], 0x18
                                        ; implicit-def: $vgpr101 : SGPR spill to VGPR lane
	s_lshl_b32 s28, s6, 6
	s_lshl_b32 s6, s8, 2
	v_accvgpr_write_b32 a0, s3
	v_accvgpr_write_b32 a1, s3
	s_waitcnt lgkmcnt(0)
	v_writelane_b32 v101, s10, 0
	v_writelane_b32 v101, s11, 1
	s_load_dwordx2 s[10:11], s[4:5], 0x28
	v_accvgpr_write_b32 a2, s3
	v_accvgpr_write_b32 a3, s3
	;; [unrolled: 1-line block ×4, first 2 shown]
	s_waitcnt lgkmcnt(0)
	v_writelane_b32 v101, s10, 2
	v_writelane_b32 v101, s11, 3
	v_accvgpr_write_b32 a6, s3
	v_accvgpr_write_b32 a7, s3
	;; [unrolled: 1-line block ×10, first 2 shown]
	v_writelane_b32 v101, s22, 4
	v_writelane_b32 v101, s23, 5
	s_xor_b64 exec, exec, s[22:23]
	s_cbranch_execz .LBB102_19
; %bb.4:
	v_writelane_b32 v101, s24, 6
	v_writelane_b32 v101, s25, 7
	s_load_dwordx4 s[8:11], s[4:5], 0x0
	s_load_dwordx2 s[22:23], s[4:5], 0x10
	s_mul_i32 s4, s34, s0
	s_mul_i32 s24, s28, s15
	s_ashr_i32 s5, s4, 31
	s_ashr_i32 s25, s24, 31
	s_lshl_b64 s[24:25], s[24:25], 2
	s_lshl_b64 s[4:5], s[4:5], 2
	s_add_u32 s3, s4, s24
	s_addc_u32 s24, s5, s25
	s_waitcnt lgkmcnt(0)
	s_add_u32 s0, s3, s8
	s_addc_u32 s25, s24, s9
	s_lshl_b64 s[4:5], s[26:27], 2
	v_writelane_b32 v101, s28, 8
	s_add_u32 s28, s22, s4
	s_addc_u32 s29, s23, s5
	s_movk_i32 s4, 0x1080
	s_cmp_lt_i32 s6, s33
	v_mad_u32_u24 v0, v90, s4, 0
	s_cselect_b64 s[4:5], -1, 0
	s_ashr_i32 s7, s6, 31
	s_lshl_b64 s[22:23], s[6:7], 2
	s_add_u32 s34, s28, s22
	v_lshrrev_b32_e32 v3, 1, v91
	s_addc_u32 s35, s29, s23
	s_or_b32 s7, s6, 1
	v_lshlrev_b32_e32 v1, 2, v91
	v_mul_u32_u24_e32 v2, 0x108, v93
	v_and_b32_e32 v3, 0x1f8, v3
	s_cmp_lt_i32 s7, s33
	v_add_u32_e32 v95, v0, v1
	v_add3_u32 v96, v0, v2, v3
	s_cselect_b64 s[36:37], -1, 0
	s_or_b32 s7, s6, 2
	v_lshlrev_b32_e32 v0, 8, v90
	s_cmp_lt_i32 s7, s33
	v_mov_b32_e32 v2, s24
	v_add_co_u32_e32 v0, vcc, s3, v0
	s_cselect_b64 s[38:39], -1, 0
	s_or_b32 s7, s6, 3
	v_addc_co_u32_e32 v2, vcc, 0, v2, vcc
	s_cmp_lt_i32 s7, s33
	v_add_co_u32_e32 v0, vcc, v0, v1
	s_cselect_b64 s[40:41], -1, 0
	s_ashr_i32 s23, s15, 31
	s_mov_b32 s22, s15
	v_addc_co_u32_e32 v1, vcc, 0, v2, vcc
	s_lshl_b64 s[42:43], s[22:23], 2
	v_mov_b32_e32 v2, s9
	v_add_co_u32_e32 v16, vcc, s8, v0
	v_addc_co_u32_e32 v17, vcc, v2, v1, vcc
	s_lshl_b32 s7, s15, 1
	s_mul_i32 s44, s15, 3
	s_lshl_b32 s45, s15, 2
	s_mul_i32 s46, s15, 5
	s_mul_i32 s47, s15, 6
	;; [unrolled: 1-line block ×3, first 2 shown]
	s_lshl_b32 s49, s15, 3
	s_mul_i32 s50, s15, 9
	s_mul_i32 s51, s15, 10
	;; [unrolled: 1-line block ×7, first 2 shown]
	s_lshl_b32 s57, s15, 4
	s_mul_i32 s58, s15, 17
	s_mul_i32 s59, s15, 18
	;; [unrolled: 1-line block ×15, first 2 shown]
	s_lshl_b32 s73, s15, 5
	s_mul_i32 s74, s15, 33
	s_mul_i32 s75, s15, 34
	;; [unrolled: 1-line block ×15, first 2 shown]
	v_mov_b32_e32 v97, s25
	s_mul_i32 s89, s15, 48
	v_mov_b32_e32 v98, 0
	v_accvgpr_write_b32 a15, 0
	v_accvgpr_write_b32 a14, 0
	;; [unrolled: 1-line block ×16, first 2 shown]
	v_mov_b32_e32 v99, s43
	s_mul_i32 s43, s15, 49
	s_mul_i32 s90, s15, 50
	;; [unrolled: 1-line block ×15, first 2 shown]
	s_mov_b64 s[8:9], 0
	s_branch .LBB102_6
.LBB102_5:                              ;   in Loop: Header=BB102_6 Depth=1
	s_waitcnt vmcnt(0)
	v_cvt_f16_f32_e32 v82, v82
	v_cvt_f16_f32_e32 v83, v83
	;; [unrolled: 1-line block ×4, first 2 shown]
	v_accvgpr_write_b32 a0, v12
	v_pack_b32_f16 v82, v82, v83
	v_cvt_f16_f32_e32 v83, v84
	v_cvt_f16_f32_e32 v84, v85
	v_cvt_f16_f32_e32 v85, v88
	v_cvt_f16_f32_e32 v88, v89
	v_pack_b32_f16 v86, v86, v87
	ds_write2_b32 v95, v82, v86 offset1:66
	v_pack_b32_f16 v82, v83, v84
	v_pack_b32_f16 v83, v85, v88
	ds_write2_b32 v95, v82, v83 offset0:132 offset1:198
	v_add_u32_e32 v82, 0x400, v95
	ds_write2_b32 v82, v98, v98 offset0:8 offset1:74
	ds_write2_b32 v82, v98, v98 offset0:140 offset1:206
	v_add_u32_e32 v82, 0x800, v95
	ds_write2_b32 v82, v98, v98 offset0:16 offset1:82
	;; [unrolled: 3-line block ×3, first 2 shown]
	ds_write2_b32 v82, v98, v98 offset0:156 offset1:222
	ds_read2_b64 v[82:85], v96 offset1:4
	v_accvgpr_write_b32 a4, v8
	v_accvgpr_write_b32 a11, v7
	;; [unrolled: 1-line block ×15, first 2 shown]
	s_waitcnt lgkmcnt(0)
	v_mfma_f32_16x16x16f16 a[0:3], v[36:37], v[82:83], a[0:3]
	ds_read2_b64 v[0:3], v96 offset0:8 offset1:12
	v_add_co_u32_e32 v16, vcc, 0x200, v16
	v_add_u32_e32 v94, 0x80, v94
	v_addc_co_u32_e32 v17, vcc, 0, v17, vcc
	v_cmp_le_i32_e32 vcc, s12, v94
	v_mfma_f32_16x16x16f16 a[4:7], v[50:51], v[82:83], a[4:7]
	s_or_b64 s[8:9], vcc, s[8:9]
	v_mfma_f32_16x16x16f16 a[8:11], v[64:65], v[82:83], a[8:11]
	v_mfma_f32_16x16x16f16 a[12:15], v[80:81], v[82:83], a[12:15]
	;; [unrolled: 1-line block ×6, first 2 shown]
	s_waitcnt lgkmcnt(0)
	v_mfma_f32_16x16x16f16 a[0:3], v[28:29], v[0:1], a[0:3]
	v_mfma_f32_16x16x16f16 a[4:7], v[44:45], v[0:1], a[4:7]
	;; [unrolled: 1-line block ×8, first 2 shown]
	ds_read2_b64 v[0:3], v96 offset0:16 offset1:20
	s_waitcnt lgkmcnt(0)
	v_mfma_f32_16x16x16f16 a[0:3], v[24:25], v[0:1], a[0:3]
	v_mfma_f32_16x16x16f16 a[4:7], v[40:41], v[0:1], a[4:7]
	;; [unrolled: 1-line block ×8, first 2 shown]
	ds_read2_b64 v[0:3], v96 offset0:24 offset1:28
	s_waitcnt lgkmcnt(0)
	v_mfma_f32_16x16x16f16 a[0:3], v[20:21], v[0:1], a[0:3]
	v_mfma_f32_16x16x16f16 a[4:7], v[34:35], v[0:1], a[4:7]
	;; [unrolled: 1-line block ×8, first 2 shown]
	s_andn2_b64 exec, exec, s[8:9]
	s_cbranch_execz .LBB102_18
.LBB102_6:                              ; =>This Inner Loop Header: Depth=1
	v_add_co_u32_e32 v0, vcc, s42, v16
	v_addc_co_u32_e32 v1, vcc, v17, v99, vcc
	global_load_dword v22, v[16:17], off
	global_load_dword v23, v[0:1], off
	v_add_u32_e32 v0, s7, v94
	v_ashrrev_i32_e32 v1, 31, v0
	v_lshlrev_b64 v[0:1], 2, v[0:1]
	v_add_u32_e32 v2, s44, v94
	v_add_co_u32_e32 v0, vcc, s0, v0
	v_ashrrev_i32_e32 v3, 31, v2
	v_addc_co_u32_e32 v1, vcc, v97, v1, vcc
	v_lshlrev_b64 v[2:3], 2, v[2:3]
	v_add_u32_e32 v4, s45, v94
	v_add_co_u32_e32 v2, vcc, s0, v2
	v_ashrrev_i32_e32 v5, 31, v4
	v_addc_co_u32_e32 v3, vcc, v97, v3, vcc
	;; [unrolled: 5-line block ×5, first 2 shown]
	v_lshlrev_b64 v[10:11], 2, v[10:11]
	v_add_co_u32_e32 v10, vcc, s0, v10
	v_addc_co_u32_e32 v11, vcc, v97, v11, vcc
	global_load_dword v24, v[0:1], off
	global_load_dword v25, v[2:3], off
	;; [unrolled: 1-line block ×6, first 2 shown]
	v_add_u32_e32 v18, s49, v94
	v_ashrrev_i32_e32 v19, 31, v18
	v_add_u32_e32 v20, s50, v94
	v_lshlrev_b64 v[18:19], 2, v[18:19]
	v_ashrrev_i32_e32 v21, 31, v20
	v_add_co_u32_e32 v18, vcc, s0, v18
	v_lshlrev_b64 v[20:21], 2, v[20:21]
	v_addc_co_u32_e32 v19, vcc, v97, v19, vcc
	v_add_co_u32_e32 v20, vcc, s0, v20
	v_addc_co_u32_e32 v21, vcc, v97, v21, vcc
	v_add_u32_e32 v30, s56, v94
	v_ashrrev_i32_e32 v31, 31, v30
	v_lshlrev_b64 v[30:31], 2, v[30:31]
	v_add_u32_e32 v32, s57, v94
	v_ashrrev_i32_e32 v33, 31, v32
	v_lshlrev_b64 v[32:33], 2, v[32:33]
	;; [unrolled: 3-line block ×4, first 2 shown]
	v_accvgpr_read_b32 v3, a15
	v_accvgpr_read_b32 v2, a14
	;; [unrolled: 1-line block ×6, first 2 shown]
	s_waitcnt vmcnt(7)
	ds_write_b32 v95, v22
	s_waitcnt vmcnt(6)
	ds_write_b32 v95, v23 offset:264
	global_load_dword v18, v[18:19], off
	s_nop 0
	global_load_dword v19, v[20:21], off
	v_add_u32_e32 v20, s51, v94
	v_ashrrev_i32_e32 v21, 31, v20
	v_lshlrev_b64 v[20:21], 2, v[20:21]
	v_add_u32_e32 v22, s52, v94
	v_add_co_u32_e32 v20, vcc, s0, v20
	v_ashrrev_i32_e32 v23, 31, v22
	v_addc_co_u32_e32 v21, vcc, v97, v21, vcc
	v_lshlrev_b64 v[22:23], 2, v[22:23]
	s_waitcnt vmcnt(7)
	ds_write_b32 v95, v24 offset:528
	s_waitcnt vmcnt(6)
	ds_write_b32 v95, v25 offset:792
	;; [unrolled: 2-line block ×6, first 2 shown]
	v_add_u32_e32 v24, s53, v94
	v_add_co_u32_e32 v22, vcc, s0, v22
	v_ashrrev_i32_e32 v25, 31, v24
	v_addc_co_u32_e32 v23, vcc, v97, v23, vcc
	v_lshlrev_b64 v[24:25], 2, v[24:25]
	v_add_u32_e32 v26, s54, v94
	v_add_co_u32_e32 v24, vcc, s0, v24
	v_ashrrev_i32_e32 v27, 31, v26
	v_addc_co_u32_e32 v25, vcc, v97, v25, vcc
	v_lshlrev_b64 v[26:27], 2, v[26:27]
	;; [unrolled: 5-line block ×3, first 2 shown]
	v_add_co_u32_e32 v28, vcc, s0, v28
	v_addc_co_u32_e32 v29, vcc, v97, v29, vcc
	v_add_co_u32_e32 v30, vcc, s0, v30
	v_addc_co_u32_e32 v31, vcc, v97, v31, vcc
	;; [unrolled: 2-line block ×4, first 2 shown]
	global_load_dword v20, v[20:21], off
	s_nop 0
	global_load_dword v21, v[22:23], off
	s_nop 0
	global_load_dword v22, v[24:25], off
	global_load_dword v23, v[26:27], off
	s_nop 0
	global_load_dword v24, v[28:29], off
	;; [unrolled: 3-line block ×3, first 2 shown]
	s_nop 0
	global_load_dword v33, v[34:35], off
	v_add_u32_e32 v26, s59, v94
	v_ashrrev_i32_e32 v27, 31, v26
	v_lshlrev_b64 v[26:27], 2, v[26:27]
	v_add_u32_e32 v28, s60, v94
	v_add_co_u32_e32 v26, vcc, s0, v26
	v_ashrrev_i32_e32 v29, 31, v28
	v_addc_co_u32_e32 v27, vcc, v97, v27, vcc
	v_lshlrev_b64 v[28:29], 2, v[28:29]
	v_add_u32_e32 v30, s61, v94
	v_add_co_u32_e32 v28, vcc, s0, v28
	v_ashrrev_i32_e32 v31, 31, v30
	v_addc_co_u32_e32 v29, vcc, v97, v29, vcc
	;; [unrolled: 5-line block ×3, first 2 shown]
	v_lshlrev_b64 v[34:35], 2, v[34:35]
	v_add_co_u32_e32 v36, vcc, s0, v34
	v_add_u32_e32 v34, s63, v94
	v_addc_co_u32_e32 v37, vcc, v97, v35, vcc
	v_ashrrev_i32_e32 v35, 31, v34
	v_lshlrev_b64 v[34:35], 2, v[34:35]
	v_add_co_u32_e32 v40, vcc, s0, v34
	v_add_u32_e32 v34, s64, v94
	v_addc_co_u32_e32 v41, vcc, v97, v35, vcc
	v_ashrrev_i32_e32 v35, 31, v34
	;; [unrolled: 5-line block ×4, first 2 shown]
	v_lshlrev_b64 v[34:35], 2, v[34:35]
	v_add_co_u32_e32 v46, vcc, s0, v34
	v_addc_co_u32_e32 v47, vcc, v97, v35, vcc
	global_load_dword v34, v[26:27], off
	global_load_dword v35, v[28:29], off
	;; [unrolled: 1-line block ×4, first 2 shown]
	s_nop 0
	global_load_dword v40, v[40:41], off
	s_nop 0
	global_load_dword v41, v[42:43], off
	s_nop 0
	global_load_dword v42, v[44:45], off
	global_load_dword v43, v[46:47], off
	v_add_u32_e32 v26, s67, v94
	v_ashrrev_i32_e32 v27, 31, v26
	v_lshlrev_b64 v[26:27], 2, v[26:27]
	v_add_u32_e32 v28, s68, v94
	v_add_co_u32_e32 v26, vcc, s0, v26
	v_ashrrev_i32_e32 v29, 31, v28
	v_addc_co_u32_e32 v27, vcc, v97, v27, vcc
	v_lshlrev_b64 v[28:29], 2, v[28:29]
	v_add_u32_e32 v30, s69, v94
	v_add_co_u32_e32 v28, vcc, s0, v28
	v_ashrrev_i32_e32 v31, 31, v30
	v_addc_co_u32_e32 v29, vcc, v97, v29, vcc
	;; [unrolled: 5-line block ×4, first 2 shown]
	v_lshlrev_b64 v[44:45], 2, v[44:45]
	v_add_co_u32_e32 v48, vcc, s0, v44
	v_add_u32_e32 v44, s72, v94
	v_addc_co_u32_e32 v49, vcc, v97, v45, vcc
	v_ashrrev_i32_e32 v45, 31, v44
	v_lshlrev_b64 v[44:45], 2, v[44:45]
	v_add_co_u32_e32 v52, vcc, s0, v44
	v_add_u32_e32 v44, s73, v94
	v_addc_co_u32_e32 v53, vcc, v97, v45, vcc
	v_ashrrev_i32_e32 v45, 31, v44
	;; [unrolled: 5-line block ×3, first 2 shown]
	v_lshlrev_b64 v[44:45], 2, v[44:45]
	v_add_co_u32_e32 v56, vcc, s0, v44
	v_addc_co_u32_e32 v57, vcc, v97, v45, vcc
	global_load_dword v44, v[26:27], off
	global_load_dword v45, v[28:29], off
	;; [unrolled: 1-line block ×6, first 2 shown]
	s_nop 0
	global_load_dword v48, v[54:55], off
	global_load_dword v49, v[56:57], off
	v_add_u32_e32 v26, s75, v94
	v_ashrrev_i32_e32 v27, 31, v26
	v_lshlrev_b64 v[26:27], 2, v[26:27]
	v_add_u32_e32 v28, s76, v94
	v_add_co_u32_e32 v26, vcc, s0, v26
	v_ashrrev_i32_e32 v29, 31, v28
	v_addc_co_u32_e32 v27, vcc, v97, v27, vcc
	v_lshlrev_b64 v[28:29], 2, v[28:29]
	v_add_u32_e32 v30, s77, v94
	v_add_co_u32_e32 v28, vcc, s0, v28
	v_ashrrev_i32_e32 v31, 31, v30
	v_addc_co_u32_e32 v29, vcc, v97, v29, vcc
	;; [unrolled: 5-line block ×6, first 2 shown]
	v_lshlrev_b64 v[56:57], 2, v[56:57]
	v_add_co_u32_e32 v56, vcc, s0, v56
	v_addc_co_u32_e32 v57, vcc, v97, v57, vcc
	v_add_co_u32_e32 v58, vcc, s0, v58
	v_addc_co_u32_e32 v59, vcc, v97, v59, vcc
	global_load_dword v60, v[26:27], off
	global_load_dword v61, v[28:29], off
	global_load_dword v62, v[30:31], off
	global_load_dword v63, v[36:37], off
	global_load_dword v64, v[52:53], off
	global_load_dword v65, v[54:55], off
	global_load_dword v66, v[56:57], off
	global_load_dword v67, v[58:59], off
	v_add_u32_e32 v26, s83, v94
	v_ashrrev_i32_e32 v27, 31, v26
	v_lshlrev_b64 v[26:27], 2, v[26:27]
	v_add_u32_e32 v28, s84, v94
	v_add_co_u32_e32 v26, vcc, s0, v26
	v_ashrrev_i32_e32 v29, 31, v28
	v_addc_co_u32_e32 v27, vcc, v97, v27, vcc
	v_lshlrev_b64 v[28:29], 2, v[28:29]
	v_add_u32_e32 v30, s85, v94
	v_add_co_u32_e32 v28, vcc, s0, v28
	v_ashrrev_i32_e32 v31, 31, v30
	v_addc_co_u32_e32 v29, vcc, v97, v29, vcc
	;; [unrolled: 5-line block ×7, first 2 shown]
	v_lshlrev_b64 v[58:59], 2, v[58:59]
	v_add_co_u32_e32 v58, vcc, s0, v58
	v_addc_co_u32_e32 v59, vcc, v97, v59, vcc
	global_load_dword v68, v[26:27], off
	global_load_dword v69, v[28:29], off
	;; [unrolled: 1-line block ×8, first 2 shown]
	v_add_u32_e32 v26, s90, v94
	v_ashrrev_i32_e32 v27, 31, v26
	v_lshlrev_b64 v[26:27], 2, v[26:27]
	v_add_u32_e32 v28, s91, v94
	v_add_co_u32_e32 v26, vcc, s0, v26
	v_ashrrev_i32_e32 v29, 31, v28
	v_addc_co_u32_e32 v27, vcc, v97, v27, vcc
	v_lshlrev_b64 v[28:29], 2, v[28:29]
	v_add_u32_e32 v30, s92, v94
	v_add_co_u32_e32 v28, vcc, s0, v28
	v_ashrrev_i32_e32 v31, 31, v30
	v_addc_co_u32_e32 v29, vcc, v97, v29, vcc
	v_lshlrev_b64 v[30:31], 2, v[30:31]
	v_add_u32_e32 v36, s93, v94
	v_add_co_u32_e32 v30, vcc, s0, v30
	v_ashrrev_i32_e32 v37, 31, v36
	v_addc_co_u32_e32 v31, vcc, v97, v31, vcc
	v_lshlrev_b64 v[36:37], 2, v[36:37]
	v_add_u32_e32 v52, s94, v94
	v_add_co_u32_e32 v36, vcc, s0, v36
	v_ashrrev_i32_e32 v53, 31, v52
	v_addc_co_u32_e32 v37, vcc, v97, v37, vcc
	v_lshlrev_b64 v[52:53], 2, v[52:53]
	v_add_u32_e32 v54, s95, v94
	v_add_co_u32_e32 v52, vcc, s0, v52
	v_ashrrev_i32_e32 v55, 31, v54
	v_addc_co_u32_e32 v53, vcc, v97, v53, vcc
	v_lshlrev_b64 v[54:55], 2, v[54:55]
	v_add_u32_e32 v56, s24, v94
	v_add_co_u32_e32 v54, vcc, s0, v54
	v_ashrrev_i32_e32 v57, 31, v56
	v_addc_co_u32_e32 v55, vcc, v97, v55, vcc
	v_lshlrev_b64 v[56:57], 2, v[56:57]
	v_add_u32_e32 v58, s25, v94
	v_add_co_u32_e32 v56, vcc, s0, v56
	v_ashrrev_i32_e32 v59, 31, v58
	v_addc_co_u32_e32 v57, vcc, v97, v57, vcc
	v_lshlrev_b64 v[58:59], 2, v[58:59]
	v_add_co_u32_e32 v58, vcc, s0, v58
	v_addc_co_u32_e32 v59, vcc, v97, v59, vcc
	global_load_dword v76, v[26:27], off
	global_load_dword v77, v[28:29], off
	;; [unrolled: 1-line block ×8, first 2 shown]
	v_add_u32_e32 v26, s22, v94
	v_ashrrev_i32_e32 v27, 31, v26
	v_lshlrev_b64 v[26:27], 2, v[26:27]
	v_add_u32_e32 v28, s23, v94
	v_add_co_u32_e32 v26, vcc, s0, v26
	v_ashrrev_i32_e32 v29, 31, v28
	v_addc_co_u32_e32 v27, vcc, v97, v27, vcc
	v_lshlrev_b64 v[28:29], 2, v[28:29]
	v_add_u32_e32 v30, s28, v94
	v_add_co_u32_e32 v28, vcc, s0, v28
	v_ashrrev_i32_e32 v31, 31, v30
	v_addc_co_u32_e32 v29, vcc, v97, v29, vcc
	;; [unrolled: 5-line block ×5, first 2 shown]
	v_lshlrev_b64 v[54:55], 2, v[54:55]
	v_add_co_u32_e32 v54, vcc, s0, v54
	v_addc_co_u32_e32 v55, vcc, v97, v55, vcc
	global_load_dword v84, v[26:27], off
	global_load_dword v85, v[28:29], off
	;; [unrolled: 1-line block ×6, first 2 shown]
	s_waitcnt vmcnt(55)
	ds_write_b32 v95, v18 offset:2112
	s_waitcnt vmcnt(54)
	ds_write_b32 v95, v19 offset:2376
	s_waitcnt vmcnt(53)
	ds_write_b32 v95, v20 offset:2640
	s_waitcnt vmcnt(52)
	ds_write_b32 v95, v21 offset:2904
	s_waitcnt vmcnt(51)
	ds_write_b32 v95, v22 offset:3168
	s_waitcnt vmcnt(50)
	ds_write_b32 v95, v23 offset:3432
	s_waitcnt vmcnt(49)
	ds_write_b32 v95, v24 offset:3696
	s_waitcnt vmcnt(48)
	ds_write_b32 v95, v25 offset:3960
	ds_read_b64 v[36:37], v96
	ds_read_b64 v[30:31], v96 offset:32
	ds_read_b64 v[28:29], v96 offset:64
	ds_read_b64 v[26:27], v96 offset:96
	ds_read_b64 v[24:25], v96 offset:128
	ds_read_b64 v[22:23], v96 offset:160
	ds_read_b64 v[20:21], v96 offset:192
	ds_read_b64 v[18:19], v96 offset:224
	s_waitcnt vmcnt(47)
	ds_write_b32 v95, v32
	s_waitcnt vmcnt(46)
	ds_write_b32 v95, v33 offset:264
	s_waitcnt vmcnt(45)
	ds_write_b32 v95, v34 offset:528
	s_waitcnt vmcnt(44)
	ds_write_b32 v95, v35 offset:792
	s_waitcnt vmcnt(43)
	ds_write_b32 v95, v38 offset:1056
	s_waitcnt vmcnt(42)
	ds_write_b32 v95, v39 offset:1320
	s_waitcnt vmcnt(41)
	ds_write_b32 v95, v40 offset:1584
	s_waitcnt vmcnt(40)
	ds_write_b32 v95, v41 offset:1848
	s_waitcnt vmcnt(39)
	ds_write_b32 v95, v42 offset:2112
	s_waitcnt vmcnt(38)
	ds_write_b32 v95, v43 offset:2376
	s_waitcnt vmcnt(37)
	ds_write_b32 v95, v44 offset:2640
	s_waitcnt vmcnt(36)
	ds_write_b32 v95, v45 offset:2904
	s_waitcnt vmcnt(35)
	ds_write_b32 v95, v46 offset:3168
	s_waitcnt vmcnt(34)
	ds_write_b32 v95, v47 offset:3432
	s_waitcnt vmcnt(33)
	ds_write_b32 v95, v50 offset:3696
	s_waitcnt vmcnt(32)
	ds_write_b32 v95, v51 offset:3960
	ds_read_b64 v[50:51], v96
	ds_read_b64 v[46:47], v96 offset:32
	ds_read_b64 v[44:45], v96 offset:64
	ds_read_b64 v[42:43], v96 offset:96
	ds_read_b64 v[40:41], v96 offset:128
	ds_read_b64 v[38:39], v96 offset:160
	ds_read_b64 v[34:35], v96 offset:192
	ds_read_b64 v[32:33], v96 offset:224
	s_waitcnt vmcnt(31)
	ds_write_b32 v95, v48
	s_waitcnt vmcnt(30)
	ds_write_b32 v95, v49 offset:264
	s_waitcnt vmcnt(29)
	ds_write_b32 v95, v60 offset:528
	s_waitcnt vmcnt(28)
	ds_write_b32 v95, v61 offset:792
	s_waitcnt vmcnt(27)
	ds_write_b32 v95, v62 offset:1056
	s_waitcnt vmcnt(26)
	ds_write_b32 v95, v63 offset:1320
	s_waitcnt vmcnt(25)
	ds_write_b32 v95, v64 offset:1584
	s_waitcnt vmcnt(24)
	ds_write_b32 v95, v65 offset:1848
	;; [unrolled: 40-line block ×3, first 2 shown]
	s_waitcnt vmcnt(7)
	ds_write_b32 v95, v82 offset:2112
	s_waitcnt vmcnt(6)
	ds_write_b32 v95, v83 offset:2376
	;; [unrolled: 2-line block ×8, first 2 shown]
	ds_read_b64 v[80:81], v96
	ds_read_b64 v[78:79], v96 offset:32
	ds_read_b64 v[76:77], v96 offset:64
	ds_read_b64 v[74:75], v96 offset:96
	ds_read_b64 v[72:73], v96 offset:128
	ds_read_b64 v[70:71], v96 offset:160
	ds_read_b64 v[68:69], v96 offset:192
	ds_read_b64 v[66:67], v96 offset:224
	v_accvgpr_read_b32 v5, a9
	v_accvgpr_read_b32 v4, a8
	;; [unrolled: 1-line block ×10, first 2 shown]
	s_andn2_b64 vcc, exec, s[4:5]
	v_mov_b32_e32 v82, 0
	v_mov_b32_e32 v83, 0
	s_cbranch_vccnz .LBB102_9
; %bb.7:                                ;   in Loop: Header=BB102_6 Depth=1
	s_load_dword vcc_lo, s[34:35], 0x0
	v_mov_b32_e32 v83, 0
	v_mov_b32_e32 v82, 0
	s_waitcnt lgkmcnt(0)
	s_mul_hi_u32 vcc_hi, vcc_lo, s16
	s_add_i32 vcc_hi, vcc_lo, vcc_hi
	s_lshr_b32 s30, vcc_hi, s17
	s_cmp_ge_i32 s30, s13
	s_cbranch_scc1 .LBB102_9
; %bb.8:                                ;   in Loop: Header=BB102_6 Depth=1
	s_mul_i32 vcc_hi, s30, s18
	s_sub_i32 s31, vcc_lo, vcc_hi
	s_mul_i32 s30, s30, s20
	s_mul_i32 s31, s31, s1
	v_add_u32_e32 v82, s30, v94
	v_lshl_add_u32 v82, v82, 1, s31
	v_ashrrev_i32_e32 v83, 31, v82
	v_lshlrev_b64 v[82:83], 2, v[82:83]
	v_mov_b32_e32 v84, s11
	v_add_co_u32_e32 v82, vcc, s10, v82
	v_addc_co_u32_e32 v83, vcc, v84, v83, vcc
	global_load_dwordx2 v[82:83], v[82:83], off
.LBB102_9:                              ;   in Loop: Header=BB102_6 Depth=1
	s_andn2_b64 vcc, exec, s[36:37]
	v_mov_b32_e32 v84, 0
	v_mov_b32_e32 v86, 0
	;; [unrolled: 1-line block ×3, first 2 shown]
	s_cbranch_vccnz .LBB102_12
; %bb.10:                               ;   in Loop: Header=BB102_6 Depth=1
	s_load_dword vcc_lo, s[34:35], 0x4
	v_mov_b32_e32 v87, 0
	v_mov_b32_e32 v86, 0
	s_waitcnt lgkmcnt(0)
	s_mul_hi_u32 s30, vcc_lo, s16
	s_add_i32 s30, vcc_lo, s30
	s_lshr_b32 vcc_hi, s30, s17
	s_cmp_ge_i32 vcc_hi, s13
	s_cbranch_scc1 .LBB102_12
; %bb.11:                               ;   in Loop: Header=BB102_6 Depth=1
	s_mul_i32 s30, vcc_hi, s18
	s_sub_i32 s30, vcc_lo, s30
	s_mul_i32 vcc_hi, vcc_hi, s20
	s_mul_i32 s30, s30, s1
	v_add_u32_e32 v85, vcc_hi, v94
	v_lshl_add_u32 v86, v85, 1, s30
	v_ashrrev_i32_e32 v87, 31, v86
	v_lshlrev_b64 v[86:87], 2, v[86:87]
	v_mov_b32_e32 v85, s11
	v_add_co_u32_e32 v86, vcc, s10, v86
	v_addc_co_u32_e32 v87, vcc, v85, v87, vcc
	global_load_dwordx2 v[86:87], v[86:87], off
.LBB102_12:                             ;   in Loop: Header=BB102_6 Depth=1
	s_andn2_b64 vcc, exec, s[38:39]
	v_mov_b32_e32 v85, 0
	s_cbranch_vccnz .LBB102_15
; %bb.13:                               ;   in Loop: Header=BB102_6 Depth=1
	s_load_dword vcc_lo, s[34:35], 0x8
	v_mov_b32_e32 v85, 0
	v_mov_b32_e32 v84, 0
	s_waitcnt lgkmcnt(0)
	s_mul_hi_u32 s30, vcc_lo, s16
	s_add_i32 s30, vcc_lo, s30
	s_lshr_b32 vcc_hi, s30, s17
	s_cmp_ge_i32 vcc_hi, s13
	s_cbranch_scc1 .LBB102_15
; %bb.14:                               ;   in Loop: Header=BB102_6 Depth=1
	s_mul_i32 s30, vcc_hi, s18
	s_sub_i32 s30, vcc_lo, s30
	s_mul_i32 vcc_hi, vcc_hi, s20
	s_mul_i32 s30, s30, s1
	v_add_u32_e32 v84, vcc_hi, v94
	v_lshl_add_u32 v84, v84, 1, s30
	v_ashrrev_i32_e32 v85, 31, v84
	v_lshlrev_b64 v[84:85], 2, v[84:85]
	v_mov_b32_e32 v88, s11
	v_add_co_u32_e32 v84, vcc, s10, v84
	v_addc_co_u32_e32 v85, vcc, v88, v85, vcc
	global_load_dwordx2 v[84:85], v[84:85], off
.LBB102_15:                             ;   in Loop: Header=BB102_6 Depth=1
	s_andn2_b64 vcc, exec, s[40:41]
	v_mov_b32_e32 v88, 0
	v_mov_b32_e32 v89, 0
	s_cbranch_vccnz .LBB102_5
; %bb.16:                               ;   in Loop: Header=BB102_6 Depth=1
	s_load_dword vcc_lo, s[34:35], 0xc
	v_mov_b32_e32 v89, 0
	v_mov_b32_e32 v88, 0
	s_waitcnt lgkmcnt(0)
	s_mul_hi_u32 s30, vcc_lo, s16
	s_add_i32 s30, vcc_lo, s30
	s_lshr_b32 vcc_hi, s30, s17
	s_cmp_ge_i32 vcc_hi, s13
	s_cbranch_scc1 .LBB102_5
; %bb.17:                               ;   in Loop: Header=BB102_6 Depth=1
	s_mul_i32 s30, vcc_hi, s18
	s_sub_i32 s30, vcc_lo, s30
	s_mul_i32 vcc_hi, vcc_hi, s20
	s_mul_i32 s30, s30, s1
	v_add_u32_e32 v88, vcc_hi, v94
	v_lshl_add_u32 v88, v88, 1, s30
	v_ashrrev_i32_e32 v89, 31, v88
	v_lshlrev_b64 v[88:89], 2, v[88:89]
	v_mov_b32_e32 v100, s11
	v_add_co_u32_e32 v88, vcc, s10, v88
	v_addc_co_u32_e32 v89, vcc, v100, v89, vcc
	global_load_dwordx2 v[88:89], v[88:89], off
	s_branch .LBB102_5
.LBB102_18:
	s_or_b64 exec, exec, s[8:9]
	v_readlane_b32 s24, v101, 6
	v_readlane_b32 s25, v101, 7
	;; [unrolled: 1-line block ×3, first 2 shown]
.LBB102_19:
	v_readlane_b32 s0, v101, 4
	v_readlane_b32 s1, v101, 5
	s_or_b64 exec, exec, s[0:1]
	s_lshl_b64 s[0:1], s[26:27], 2
	v_readlane_b32 s4, v101, 0
	v_mul_u32_u24_e32 v0, 0x208, v93
	v_lshlrev_b32_e32 v1, 2, v92
	v_or_b32_e32 v2, 12, v91
	v_readlane_b32 s5, v101, 1
	s_add_u32 s3, s4, s0
	v_add3_u32 v0, 0, v0, v1
	v_and_b32_e32 v1, 0x3f0, v91
	v_and_b32_e32 v2, 0x3fc, v2
	s_addc_u32 s7, s5, s1
	v_add_u32_e32 v1, v0, v1
	v_add_u32_e32 v0, v0, v2
	s_barrier
	ds_write2_b32 v1, a0, a1 offset1:1
	ds_write_b32 v1, a2 offset:8
	ds_write_b32 v0, a3
	ds_write2_b32 v1, a4, a5 offset0:16 offset1:17
	ds_write_b32 v1, a6 offset:72
	ds_write_b32 v0, a7 offset:64
	ds_write2_b32 v1, a8, a9 offset0:32 offset1:33
	ds_write_b32 v1, a10 offset:136
	ds_write_b32 v0, a11 offset:128
	;; [unrolled: 3-line block ×3, first 2 shown]
	s_cmp_gt_i32 s14, 0
	v_add_u32_e32 v0, s6, v90
	s_cselect_b64 s[4:5], -1, 0
	v_cmp_gt_i32_e64 s[0:1], s33, v0
	v_cmp_gt_u32_e32 vcc, 4, v90
	s_and_b64 s[0:1], s[4:5], s[0:1]
	v_lshl_add_u32 v3, v91, 2, 0
	v_add_u32_e32 v2, s28, v91
	v_mul_u32_u24_e32 v4, 0x208, v90
	s_and_b64 s[8:9], vcc, s[0:1]
	s_waitcnt lgkmcnt(0)
	s_barrier
	s_and_saveexec_b64 s[0:1], s[8:9]
	s_cbranch_execz .LBB102_22
; %bb.20:
	v_ashrrev_i32_e32 v1, 31, v0
	v_lshlrev_b64 v[6:7], 2, v[0:1]
	v_mov_b32_e32 v1, s7
	v_add_co_u32_e32 v6, vcc, s3, v6
	v_addc_co_u32_e32 v7, vcc, v1, v7, vcc
	global_load_dword v1, v[6:7], off
	s_waitcnt vmcnt(0)
	v_mul_hi_u32 v5, v1, s19
	v_add_u32_e32 v5, v1, v5
	v_lshrrev_b32_e32 v5, s24, v5
	v_cmp_gt_i32_e32 vcc, s13, v5
	s_and_b64 exec, exec, vcc
	s_cbranch_execz .LBB102_22
; %bb.21:
	v_add_u32_e32 v6, v3, v4
	ds_read2st64_b32 v[6:7], v6 offset1:1
	v_mul_lo_u32 v8, v5, s25
	v_sub_u32_e32 v1, v1, v8
	v_mul_lo_u32 v5, v5, s21
	v_mul_lo_u32 v1, v1, s2
	s_waitcnt lgkmcnt(0)
	v_add_f32_e32 v6, 0, v6
	v_add_f32_e32 v8, v6, v7
	v_add3_u32 v6, v2, v5, v1
	v_mov_b32_e32 v7, 0
	v_readlane_b32 s8, v101, 2
	v_lshlrev_b64 v[6:7], 2, v[6:7]
	v_readlane_b32 s9, v101, 3
	v_mov_b32_e32 v1, s9
	v_add_co_u32_e32 v6, vcc, s8, v6
	v_addc_co_u32_e32 v7, vcc, v1, v7, vcc
	global_store_dword v[6:7], v8, off
.LBB102_22:
	s_or_b64 exec, exec, s[0:1]
	v_add_u32_e32 v0, 2, v0
	v_cmp_gt_i32_e64 s[0:1], s33, v0
	v_cmp_gt_u32_e32 vcc, 2, v90
	s_and_b64 s[0:1], s[4:5], s[0:1]
	s_and_b64 s[0:1], vcc, s[0:1]
	s_and_saveexec_b64 s[4:5], s[0:1]
	s_cbranch_execz .LBB102_25
; %bb.23:
	s_ashr_i32 s0, s6, 31
	v_mov_b32_e32 v1, s0
	v_add_co_u32_e32 v0, vcc, s6, v90
	v_addc_co_u32_e32 v1, vcc, 0, v1, vcc
	v_lshlrev_b64 v[0:1], 2, v[0:1]
	v_mov_b32_e32 v5, s7
	v_add_co_u32_e32 v0, vcc, s3, v0
	v_addc_co_u32_e32 v1, vcc, v5, v1, vcc
	global_load_dword v0, v[0:1], off offset:8
	v_mov_b32_e32 v1, 0
	s_waitcnt vmcnt(0)
	v_mul_hi_u32 v5, v0, s19
	v_add_u32_e32 v5, v0, v5
	v_lshrrev_b32_e32 v5, s24, v5
	v_cmp_gt_i32_e32 vcc, s13, v5
	s_and_b64 exec, exec, vcc
	s_cbranch_execz .LBB102_25
; %bb.24:
	v_add_u32_e32 v3, v4, v3
	v_add_u32_e32 v3, 16, v3
	ds_read2st64_b32 v[6:7], v3 offset0:4 offset1:5
	v_mul_lo_u32 v3, v5, s25
	v_sub_u32_e32 v0, v0, v3
	v_mul_lo_u32 v4, v5, s21
	v_mul_lo_u32 v0, v0, s2
	v_add3_u32 v0, v2, v4, v0
	v_readlane_b32 s0, v101, 2
	v_lshlrev_b64 v[0:1], 2, v[0:1]
	v_readlane_b32 s1, v101, 3
	s_waitcnt lgkmcnt(0)
	v_add_f32_e32 v3, 0, v6
	v_mov_b32_e32 v2, s1
	v_add_co_u32_e32 v0, vcc, s0, v0
	v_add_f32_e32 v3, v3, v7
	v_addc_co_u32_e32 v1, vcc, v2, v1, vcc
	global_store_dword v[0:1], v3, off
.LBB102_25:
	s_endpgm
	.section	.rodata,"a",@progbits
	.p2align	6, 0x0
	.amdhsa_kernel _ZL13mul_mat_f_idsI7__half2Li64ELi4ELi2EEvPKT_PKfPKiS7_S7_Pfiiiiiiiiiiiiii15HIP_vector_typeIjLj3EESA_
		.amdhsa_group_segment_fixed_size 0
		.amdhsa_private_segment_fixed_size 0
		.amdhsa_kernarg_size 128
		.amdhsa_user_sgpr_count 6
		.amdhsa_user_sgpr_private_segment_buffer 1
		.amdhsa_user_sgpr_dispatch_ptr 0
		.amdhsa_user_sgpr_queue_ptr 0
		.amdhsa_user_sgpr_kernarg_segment_ptr 1
		.amdhsa_user_sgpr_dispatch_id 0
		.amdhsa_user_sgpr_flat_scratch_init 0
		.amdhsa_user_sgpr_kernarg_preload_length 0
		.amdhsa_user_sgpr_kernarg_preload_offset 0
		.amdhsa_user_sgpr_private_segment_size 0
		.amdhsa_uses_dynamic_stack 0
		.amdhsa_system_sgpr_private_segment_wavefront_offset 0
		.amdhsa_system_sgpr_workgroup_id_x 1
		.amdhsa_system_sgpr_workgroup_id_y 1
		.amdhsa_system_sgpr_workgroup_id_z 1
		.amdhsa_system_sgpr_workgroup_info 0
		.amdhsa_system_vgpr_workitem_id 1
		.amdhsa_next_free_vgpr 120
		.amdhsa_next_free_sgpr 96
		.amdhsa_accum_offset 104
		.amdhsa_reserve_vcc 1
		.amdhsa_reserve_flat_scratch 0
		.amdhsa_float_round_mode_32 0
		.amdhsa_float_round_mode_16_64 0
		.amdhsa_float_denorm_mode_32 3
		.amdhsa_float_denorm_mode_16_64 3
		.amdhsa_dx10_clamp 1
		.amdhsa_ieee_mode 1
		.amdhsa_fp16_overflow 0
		.amdhsa_tg_split 0
		.amdhsa_exception_fp_ieee_invalid_op 0
		.amdhsa_exception_fp_denorm_src 0
		.amdhsa_exception_fp_ieee_div_zero 0
		.amdhsa_exception_fp_ieee_overflow 0
		.amdhsa_exception_fp_ieee_underflow 0
		.amdhsa_exception_fp_ieee_inexact 0
		.amdhsa_exception_int_div_zero 0
	.end_amdhsa_kernel
	.section	.text._ZL13mul_mat_f_idsI7__half2Li64ELi4ELi2EEvPKT_PKfPKiS7_S7_Pfiiiiiiiiiiiiii15HIP_vector_typeIjLj3EESA_,"axG",@progbits,_ZL13mul_mat_f_idsI7__half2Li64ELi4ELi2EEvPKT_PKfPKiS7_S7_Pfiiiiiiiiiiiiii15HIP_vector_typeIjLj3EESA_,comdat
.Lfunc_end102:
	.size	_ZL13mul_mat_f_idsI7__half2Li64ELi4ELi2EEvPKT_PKfPKiS7_S7_Pfiiiiiiiiiiiiii15HIP_vector_typeIjLj3EESA_, .Lfunc_end102-_ZL13mul_mat_f_idsI7__half2Li64ELi4ELi2EEvPKT_PKfPKiS7_S7_Pfiiiiiiiiiiiiii15HIP_vector_typeIjLj3EESA_
                                        ; -- End function
	.section	.AMDGPU.csdata,"",@progbits
; Kernel info:
; codeLenInByte = 6024
; NumSgprs: 100
; NumVgprs: 102
; NumAgprs: 16
; TotalNumVgprs: 120
; ScratchSize: 0
; MemoryBound: 0
; FloatMode: 240
; IeeeMode: 1
; LDSByteSize: 0 bytes/workgroup (compile time only)
; SGPRBlocks: 12
; VGPRBlocks: 14
; NumSGPRsForWavesPerEU: 100
; NumVGPRsForWavesPerEU: 120
; AccumOffset: 104
; Occupancy: 4
; WaveLimiterHint : 1
; COMPUTE_PGM_RSRC2:SCRATCH_EN: 0
; COMPUTE_PGM_RSRC2:USER_SGPR: 6
; COMPUTE_PGM_RSRC2:TRAP_HANDLER: 0
; COMPUTE_PGM_RSRC2:TGID_X_EN: 1
; COMPUTE_PGM_RSRC2:TGID_Y_EN: 1
; COMPUTE_PGM_RSRC2:TGID_Z_EN: 1
; COMPUTE_PGM_RSRC2:TIDIG_COMP_CNT: 1
; COMPUTE_PGM_RSRC3_GFX90A:ACCUM_OFFSET: 25
; COMPUTE_PGM_RSRC3_GFX90A:TG_SPLIT: 0
	.section	.text._ZL9mul_mat_fI7__half2Li64ELi4ELi2ELb1EEvPKT_PKfPKiPfiiiiiiiiiiiiiiii,"axG",@progbits,_ZL9mul_mat_fI7__half2Li64ELi4ELi2ELb1EEvPKT_PKfPKiPfiiiiiiiiiiiiiiii,comdat
	.globl	_ZL9mul_mat_fI7__half2Li64ELi4ELi2ELb1EEvPKT_PKfPKiPfiiiiiiiiiiiiiiii ; -- Begin function _ZL9mul_mat_fI7__half2Li64ELi4ELi2ELb1EEvPKT_PKfPKiPfiiiiiiiiiiiiiiii
	.p2align	8
	.type	_ZL9mul_mat_fI7__half2Li64ELi4ELi2ELb1EEvPKT_PKfPKiPfiiiiiiiiiiiiiiii,@function
_ZL9mul_mat_fI7__half2Li64ELi4ELi2ELb1EEvPKT_PKfPKiPfiiiiiiiiiiiiiiii: ; @_ZL9mul_mat_fI7__half2Li64ELi4ELi2ELb1EEvPKT_PKfPKiPfiiiiiiiiiiiiiiii
; %bb.0:
	s_load_dwordx8 s[16:23], s[4:5], 0x20
	v_and_b32_e32 v16, 0x3ff, v0
	v_bfe_u32 v17, v0, 10, 10
	v_cmp_eq_u32_e32 vcc, 0, v16
	s_waitcnt lgkmcnt(0)
	s_add_i32 s0, s17, 3
	s_ashr_i32 s1, s0, 31
	s_lshr_b32 s1, s1, 30
	s_add_i32 s0, s0, s1
	s_ashr_i32 s0, s0, 2
	v_cvt_f32_u32_e32 v1, s0
	s_load_dwordx4 s[24:27], s[4:5], 0x44
	s_load_dword s1, s[4:5], 0x64
	s_sub_i32 s2, 0, s0
	s_add_u32 s34, s4, 0x60
	v_rcp_iflag_f32_e32 v1, v1
	s_addc_u32 s35, s5, 0
	v_mul_f32_e32 v1, 0x4f7ffffe, v1
	v_cvt_u32_f32_e32 v1, v1
	v_readfirstlane_b32 s3, v1
	s_mul_i32 s2, s2, s3
	s_mul_hi_u32 s2, s3, s2
	s_add_i32 s3, s3, s2
	s_waitcnt lgkmcnt(0)
	s_mul_hi_u32 s2, s1, s3
	s_mul_i32 s3, s2, s0
	s_sub_i32 s1, s1, s3
	s_add_i32 s9, s2, 1
	s_sub_i32 s3, s1, s0
	s_cmp_ge_u32 s1, s0
	s_cselect_b32 s2, s9, s2
	s_cselect_b32 s1, s3, s1
	s_add_i32 s3, s2, 1
	s_cmp_ge_u32 s1, s0
	s_cselect_b32 s9, s3, s2
	v_cvt_f32_u32_e32 v1, s9
	s_abs_i32 s33, s27
	v_cvt_f32_u32_e32 v2, s33
	s_load_dwordx2 s[0:1], s[4:5], 0x10
	v_rcp_iflag_f32_e32 v1, v1
	s_sub_i32 s2, 0, s9
	v_rcp_iflag_f32_e32 v2, v2
	s_sub_i32 s38, 0, s33
	v_mul_f32_e32 v1, 0x4f7ffffe, v1
	v_cvt_u32_f32_e32 v1, v1
	v_mul_f32_e32 v2, 0x4f7ffffe, v2
	v_cvt_u32_f32_e32 v2, v2
	v_readfirstlane_b32 s3, v1
	s_mul_i32 s2, s2, s3
	s_mul_hi_u32 s2, s3, s2
	s_add_i32 s3, s3, s2
	v_readfirstlane_b32 s39, v2
	s_mul_hi_u32 s10, s7, s3
	s_and_saveexec_b64 s[2:3], vcc
	s_cbranch_execz .LBB103_2
; %bb.1:
	v_mov_b32_e32 v1, 0x100
	v_lshl_add_u32 v1, v17, 2, v1
	v_mov_b32_e32 v2, -1
	ds_write_b32 v1, v2
.LBB103_2:
	s_or_b64 exec, exec, s[2:3]
	s_mul_i32 s2, s10, s9
	s_sub_i32 s2, s7, s2
	s_add_i32 s3, s10, 1
	s_sub_i32 s11, s2, s9
	s_cmp_ge_u32 s2, s9
	s_cselect_b32 s3, s3, s10
	s_cselect_b32 s2, s11, s2
	s_add_i32 s10, s3, 1
	s_cmp_ge_u32 s2, s9
	s_cselect_b32 s2, s10, s3
	s_mul_i32 s3, s2, s9
	s_lshl_b32 s9, s2, 2
	s_sub_i32 s7, s7, s3
	s_mul_hi_i32 s3, s9, s23
	s_mul_i32 s2, s9, s23
	s_lshl_b64 s[2:3], s[2:3], 2
	s_waitcnt lgkmcnt(0)
	s_add_u32 s40, s0, s2
	v_add_u32_e32 v1, s9, v17
	s_mul_i32 s38, s38, s39
	s_addc_u32 s41, s1, s3
	v_cmp_gt_i32_e64 s[10:11], s18, v16
	v_cmp_gt_i32_e64 s[0:1], s17, v1
	v_mov_b32_e32 v1, 0
	s_and_saveexec_b64 s[14:15], s[0:1]
	s_cbranch_execz .LBB103_10
; %bb.3:
	v_mov_b32_e32 v1, 0
	s_and_saveexec_b64 s[28:29], s[10:11]
	s_cbranch_execz .LBB103_9
; %bb.4:
	v_mul_lo_u32 v2, v17, s23
	v_ashrrev_i32_e32 v3, 31, v2
	v_lshlrev_b64 v[2:3], 2, v[2:3]
	v_mov_b32_e32 v1, s41
	v_add_co_u32_e64 v4, s[2:3], s40, v2
	v_addc_co_u32_e64 v5, s[2:3], v1, v3, s[2:3]
	v_mov_b32_e32 v1, 0x100
	v_lshl_add_u32 v6, v17, 2, v1
	v_mul_lo_u32 v2, v16, s22
	s_lshl_b32 s42, s22, 6
	s_mov_b64 s[30:31], 0
	v_mov_b32_e32 v1, 0
	v_mov_b32_e32 v7, v16
	s_branch .LBB103_6
.LBB103_5:                              ;   in Loop: Header=BB103_6 Depth=1
	s_or_b64 exec, exec, s[36:37]
	v_add_u32_e32 v7, 64, v7
	v_cmp_le_i32_e64 s[12:13], s18, v7
	s_xor_b64 s[2:3], s[2:3], -1
	s_or_b64 s[2:3], s[2:3], s[12:13]
	s_and_b64 s[2:3], exec, s[2:3]
	s_or_b64 s[30:31], s[2:3], s[30:31]
	v_add_u32_e32 v2, s42, v2
	s_andn2_b64 exec, exec, s[30:31]
	s_cbranch_execz .LBB103_8
.LBB103_6:                              ; =>This Inner Loop Header: Depth=1
	v_ashrrev_i32_e32 v3, 31, v2
	v_lshlrev_b64 v[8:9], 2, v[2:3]
	v_add_co_u32_e64 v8, s[2:3], v4, v8
	v_addc_co_u32_e64 v9, s[2:3], v5, v9, s[2:3]
	global_load_dword v3, v[8:9], off
	s_waitcnt vmcnt(0)
	v_cmp_ne_u32_e64 s[2:3], s7, v3
	v_cmp_eq_u32_e64 s[12:13], s7, v3
	s_and_saveexec_b64 s[36:37], s[12:13]
	s_cbranch_execz .LBB103_5
; %bb.7:                                ;   in Loop: Header=BB103_6 Depth=1
	v_mov_b32_e32 v1, 1
	ds_write_b32 v6, v7
	s_branch .LBB103_5
.LBB103_8:
	s_or_b64 exec, exec, s[30:31]
.LBB103_9:
	s_or_b64 exec, exec, s[28:29]
.LBB103_10:
	s_or_b64 exec, exec, s[14:15]
	s_mul_hi_u32 s28, s39, s38
	s_and_saveexec_b64 s[2:3], vcc
	s_cbranch_execz .LBB103_12
; %bb.11:
	v_mov_b32_e32 v2, 0x100
	v_lshl_add_u32 v2, v17, 2, v2
	v_mov_b32_e32 v3, -1
	ds_write_b32 v2, v3 offset:8
.LBB103_12:
	s_or_b64 exec, exec, s[2:3]
	s_load_dwordx4 s[12:15], s[4:5], 0x54
	v_add_u32_e32 v88, 2, v17
	v_add_u32_e32 v2, s9, v88
	s_abs_i32 s38, s8
	s_add_i32 s39, s39, s28
	v_cmp_gt_i32_e64 s[2:3], s17, v2
	s_and_saveexec_b64 s[28:29], s[2:3]
	s_cbranch_execz .LBB103_20
; %bb.13:
	s_and_saveexec_b64 s[30:31], s[10:11]
	s_cbranch_execz .LBB103_19
; %bb.14:
	v_mul_lo_u32 v2, v88, s23
	v_ashrrev_i32_e32 v3, 31, v2
	v_lshlrev_b64 v[2:3], 2, v[2:3]
	v_mov_b32_e32 v5, s41
	v_add_co_u32_e32 v4, vcc, s40, v2
	v_mov_b32_e32 v2, 0x100
	v_addc_co_u32_e32 v5, vcc, v5, v3, vcc
	v_lshl_add_u32 v6, v17, 2, v2
	v_mul_lo_u32 v2, v16, s22
	s_waitcnt lgkmcnt(0)
	s_lshl_b32 s15, s22, 6
	s_mov_b64 s[22:23], 0
	v_mov_b32_e32 v7, v16
	s_branch .LBB103_16
.LBB103_15:                             ;   in Loop: Header=BB103_16 Depth=1
	s_or_b64 exec, exec, s[36:37]
	v_add_u32_e32 v7, 64, v7
	v_cmp_le_i32_e64 s[10:11], s18, v7
	s_xor_b64 s[36:37], vcc, -1
	s_or_b64 s[10:11], s[36:37], s[10:11]
	s_and_b64 s[10:11], exec, s[10:11]
	s_or_b64 s[22:23], s[10:11], s[22:23]
	v_add_u32_e32 v2, s15, v2
	s_andn2_b64 exec, exec, s[22:23]
	s_cbranch_execz .LBB103_18
.LBB103_16:                             ; =>This Inner Loop Header: Depth=1
	v_ashrrev_i32_e32 v3, 31, v2
	v_lshlrev_b64 v[8:9], 2, v[2:3]
	v_add_co_u32_e32 v8, vcc, v4, v8
	v_addc_co_u32_e32 v9, vcc, v5, v9, vcc
	global_load_dword v3, v[8:9], off
	s_waitcnt vmcnt(0)
	v_cmp_ne_u32_e32 vcc, s7, v3
	v_cmp_eq_u32_e64 s[10:11], s7, v3
	s_and_saveexec_b64 s[36:37], s[10:11]
	s_cbranch_execz .LBB103_15
; %bb.17:                               ;   in Loop: Header=BB103_16 Depth=1
	v_mov_b32_e32 v1, 1
	ds_write_b32 v6, v7 offset:8
	s_branch .LBB103_15
.LBB103_18:
	s_or_b64 exec, exec, s[22:23]
.LBB103_19:
	s_or_b64 exec, exec, s[30:31]
.LBB103_20:
	s_or_b64 exec, exec, s[28:29]
	s_load_dwordx2 s[22:23], s[34:35], 0xc
	s_load_dwordx4 s[28:31], s[4:5], 0x0
	s_load_dwordx2 s[10:11], s[4:5], 0x18
	v_cmp_ne_u32_e32 vcc, 0, v1
	v_cndmask_b32_e64 v1, 0, 1, vcc
	s_waitcnt lgkmcnt(0)
	s_lshr_b32 s5, s22, 16
	s_and_b32 s4, s22, 0xffff
	v_or_b32_dpp v1, v1, v1 row_shl:1 row_mask:0xf bank_mask:0xf bound_ctrl:1
	s_mul_i32 s22, s5, s4
	s_and_b32 s15, s23, 0xffff
	v_or_b32_dpp v1, v1, v1 row_shl:2 row_mask:0xf bank_mask:0xf bound_ctrl:1
	s_bfe_i32 s22, s22, 0x180000
	s_mul_i32 s15, s22, s15
	v_or_b32_dpp v1, v1, v1 row_shl:4 row_mask:0xf bank_mask:0xf bound_ctrl:1
	s_add_i32 s22, s15, 63
	s_bitcmp1_b32 exec_hi, 0
	v_or_b32_dpp v1, v1, v1 row_shl:8 row_mask:0xf bank_mask:0xf bound_ctrl:1
	s_mul_hi_u32 s18, s38, s39
	s_nop 0
	v_mov_b32_dpp v2, v1 wave_shl:1 row_mask:0xf bank_mask:0xf bound_ctrl:1
	s_nop 1
	v_or_b32_dpp v1, v2, v1 row_mirror row_mask:0xf bank_mask:0xf bound_ctrl:1
	v_readlane_b32 s15, v1, 32
	s_cselect_b32 s15, s15, 0
	v_readlane_b32 s23, v1, 0
	s_or_b32 s15, s15, s23
	s_andn2_b32 s22, s22, 63
	s_cmp_lg_u32 s22, 64
	v_mov_b32_e32 v1, s15
	s_cbranch_scc0 .LBB103_27
; %bb.21:
	v_bfe_u32 v0, v0, 20, 10
	v_mbcnt_lo_u32_b32 v1, -1, 0
	v_mad_u32_u24 v0, v0, s5, v17
	v_mbcnt_hi_u32_b32 v2, -1, v1
	v_mad_u64_u32 v[0:1], s[4:5], v0, s4, v[16:17]
	v_lshrrev_b32_e32 v1, 6, v0
	v_or_b32_e32 v1, v2, v1
	v_cmp_eq_u32_e32 vcc, 0, v1
	s_and_saveexec_b64 s[4:5], vcc
	s_cbranch_execz .LBB103_23
; %bb.22:
	v_mov_b32_e32 v1, 0
	v_mov_b32_e32 v3, s15
	ds_write_b32 v1, v3
.LBB103_23:
	s_or_b64 exec, exec, s[4:5]
	v_cmp_eq_u32_e32 vcc, 0, v2
	v_cmp_lt_u32_e64 s[4:5], 63, v0
	s_and_b64 s[22:23], s[4:5], vcc
	s_waitcnt lgkmcnt(0)
	s_barrier
	s_and_saveexec_b64 s[4:5], s[22:23]
	s_cbranch_execz .LBB103_26
; %bb.24:
	v_mbcnt_lo_u32_b32 v0, exec_lo, 0
	v_mbcnt_hi_u32_b32 v0, exec_hi, v0
	v_cmp_eq_u32_e32 vcc, 0, v0
	s_and_b64 exec, exec, vcc
	s_cbranch_execz .LBB103_26
; %bb.25:
	v_mov_b32_e32 v0, 0
	v_mov_b32_e32 v1, s15
	ds_or_b32 v0, v1
.LBB103_26:
	s_or_b64 exec, exec, s[4:5]
	v_mov_b32_e32 v0, 0
	s_waitcnt lgkmcnt(0)
	s_barrier
	ds_read_b32 v1, v0
	s_waitcnt lgkmcnt(0)
	s_barrier
.LBB103_27:
	v_cmp_ne_u32_e32 vcc, 0, v1
	s_ashr_i32 s22, s8, 31
	s_ashr_i32 s23, s27, 31
	s_cbranch_vccz .LBB103_54
; %bb.28:
	v_lshlrev_b32_e32 v89, 6, v17
	v_add_u32_e32 v91, v89, v16
	v_cmp_le_i32_e32 vcc, s16, v91
	v_and_b32_e32 v90, 15, v16
                                        ; implicit-def: $sgpr27
	s_and_saveexec_b64 s[4:5], vcc
	s_xor_b64 s[4:5], exec, s[4:5]
; %bb.29:
	v_and_b32_e32 v90, 15, v16
	s_mov_b32 s27, 0
                                        ; implicit-def: $vgpr91
; %bb.30:
	s_or_saveexec_b64 s[4:5], s[4:5]
	s_lshl_b32 s15, s6, 6
	v_accvgpr_write_b32 a8, s27
	v_accvgpr_write_b32 a9, s27
	;; [unrolled: 1-line block ×16, first 2 shown]
	s_xor_b64 exec, exec, s[4:5]
	s_cbranch_execz .LBB103_46
; %bb.31:
	s_xor_b32 s6, s22, s23
	s_mul_i32 s22, s18, s33
	s_sub_i32 s22, s38, s22
	s_add_i32 s23, s18, 1
	s_sub_i32 s27, s22, s33
	s_cmp_ge_u32 s22, s33
	s_cselect_b32 s18, s23, s18
	s_cselect_b32 s22, s27, s22
	s_add_i32 s23, s18, 1
	s_cmp_ge_u32 s22, s33
	s_cselect_b32 s18, s23, s18
	s_xor_b32 s18, s18, s6
	s_sub_i32 s6, s18, s6
	s_mul_hi_i32 s23, s6, s12
	s_mul_i32 s22, s6, s12
	s_mul_i32 s6, s7, s24
	s_ashr_i32 s7, s6, 31
	s_lshl_b64 s[38:39], s[22:23], 2
	s_add_u32 s12, s28, s38
	s_addc_u32 s18, s29, s39
	s_lshl_b64 s[40:41], s[6:7], 2
	s_mul_i32 s34, s15, s19
	s_add_u32 s6, s12, s40
	s_addc_u32 s7, s18, s41
	s_ashr_i32 s35, s34, 31
	s_lshl_b64 s[42:43], s[34:35], 2
	s_add_u32 s24, s6, s42
	s_movk_i32 s6, 0x1080
	v_mov_b32_e32 v92, 0x100
	s_addc_u32 s18, s7, s43
	v_mad_u32_u24 v0, v17, s6, v92
	s_mul_hi_i32 s7, s13, s8
	s_mul_i32 s6, s13, s8
	s_mul_hi_i32 s13, s20, s9
	s_mul_i32 s12, s20, s9
	s_lshl_b64 s[12:13], s[12:13], 3
	s_lshl_b64 s[6:7], s[6:7], 2
	s_add_u32 s6, s30, s6
	s_addc_u32 s7, s31, s7
	s_add_u32 s27, s6, s12
	s_addc_u32 s33, s7, s13
	s_cmp_lt_i32 s9, s17
	s_cselect_b64 s[6:7], -1, 0
	s_or_b32 s12, s9, 1
	s_cmp_lt_i32 s12, s17
	s_cselect_b64 s[12:13], -1, 0
	s_or_b32 s22, s9, 2
	s_cmp_lt_i32 s22, s17
	s_cselect_b64 s[22:23], -1, 0
	s_lshl_b32 s36, s20, 2
	s_or_b32 s30, s9, 3
	s_cmp_lt_i32 s30, s17
	s_cselect_b64 s[30:31], -1, 0
	s_ashr_i32 s35, s19, 31
	s_mov_b32 s34, s19
	s_lshl_b64 s[34:35], s[34:35], 2
	s_add_u32 s17, s38, s42
	s_addc_u32 s37, s39, s43
	v_lshrrev_b32_e32 v2, 1, v16
	s_add_u32 s17, s17, s40
	v_mul_u32_u24_e32 v1, 0x108, v90
	v_and_b32_e32 v2, 0x1f8, v2
	s_addc_u32 s37, s37, s41
	v_lshl_add_u32 v93, v16, 2, v0
	v_add3_u32 v94, v0, v1, v2
	v_lshlrev_b32_e32 v0, 1, v16
	s_add_u32 s17, s28, s17
	v_lshl_add_u32 v95, v17, 7, v0
	v_lshlrev_b32_e32 v0, 2, v91
	s_addc_u32 s28, s29, s37
	v_mov_b32_e32 v1, s28
	v_add_co_u32_e32 v18, vcc, s17, v0
	v_addc_co_u32_e32 v19, vcc, 0, v1, vcc
	s_mul_i32 s17, s20, 6
	s_lshl_b32 s20, s20, 1
	s_lshl_b32 s28, s19, 1
	s_mul_i32 s29, s19, 3
	s_lshl_b32 s37, s19, 2
	s_mul_i32 s38, s19, 5
	s_mul_i32 s39, s19, 6
	;; [unrolled: 1-line block ×3, first 2 shown]
	s_lshl_b32 s41, s19, 3
	s_mul_i32 s42, s19, 9
	s_mul_i32 s43, s19, 10
	s_mul_i32 s44, s19, 11
	s_mul_i32 s45, s19, 12
	s_mul_i32 s46, s19, 13
	s_mul_i32 s47, s19, 14
	s_mul_i32 s48, s19, 15
	s_lshl_b32 s49, s19, 4
	s_mul_i32 s50, s19, 17
	s_mul_i32 s51, s19, 18
	;; [unrolled: 1-line block ×15, first 2 shown]
	s_lshl_b32 s65, s19, 5
	s_mul_i32 s66, s19, 33
	s_mul_i32 s67, s19, 34
	s_mul_i32 s68, s19, 35
	s_mul_i32 s69, s19, 36
	s_mul_i32 s70, s19, 37
	s_mul_i32 s71, s19, 38
	s_mul_i32 s72, s19, 39
	s_mul_i32 s73, s19, 40
	s_mul_i32 s74, s19, 41
	s_mul_i32 s75, s19, 42
	s_mul_i32 s76, s19, 43
	v_mov_b32_e32 v96, s18
	s_mul_i32 s77, s19, 44
	v_mov_b32_e32 v97, 0
	v_accvgpr_write_b32 a15, 0
	v_accvgpr_write_b32 a14, 0
	;; [unrolled: 1-line block ×16, first 2 shown]
	v_mov_b32_e32 v98, s35
	s_mul_i32 s35, s19, 45
	s_mul_i32 s78, s19, 46
	;; [unrolled: 1-line block ×19, first 2 shown]
	s_mov_b64 s[18:19], 0
	s_branch .LBB103_33
.LBB103_32:                             ;   in Loop: Header=BB103_33 Depth=1
	s_waitcnt vmcnt(0)
	v_cvt_f16_f32_e32 v84, v84
	v_cvt_f16_f32_e32 v85, v85
	v_add_u32_e32 v86, 0x200, v93
	v_add_u32_e32 v87, 0x400, v93
	v_accvgpr_write_b32 a0, v0
	v_pack_b32_f16 v84, v84, v85
	ds_write2_b32 v86, v84, v97 offset0:86 offset1:152
	ds_write2_b32 v87, v97, v97 offset0:90 offset1:156
	v_add_u32_e32 v84, 0x600, v93
	ds_write2_b32 v84, v97, v97 offset0:94 offset1:160
	v_add_u32_e32 v84, 0x800, v93
	;; [unrolled: 2-line block ×4, first 2 shown]
	ds_write2_b32 v84, v97, v97 offset0:106 offset1:172
	ds_write_b32 v93, v97 offset:4024
	ds_read2_b64 v[84:87], v94 offset0:8 offset1:12
	v_accvgpr_write_b32 a4, v4
	v_accvgpr_write_b32 a8, v8
	;; [unrolled: 1-line block ×15, first 2 shown]
	s_waitcnt lgkmcnt(0)
	v_mfma_f32_16x16x16f16 a[0:3], v[38:39], v[84:85], a[0:3]
	ds_read2_b64 v[0:3], v94 offset0:16 offset1:20
	v_add_co_u32_e32 v18, vcc, 0x200, v18
	v_add_u32_e32 v91, 0x80, v91
	v_addc_co_u32_e32 v19, vcc, 0, v19, vcc
	v_cmp_le_i32_e32 vcc, s16, v91
	v_mfma_f32_16x16x16f16 a[4:7], v[52:53], v[84:85], a[4:7]
	v_add_u32_e32 v95, 0x100, v95
	s_or_b64 s[18:19], vcc, s[18:19]
	v_mfma_f32_16x16x16f16 a[8:11], v[66:67], v[84:85], a[8:11]
	v_mfma_f32_16x16x16f16 a[12:15], v[82:83], v[84:85], a[12:15]
	;; [unrolled: 1-line block ×6, first 2 shown]
	s_waitcnt lgkmcnt(0)
	v_mfma_f32_16x16x16f16 a[0:3], v[30:31], v[0:1], a[0:3]
	v_mfma_f32_16x16x16f16 a[4:7], v[46:47], v[0:1], a[4:7]
	;; [unrolled: 1-line block ×8, first 2 shown]
	ds_read2_b64 v[0:3], v94 offset0:24 offset1:28
	s_waitcnt lgkmcnt(0)
	v_mfma_f32_16x16x16f16 a[0:3], v[26:27], v[0:1], a[0:3]
	v_mfma_f32_16x16x16f16 a[4:7], v[42:43], v[0:1], a[4:7]
	;; [unrolled: 1-line block ×8, first 2 shown]
	ds_read2_b64 v[0:3], v94 offset0:32 offset1:36
	s_waitcnt lgkmcnt(0)
	v_mfma_f32_16x16x16f16 a[0:3], v[22:23], v[0:1], a[0:3]
	v_mfma_f32_16x16x16f16 a[4:7], v[36:37], v[0:1], a[4:7]
	;; [unrolled: 1-line block ×8, first 2 shown]
	s_andn2_b64 exec, exec, s[18:19]
	s_cbranch_execz .LBB103_45
.LBB103_33:                             ; =>This Inner Loop Header: Depth=1
	v_add_co_u32_e32 v0, vcc, s34, v18
	v_addc_co_u32_e32 v1, vcc, v19, v98, vcc
	global_load_dword v24, v[18:19], off
	global_load_dword v25, v[0:1], off
	v_add_u32_e32 v0, s28, v91
	v_ashrrev_i32_e32 v1, 31, v0
	v_lshlrev_b64 v[0:1], 2, v[0:1]
	v_add_u32_e32 v2, s29, v91
	v_add_co_u32_e32 v0, vcc, s24, v0
	v_ashrrev_i32_e32 v3, 31, v2
	v_addc_co_u32_e32 v1, vcc, v96, v1, vcc
	v_lshlrev_b64 v[2:3], 2, v[2:3]
	v_add_u32_e32 v4, s37, v91
	v_add_co_u32_e32 v2, vcc, s24, v2
	v_ashrrev_i32_e32 v5, 31, v4
	v_addc_co_u32_e32 v3, vcc, v96, v3, vcc
	;; [unrolled: 5-line block ×5, first 2 shown]
	v_lshlrev_b64 v[10:11], 2, v[10:11]
	v_add_co_u32_e32 v10, vcc, s24, v10
	v_addc_co_u32_e32 v11, vcc, v96, v11, vcc
	global_load_dword v26, v[0:1], off
	global_load_dword v27, v[2:3], off
	;; [unrolled: 1-line block ×6, first 2 shown]
	v_add_u32_e32 v20, s41, v91
	v_ashrrev_i32_e32 v21, 31, v20
	v_add_u32_e32 v22, s42, v91
	v_lshlrev_b64 v[20:21], 2, v[20:21]
	v_ashrrev_i32_e32 v23, 31, v22
	v_add_co_u32_e32 v20, vcc, s24, v20
	v_lshlrev_b64 v[22:23], 2, v[22:23]
	v_addc_co_u32_e32 v21, vcc, v96, v21, vcc
	v_add_co_u32_e32 v22, vcc, s24, v22
	v_addc_co_u32_e32 v23, vcc, v96, v23, vcc
	v_add_u32_e32 v32, s48, v91
	v_ashrrev_i32_e32 v33, 31, v32
	v_lshlrev_b64 v[32:33], 2, v[32:33]
	v_add_u32_e32 v34, s49, v91
	v_ashrrev_i32_e32 v35, 31, v34
	v_lshlrev_b64 v[34:35], 2, v[34:35]
	;; [unrolled: 3-line block ×4, first 2 shown]
	v_accvgpr_read_b32 v3, a15
	v_accvgpr_read_b32 v2, a14
	;; [unrolled: 1-line block ×6, first 2 shown]
	s_waitcnt vmcnt(7)
	ds_write_b32 v93, v24 offset:64
	s_waitcnt vmcnt(6)
	ds_write_b32 v93, v25 offset:328
	global_load_dword v20, v[20:21], off
	s_nop 0
	global_load_dword v21, v[22:23], off
	v_add_u32_e32 v22, s43, v91
	v_ashrrev_i32_e32 v23, 31, v22
	v_lshlrev_b64 v[22:23], 2, v[22:23]
	v_add_u32_e32 v24, s44, v91
	v_add_co_u32_e32 v22, vcc, s24, v22
	v_ashrrev_i32_e32 v25, 31, v24
	v_addc_co_u32_e32 v23, vcc, v96, v23, vcc
	v_lshlrev_b64 v[24:25], 2, v[24:25]
	s_waitcnt vmcnt(7)
	ds_write_b32 v93, v26 offset:592
	s_waitcnt vmcnt(6)
	ds_write_b32 v93, v27 offset:856
	;; [unrolled: 2-line block ×6, first 2 shown]
	v_add_u32_e32 v26, s45, v91
	v_add_co_u32_e32 v24, vcc, s24, v24
	v_ashrrev_i32_e32 v27, 31, v26
	v_addc_co_u32_e32 v25, vcc, v96, v25, vcc
	v_lshlrev_b64 v[26:27], 2, v[26:27]
	v_add_u32_e32 v28, s46, v91
	v_add_co_u32_e32 v26, vcc, s24, v26
	v_ashrrev_i32_e32 v29, 31, v28
	v_addc_co_u32_e32 v27, vcc, v96, v27, vcc
	v_lshlrev_b64 v[28:29], 2, v[28:29]
	;; [unrolled: 5-line block ×3, first 2 shown]
	v_add_co_u32_e32 v30, vcc, s24, v30
	v_addc_co_u32_e32 v31, vcc, v96, v31, vcc
	v_add_co_u32_e32 v32, vcc, s24, v32
	v_addc_co_u32_e32 v33, vcc, v96, v33, vcc
	;; [unrolled: 2-line block ×4, first 2 shown]
	global_load_dword v22, v[22:23], off
	s_nop 0
	global_load_dword v23, v[24:25], off
	s_nop 0
	global_load_dword v24, v[26:27], off
	global_load_dword v25, v[28:29], off
	s_nop 0
	global_load_dword v26, v[30:31], off
	;; [unrolled: 3-line block ×3, first 2 shown]
	s_nop 0
	global_load_dword v35, v[36:37], off
	v_add_u32_e32 v28, s51, v91
	v_ashrrev_i32_e32 v29, 31, v28
	v_lshlrev_b64 v[28:29], 2, v[28:29]
	v_add_u32_e32 v30, s52, v91
	v_add_co_u32_e32 v28, vcc, s24, v28
	v_ashrrev_i32_e32 v31, 31, v30
	v_addc_co_u32_e32 v29, vcc, v96, v29, vcc
	v_lshlrev_b64 v[30:31], 2, v[30:31]
	v_add_u32_e32 v32, s53, v91
	v_add_co_u32_e32 v30, vcc, s24, v30
	v_ashrrev_i32_e32 v33, 31, v32
	v_addc_co_u32_e32 v31, vcc, v96, v31, vcc
	;; [unrolled: 5-line block ×3, first 2 shown]
	v_lshlrev_b64 v[36:37], 2, v[36:37]
	v_add_co_u32_e32 v38, vcc, s24, v36
	v_add_u32_e32 v36, s55, v91
	v_addc_co_u32_e32 v39, vcc, v96, v37, vcc
	v_ashrrev_i32_e32 v37, 31, v36
	v_lshlrev_b64 v[36:37], 2, v[36:37]
	v_add_co_u32_e32 v42, vcc, s24, v36
	v_add_u32_e32 v36, s56, v91
	v_addc_co_u32_e32 v43, vcc, v96, v37, vcc
	v_ashrrev_i32_e32 v37, 31, v36
	;; [unrolled: 5-line block ×4, first 2 shown]
	v_lshlrev_b64 v[36:37], 2, v[36:37]
	v_add_co_u32_e32 v48, vcc, s24, v36
	v_addc_co_u32_e32 v49, vcc, v96, v37, vcc
	global_load_dword v36, v[28:29], off
	global_load_dword v37, v[30:31], off
	global_load_dword v40, v[32:33], off
	global_load_dword v41, v[38:39], off
	s_nop 0
	global_load_dword v42, v[42:43], off
	s_nop 0
	global_load_dword v43, v[44:45], off
	;; [unrolled: 2-line block ×3, first 2 shown]
	global_load_dword v45, v[48:49], off
	v_add_u32_e32 v28, s59, v91
	v_ashrrev_i32_e32 v29, 31, v28
	v_lshlrev_b64 v[28:29], 2, v[28:29]
	v_add_u32_e32 v30, s60, v91
	v_add_co_u32_e32 v28, vcc, s24, v28
	v_ashrrev_i32_e32 v31, 31, v30
	v_addc_co_u32_e32 v29, vcc, v96, v29, vcc
	v_lshlrev_b64 v[30:31], 2, v[30:31]
	v_add_u32_e32 v32, s61, v91
	v_add_co_u32_e32 v30, vcc, s24, v30
	v_ashrrev_i32_e32 v33, 31, v32
	v_addc_co_u32_e32 v31, vcc, v96, v31, vcc
	;; [unrolled: 5-line block ×4, first 2 shown]
	v_lshlrev_b64 v[46:47], 2, v[46:47]
	v_add_co_u32_e32 v48, vcc, s24, v46
	v_add_u32_e32 v46, s64, v91
	v_addc_co_u32_e32 v49, vcc, v96, v47, vcc
	v_ashrrev_i32_e32 v47, 31, v46
	v_lshlrev_b64 v[46:47], 2, v[46:47]
	v_add_co_u32_e32 v54, vcc, s24, v46
	v_add_u32_e32 v46, s65, v91
	v_addc_co_u32_e32 v55, vcc, v96, v47, vcc
	v_ashrrev_i32_e32 v47, 31, v46
	;; [unrolled: 5-line block ×3, first 2 shown]
	v_lshlrev_b64 v[46:47], 2, v[46:47]
	v_add_co_u32_e32 v58, vcc, s24, v46
	v_addc_co_u32_e32 v59, vcc, v96, v47, vcc
	global_load_dword v46, v[28:29], off
	global_load_dword v47, v[30:31], off
	;; [unrolled: 1-line block ×6, first 2 shown]
	s_nop 0
	global_load_dword v48, v[56:57], off
	global_load_dword v49, v[58:59], off
	v_add_u32_e32 v28, s67, v91
	v_ashrrev_i32_e32 v29, 31, v28
	v_lshlrev_b64 v[28:29], 2, v[28:29]
	v_add_u32_e32 v30, s68, v91
	v_add_co_u32_e32 v28, vcc, s24, v28
	v_ashrrev_i32_e32 v31, 31, v30
	v_addc_co_u32_e32 v29, vcc, v96, v29, vcc
	v_lshlrev_b64 v[30:31], 2, v[30:31]
	v_add_u32_e32 v32, s69, v91
	v_add_co_u32_e32 v30, vcc, s24, v30
	v_ashrrev_i32_e32 v33, 31, v32
	v_addc_co_u32_e32 v31, vcc, v96, v31, vcc
	;; [unrolled: 5-line block ×6, first 2 shown]
	v_lshlrev_b64 v[58:59], 2, v[58:59]
	v_add_co_u32_e32 v58, vcc, s24, v58
	v_addc_co_u32_e32 v59, vcc, v96, v59, vcc
	v_add_co_u32_e32 v60, vcc, s24, v60
	v_addc_co_u32_e32 v61, vcc, v96, v61, vcc
	global_load_dword v62, v[28:29], off
	global_load_dword v63, v[30:31], off
	;; [unrolled: 1-line block ×8, first 2 shown]
	v_add_u32_e32 v28, s75, v91
	v_ashrrev_i32_e32 v29, 31, v28
	v_lshlrev_b64 v[28:29], 2, v[28:29]
	v_add_u32_e32 v30, s76, v91
	v_add_co_u32_e32 v28, vcc, s24, v28
	v_ashrrev_i32_e32 v31, 31, v30
	v_addc_co_u32_e32 v29, vcc, v96, v29, vcc
	v_lshlrev_b64 v[30:31], 2, v[30:31]
	v_add_u32_e32 v32, s77, v91
	v_add_co_u32_e32 v30, vcc, s24, v30
	v_ashrrev_i32_e32 v33, 31, v32
	v_addc_co_u32_e32 v31, vcc, v96, v31, vcc
	;; [unrolled: 5-line block ×7, first 2 shown]
	v_lshlrev_b64 v[60:61], 2, v[60:61]
	v_add_co_u32_e32 v60, vcc, s24, v60
	v_addc_co_u32_e32 v61, vcc, v96, v61, vcc
	global_load_dword v70, v[28:29], off
	global_load_dword v71, v[30:31], off
	;; [unrolled: 1-line block ×8, first 2 shown]
	v_add_u32_e32 v28, s82, v91
	v_ashrrev_i32_e32 v29, 31, v28
	v_lshlrev_b64 v[28:29], 2, v[28:29]
	v_add_u32_e32 v30, s83, v91
	v_add_co_u32_e32 v28, vcc, s24, v28
	v_ashrrev_i32_e32 v31, 31, v30
	v_addc_co_u32_e32 v29, vcc, v96, v29, vcc
	v_lshlrev_b64 v[30:31], 2, v[30:31]
	v_add_u32_e32 v32, s84, v91
	v_add_co_u32_e32 v30, vcc, s24, v30
	v_ashrrev_i32_e32 v33, 31, v32
	v_addc_co_u32_e32 v31, vcc, v96, v31, vcc
	;; [unrolled: 5-line block ×7, first 2 shown]
	v_lshlrev_b64 v[60:61], 2, v[60:61]
	v_add_co_u32_e32 v60, vcc, s24, v60
	v_addc_co_u32_e32 v61, vcc, v96, v61, vcc
	global_load_dword v78, v[28:29], off
	global_load_dword v79, v[30:31], off
	;; [unrolled: 1-line block ×8, first 2 shown]
	v_add_u32_e32 v28, s90, v91
	v_ashrrev_i32_e32 v29, 31, v28
	v_lshlrev_b64 v[28:29], 2, v[28:29]
	v_add_u32_e32 v30, s91, v91
	v_add_co_u32_e32 v28, vcc, s24, v28
	v_ashrrev_i32_e32 v31, 31, v30
	v_addc_co_u32_e32 v29, vcc, v96, v29, vcc
	v_lshlrev_b64 v[30:31], 2, v[30:31]
	v_add_u32_e32 v32, s92, v91
	v_add_co_u32_e32 v30, vcc, s24, v30
	v_ashrrev_i32_e32 v33, 31, v32
	v_addc_co_u32_e32 v31, vcc, v96, v31, vcc
	;; [unrolled: 5-line block ×5, first 2 shown]
	v_lshlrev_b64 v[56:57], 2, v[56:57]
	v_add_co_u32_e32 v56, vcc, s24, v56
	v_addc_co_u32_e32 v57, vcc, v96, v57, vcc
	global_load_dword v86, v[28:29], off
	global_load_dword v87, v[30:31], off
	;; [unrolled: 1-line block ×6, first 2 shown]
	s_waitcnt vmcnt(55)
	ds_write_b32 v93, v20 offset:2176
	s_waitcnt vmcnt(54)
	ds_write_b32 v93, v21 offset:2440
	s_waitcnt vmcnt(53)
	ds_write_b32 v93, v22 offset:2704
	s_waitcnt vmcnt(52)
	ds_write_b32 v93, v23 offset:2968
	s_waitcnt vmcnt(51)
	ds_write_b32 v93, v24 offset:3232
	s_waitcnt vmcnt(50)
	ds_write_b32 v93, v25 offset:3496
	s_waitcnt vmcnt(49)
	ds_write_b32 v93, v26 offset:3760
	s_waitcnt vmcnt(48)
	ds_write_b32 v93, v27 offset:4024
	ds_read_b64 v[38:39], v94 offset:64
	ds_read_b64 v[32:33], v94 offset:96
	ds_read_b64 v[30:31], v94 offset:128
	ds_read_b64 v[28:29], v94 offset:160
	ds_read_b64 v[26:27], v94 offset:192
	ds_read_b64 v[24:25], v94 offset:224
	ds_read_b64 v[22:23], v94 offset:256
	ds_read_b64 v[20:21], v94 offset:288
	s_waitcnt vmcnt(47)
	ds_write_b32 v93, v34 offset:64
	s_waitcnt vmcnt(46)
	ds_write_b32 v93, v35 offset:328
	s_waitcnt vmcnt(45)
	ds_write_b32 v93, v36 offset:592
	s_waitcnt vmcnt(44)
	ds_write_b32 v93, v37 offset:856
	s_waitcnt vmcnt(43)
	ds_write_b32 v93, v40 offset:1120
	s_waitcnt vmcnt(42)
	ds_write_b32 v93, v41 offset:1384
	s_waitcnt vmcnt(41)
	ds_write_b32 v93, v42 offset:1648
	s_waitcnt vmcnt(40)
	ds_write_b32 v93, v43 offset:1912
	s_waitcnt vmcnt(39)
	ds_write_b32 v93, v44 offset:2176
	s_waitcnt vmcnt(38)
	ds_write_b32 v93, v45 offset:2440
	s_waitcnt vmcnt(37)
	ds_write_b32 v93, v46 offset:2704
	s_waitcnt vmcnt(36)
	ds_write_b32 v93, v47 offset:2968
	s_waitcnt vmcnt(35)
	ds_write_b32 v93, v50 offset:3232
	s_waitcnt vmcnt(34)
	ds_write_b32 v93, v51 offset:3496
	s_waitcnt vmcnt(33)
	ds_write_b32 v93, v52 offset:3760
	s_waitcnt vmcnt(32)
	ds_write_b32 v93, v53 offset:4024
	ds_read_b64 v[52:53], v94 offset:64
	ds_read_b64 v[50:51], v94 offset:96
	ds_read_b64 v[46:47], v94 offset:128
	ds_read_b64 v[44:45], v94 offset:160
	ds_read_b64 v[42:43], v94 offset:192
	ds_read_b64 v[40:41], v94 offset:224
	ds_read_b64 v[36:37], v94 offset:256
	ds_read_b64 v[34:35], v94 offset:288
	s_waitcnt vmcnt(31)
	ds_write_b32 v93, v48 offset:64
	s_waitcnt vmcnt(30)
	ds_write_b32 v93, v49 offset:328
	s_waitcnt vmcnt(29)
	ds_write_b32 v93, v62 offset:592
	s_waitcnt vmcnt(28)
	ds_write_b32 v93, v63 offset:856
	s_waitcnt vmcnt(27)
	ds_write_b32 v93, v64 offset:1120
	s_waitcnt vmcnt(26)
	ds_write_b32 v93, v65 offset:1384
	s_waitcnt vmcnt(25)
	ds_write_b32 v93, v66 offset:1648
	s_waitcnt vmcnt(24)
	ds_write_b32 v93, v67 offset:1912
	s_waitcnt vmcnt(23)
	ds_write_b32 v93, v68 offset:2176
	s_waitcnt vmcnt(22)
	ds_write_b32 v93, v69 offset:2440
	s_waitcnt vmcnt(21)
	ds_write_b32 v93, v70 offset:2704
	s_waitcnt vmcnt(20)
	ds_write_b32 v93, v71 offset:2968
	s_waitcnt vmcnt(19)
	ds_write_b32 v93, v72 offset:3232
	s_waitcnt vmcnt(18)
	ds_write_b32 v93, v73 offset:3496
	s_waitcnt vmcnt(17)
	ds_write_b32 v93, v74 offset:3760
	s_waitcnt vmcnt(16)
	ds_write_b32 v93, v75 offset:4024
	ds_read_b64 v[66:67], v94 offset:64
	ds_read_b64 v[64:65], v94 offset:96
	ds_read_b64 v[62:63], v94 offset:128
	ds_read_b64 v[60:61], v94 offset:160
	ds_read_b64 v[58:59], v94 offset:192
	ds_read_b64 v[56:57], v94 offset:224
	ds_read_b64 v[54:55], v94 offset:256
	ds_read_b64 v[48:49], v94 offset:288
	s_waitcnt vmcnt(15)
	ds_write_b32 v93, v76 offset:64
	s_waitcnt vmcnt(14)
	ds_write_b32 v93, v77 offset:328
	s_waitcnt vmcnt(13)
	ds_write_b32 v93, v78 offset:592
	s_waitcnt vmcnt(12)
	ds_write_b32 v93, v79 offset:856
	s_waitcnt vmcnt(11)
	ds_write_b32 v93, v80 offset:1120
	s_waitcnt vmcnt(10)
	ds_write_b32 v93, v81 offset:1384
	s_waitcnt vmcnt(9)
	ds_write_b32 v93, v82 offset:1648
	s_waitcnt vmcnt(8)
	ds_write_b32 v93, v83 offset:1912
	s_waitcnt vmcnt(7)
	ds_write_b32 v93, v84 offset:2176
	s_waitcnt vmcnt(6)
	ds_write_b32 v93, v85 offset:2440
	;; [unrolled: 2-line block ×8, first 2 shown]
	ds_read_b64 v[82:83], v94 offset:64
	ds_read_b64 v[80:81], v94 offset:96
	;; [unrolled: 1-line block ×8, first 2 shown]
	v_accvgpr_read_b32 v5, a5
	v_accvgpr_read_b32 v4, a4
	;; [unrolled: 1-line block ×10, first 2 shown]
	s_andn2_b64 vcc, exec, s[6:7]
	v_mov_b32_e32 v84, 0
	v_mov_b32_e32 v85, 0
	s_cbranch_vccnz .LBB103_36
; %bb.34:                               ;   in Loop: Header=BB103_33 Depth=1
	ds_read_b32 v86, v92
	v_mov_b32_e32 v85, 0
	v_mov_b32_e32 v84, 0
	s_waitcnt lgkmcnt(0)
	v_cmp_gt_i32_e32 vcc, 0, v86
	s_cbranch_vccnz .LBB103_36
; %bb.35:                               ;   in Loop: Header=BB103_33 Depth=1
	v_mul_lo_u32 v84, v86, s25
	v_add_u32_e32 v84, v95, v84
	v_ashrrev_i32_e32 v85, 31, v84
	v_lshlrev_b64 v[84:85], 2, v[84:85]
	v_mov_b32_e32 v86, s33
	v_add_co_u32_e32 v84, vcc, s27, v84
	v_addc_co_u32_e32 v85, vcc, v86, v85, vcc
	global_load_dwordx2 v[84:85], v[84:85], off
.LBB103_36:                             ;   in Loop: Header=BB103_33 Depth=1
	s_waitcnt vmcnt(0)
	v_cvt_f16_f32_e32 v84, v84
	v_cvt_f16_f32_e32 v85, v85
	s_andn2_b64 vcc, exec, s[12:13]
	v_mov_b32_e32 v86, 0
	v_mov_b32_e32 v87, 0
	v_pack_b32_f16 v84, v84, v85
	ds_write_b32 v93, v84 offset:64
	v_mov_b32_e32 v84, 0
	s_cbranch_vccnz .LBB103_39
; %bb.37:                               ;   in Loop: Header=BB103_33 Depth=1
	ds_read_b32 v85, v92 offset:4
	v_mov_b32_e32 v87, 0
	v_mov_b32_e32 v86, 0
	s_waitcnt lgkmcnt(0)
	v_cmp_gt_i32_e32 vcc, 0, v85
	s_cbranch_vccnz .LBB103_39
; %bb.38:                               ;   in Loop: Header=BB103_33 Depth=1
	v_mul_lo_u32 v85, v85, s25
	v_add_u32_e32 v85, s20, v85
	v_add_u32_e32 v86, v85, v95
	v_ashrrev_i32_e32 v87, 31, v86
	v_lshlrev_b64 v[86:87], 2, v[86:87]
	v_mov_b32_e32 v85, s33
	v_add_co_u32_e32 v86, vcc, s27, v86
	v_addc_co_u32_e32 v87, vcc, v85, v87, vcc
	global_load_dwordx2 v[86:87], v[86:87], off
.LBB103_39:                             ;   in Loop: Header=BB103_33 Depth=1
	s_waitcnt vmcnt(0)
	v_cvt_f16_f32_e32 v85, v86
	v_cvt_f16_f32_e32 v86, v87
	s_andn2_b64 vcc, exec, s[22:23]
	v_pack_b32_f16 v85, v85, v86
	ds_write_b32 v93, v85 offset:328
	v_mov_b32_e32 v85, 0
	s_cbranch_vccnz .LBB103_42
; %bb.40:                               ;   in Loop: Header=BB103_33 Depth=1
	ds_read_b32 v86, v92 offset:8
	v_mov_b32_e32 v85, 0
	v_mov_b32_e32 v84, 0
	s_waitcnt lgkmcnt(0)
	v_cmp_gt_i32_e32 vcc, 0, v86
	s_cbranch_vccnz .LBB103_42
; %bb.41:                               ;   in Loop: Header=BB103_33 Depth=1
	v_mul_lo_u32 v84, v86, s25
	v_add_u32_e32 v84, s36, v84
	v_add_u32_e32 v84, v84, v95
	v_ashrrev_i32_e32 v85, 31, v84
	v_lshlrev_b64 v[84:85], 2, v[84:85]
	v_mov_b32_e32 v86, s33
	v_add_co_u32_e32 v84, vcc, s27, v84
	v_addc_co_u32_e32 v85, vcc, v86, v85, vcc
	global_load_dwordx2 v[84:85], v[84:85], off
.LBB103_42:                             ;   in Loop: Header=BB103_33 Depth=1
	s_waitcnt vmcnt(0)
	v_cvt_f16_f32_e32 v84, v84
	v_cvt_f16_f32_e32 v85, v85
	s_andn2_b64 vcc, exec, s[30:31]
	v_pack_b32_f16 v84, v84, v85
	ds_write_b32 v93, v84 offset:592
	v_mov_b32_e32 v84, 0
	v_mov_b32_e32 v85, 0
	s_cbranch_vccnz .LBB103_32
; %bb.43:                               ;   in Loop: Header=BB103_33 Depth=1
	ds_read_b32 v86, v92 offset:12
	v_mov_b32_e32 v85, 0
	v_mov_b32_e32 v84, 0
	s_waitcnt lgkmcnt(0)
	v_cmp_gt_i32_e32 vcc, 0, v86
	s_cbranch_vccnz .LBB103_32
; %bb.44:                               ;   in Loop: Header=BB103_33 Depth=1
	v_mul_lo_u32 v84, v86, s25
	v_add_u32_e32 v84, s17, v84
	v_add_u32_e32 v84, v84, v95
	v_ashrrev_i32_e32 v85, 31, v84
	v_lshlrev_b64 v[84:85], 2, v[84:85]
	v_mov_b32_e32 v86, s33
	v_add_co_u32_e32 v84, vcc, s27, v84
	v_addc_co_u32_e32 v85, vcc, v86, v85, vcc
	global_load_dwordx2 v[84:85], v[84:85], off
	s_branch .LBB103_32
.LBB103_45:
	s_or_b64 exec, exec, s[18:19]
.LBB103_46:
	s_or_b64 exec, exec, s[4:5]
	v_mul_u32_u24_e32 v0, 0x208, v90
	s_movk_i32 s5, 0x100
	v_lshlrev_b32_e32 v1, 2, v89
	v_add3_u32 v0, s5, v0, v1
	v_and_b32_e32 v2, 0x3f0, v16
	v_add_u32_e32 v3, v0, v2
	s_barrier
	ds_write2_b32 v3, a12, a13 offset0:16 offset1:17
	v_or_b32_e32 v3, 12, v16
	v_add_u32_e32 v1, 64, v0
	v_and_b32_e32 v3, 0x3fc, v3
	v_add_u32_e32 v2, v1, v2
	v_add_u32_e32 v0, v0, v3
	ds_write_b32 v2, a14 offset:8
	ds_write_b32 v0, a15 offset:64
	ds_write2_b32 v2, a4, a5 offset0:16 offset1:17
	ds_write_b32 v2, a6 offset:72
	v_add_u32_e32 v0, v1, v3
	ds_write_b32 v0, a7 offset:64
	ds_write2_b32 v2, a0, a1 offset0:32 offset1:33
	ds_write_b32 v2, a2 offset:136
	ds_write_b32 v0, a3 offset:128
	ds_write2_b32 v2, a8, a9 offset0:48 offset1:49
	ds_write_b32 v2, a10 offset:200
	ds_write_b32 v0, a11 offset:192
	v_mov_b32_e32 v2, 0x100
	s_movk_i32 s4, 0x208
	v_lshl_add_u32 v3, v16, 2, v2
	v_mad_u32_u24 v0, v17, s4, v3
	s_waitcnt lgkmcnt(0)
	s_barrier
	ds_read2_b32 v[0:1], v0 offset0:16 offset1:80
	v_cmp_gt_u32_e32 vcc, 4, v17
	v_mov_b32_e32 v5, -1
	s_and_saveexec_b64 s[4:5], vcc
	s_cbranch_execz .LBB103_48
; %bb.47:
	v_lshl_add_u32 v2, v17, 2, v2
	ds_read_b32 v5, v2
.LBB103_48:
	s_or_b64 exec, exec, s[4:5]
	s_mul_hi_i32 s5, s14, s8
	s_mul_i32 s4, s14, s8
	s_lshl_b64 s[4:5], s[4:5], 2
	s_mul_hi_i32 s7, s9, s21
	s_mul_i32 s6, s9, s21
	s_add_u32 s8, s10, s4
	s_addc_u32 s9, s11, s5
	s_lshl_b64 s[4:5], s[6:7], 2
	s_add_u32 s4, s8, s4
	s_waitcnt lgkmcnt(0)
	v_cmp_lt_i32_e32 vcc, -1, v5
	v_mul_u32_u24_e32 v4, 0x208, v17
	v_add_u32_e32 v2, s15, v16
	s_addc_u32 s5, s9, s5
	s_and_b64 s[6:7], vcc, s[0:1]
	s_and_saveexec_b64 s[0:1], s[6:7]
	s_cbranch_execz .LBB103_50
; %bb.49:
	v_add_f32_e32 v0, 0, v0
	v_add_f32_e32 v6, v0, v1
	v_mul_lo_u32 v0, v5, s26
	v_mul_lo_u32 v1, v17, s21
	v_add3_u32 v0, v2, v1, v0
	v_mov_b32_e32 v1, 0
	v_lshlrev_b64 v[0:1], 2, v[0:1]
	v_mov_b32_e32 v5, s5
	v_add_co_u32_e32 v0, vcc, s4, v0
	v_addc_co_u32_e32 v1, vcc, v5, v1, vcc
	global_store_dword v[0:1], v6, off
.LBB103_50:
	s_or_b64 exec, exec, s[0:1]
	v_add_u32_e32 v0, v4, v3
	v_add_u32_e32 v0, 0x50, v0
	ds_read2st64_b32 v[0:1], v0 offset0:4 offset1:5
	v_cmp_gt_u32_e32 vcc, 2, v17
	v_mov_b32_e32 v3, -1
	s_and_saveexec_b64 s[0:1], vcc
	s_cbranch_execz .LBB103_52
; %bb.51:
	v_mov_b32_e32 v3, 0x100
	v_lshl_add_u32 v3, v17, 2, v3
	ds_read_b32 v3, v3 offset:8
.LBB103_52:
	s_or_b64 exec, exec, s[0:1]
	s_waitcnt lgkmcnt(0)
	v_cmp_lt_i32_e32 vcc, -1, v3
	s_and_b64 s[0:1], vcc, s[2:3]
	s_and_saveexec_b64 s[2:3], s[0:1]
	s_cbranch_execz .LBB103_54
; %bb.53:
	v_add_f32_e32 v0, 0, v0
	v_add_f32_e32 v4, v0, v1
	v_mul_lo_u32 v0, v3, s26
	v_mul_lo_u32 v1, v88, s21
	v_add3_u32 v0, v2, v1, v0
	v_mov_b32_e32 v1, 0
	v_lshlrev_b64 v[0:1], 2, v[0:1]
	v_mov_b32_e32 v2, s5
	v_add_co_u32_e32 v0, vcc, s4, v0
	v_addc_co_u32_e32 v1, vcc, v2, v1, vcc
	global_store_dword v[0:1], v4, off
.LBB103_54:
	s_endpgm
	.section	.rodata,"a",@progbits
	.p2align	6, 0x0
	.amdhsa_kernel _ZL9mul_mat_fI7__half2Li64ELi4ELi2ELb1EEvPKT_PKfPKiPfiiiiiiiiiiiiiiii
		.amdhsa_group_segment_fixed_size 256
		.amdhsa_private_segment_fixed_size 0
		.amdhsa_kernarg_size 352
		.amdhsa_user_sgpr_count 6
		.amdhsa_user_sgpr_private_segment_buffer 1
		.amdhsa_user_sgpr_dispatch_ptr 0
		.amdhsa_user_sgpr_queue_ptr 0
		.amdhsa_user_sgpr_kernarg_segment_ptr 1
		.amdhsa_user_sgpr_dispatch_id 0
		.amdhsa_user_sgpr_flat_scratch_init 0
		.amdhsa_user_sgpr_kernarg_preload_length 0
		.amdhsa_user_sgpr_kernarg_preload_offset 0
		.amdhsa_user_sgpr_private_segment_size 0
		.amdhsa_uses_dynamic_stack 0
		.amdhsa_system_sgpr_private_segment_wavefront_offset 0
		.amdhsa_system_sgpr_workgroup_id_x 1
		.amdhsa_system_sgpr_workgroup_id_y 1
		.amdhsa_system_sgpr_workgroup_id_z 1
		.amdhsa_system_sgpr_workgroup_info 0
		.amdhsa_system_vgpr_workitem_id 2
		.amdhsa_next_free_vgpr 124
		.amdhsa_next_free_sgpr 96
		.amdhsa_accum_offset 104
		.amdhsa_reserve_vcc 1
		.amdhsa_reserve_flat_scratch 0
		.amdhsa_float_round_mode_32 0
		.amdhsa_float_round_mode_16_64 0
		.amdhsa_float_denorm_mode_32 3
		.amdhsa_float_denorm_mode_16_64 3
		.amdhsa_dx10_clamp 1
		.amdhsa_ieee_mode 1
		.amdhsa_fp16_overflow 0
		.amdhsa_tg_split 0
		.amdhsa_exception_fp_ieee_invalid_op 0
		.amdhsa_exception_fp_denorm_src 0
		.amdhsa_exception_fp_ieee_div_zero 0
		.amdhsa_exception_fp_ieee_overflow 0
		.amdhsa_exception_fp_ieee_underflow 0
		.amdhsa_exception_fp_ieee_inexact 0
		.amdhsa_exception_int_div_zero 0
	.end_amdhsa_kernel
	.section	.text._ZL9mul_mat_fI7__half2Li64ELi4ELi2ELb1EEvPKT_PKfPKiPfiiiiiiiiiiiiiiii,"axG",@progbits,_ZL9mul_mat_fI7__half2Li64ELi4ELi2ELb1EEvPKT_PKfPKiPfiiiiiiiiiiiiiiii,comdat
.Lfunc_end103:
	.size	_ZL9mul_mat_fI7__half2Li64ELi4ELi2ELb1EEvPKT_PKfPKiPfiiiiiiiiiiiiiiii, .Lfunc_end103-_ZL9mul_mat_fI7__half2Li64ELi4ELi2ELb1EEvPKT_PKfPKiPfiiiiiiiiiiiiiiii
                                        ; -- End function
	.section	.AMDGPU.csdata,"",@progbits
; Kernel info:
; codeLenInByte = 7012
; NumSgprs: 100
; NumVgprs: 103
; NumAgprs: 20
; TotalNumVgprs: 124
; ScratchSize: 0
; MemoryBound: 0
; FloatMode: 240
; IeeeMode: 1
; LDSByteSize: 256 bytes/workgroup (compile time only)
; SGPRBlocks: 12
; VGPRBlocks: 15
; NumSGPRsForWavesPerEU: 100
; NumVGPRsForWavesPerEU: 124
; AccumOffset: 104
; Occupancy: 4
; WaveLimiterHint : 0
; COMPUTE_PGM_RSRC2:SCRATCH_EN: 0
; COMPUTE_PGM_RSRC2:USER_SGPR: 6
; COMPUTE_PGM_RSRC2:TRAP_HANDLER: 0
; COMPUTE_PGM_RSRC2:TGID_X_EN: 1
; COMPUTE_PGM_RSRC2:TGID_Y_EN: 1
; COMPUTE_PGM_RSRC2:TGID_Z_EN: 1
; COMPUTE_PGM_RSRC2:TIDIG_COMP_CNT: 2
; COMPUTE_PGM_RSRC3_GFX90A:ACCUM_OFFSET: 25
; COMPUTE_PGM_RSRC3_GFX90A:TG_SPLIT: 0
	.section	.text._ZL9mul_mat_fI7__half2Li64ELi4ELi2ELb0EEvPKT_PKfPKiPfiiiiiiiiiiiiiiii,"axG",@progbits,_ZL9mul_mat_fI7__half2Li64ELi4ELi2ELb0EEvPKT_PKfPKiPfiiiiiiiiiiiiiiii,comdat
	.globl	_ZL9mul_mat_fI7__half2Li64ELi4ELi2ELb0EEvPKT_PKfPKiPfiiiiiiiiiiiiiiii ; -- Begin function _ZL9mul_mat_fI7__half2Li64ELi4ELi2ELb0EEvPKT_PKfPKiPfiiiiiiiiiiiiiiii
	.p2align	8
	.type	_ZL9mul_mat_fI7__half2Li64ELi4ELi2ELb0EEvPKT_PKfPKiPfiiiiiiiiiiiiiiii,@function
_ZL9mul_mat_fI7__half2Li64ELi4ELi2ELb0EEvPKT_PKfPKiPfiiiiiiiiiiiiiiii: ; @_ZL9mul_mat_fI7__half2Li64ELi4ELi2ELb0EEvPKT_PKfPKiPfiiiiiiiiiiiiiiii
; %bb.0:
	s_load_dwordx8 s[12:19], s[4:5], 0x40
	s_load_dword s9, s[4:5], 0x20
	s_load_dwordx4 s[0:3], s[4:5], 0x2c
	v_bfe_u32 v88, v0, 10, 10
	v_lshlrev_b32_e32 v90, 6, v88
	v_and_b32_e32 v89, 0x3ff, v0
	s_waitcnt lgkmcnt(0)
	s_abs_i32 s27, s12
	s_abs_i32 s26, s16
	v_cvt_f32_u32_e32 v1, s27
	v_cvt_f32_u32_e32 v2, s26
	v_add_u32_e32 v93, v90, v89
	s_mov_b32 s22, 0
	v_rcp_iflag_f32_e32 v1, v1
	v_rcp_iflag_f32_e32 v2, v2
	s_ashr_i32 s28, s8, 31
	v_cmp_le_i32_e32 vcc, s9, v93
	v_mul_f32_e32 v1, 0x4f7ffffe, v1
	v_mul_f32_e32 v2, 0x4f7ffffe, v2
	v_cvt_u32_f32_e32 v1, v1
	v_cvt_u32_f32_e32 v2, v2
	v_and_b32_e32 v91, 15, v89
	v_readfirstlane_b32 s21, v1
	v_readfirstlane_b32 s20, v2
	s_and_saveexec_b64 s[10:11], vcc
	s_xor_b64 s[10:11], exec, s[10:11]
; %bb.1:
	v_and_b32_e32 v91, 15, v89
                                        ; implicit-def: $vgpr93
; %bb.2:
	s_or_saveexec_b64 s[24:25], s[10:11]
	s_load_dwordx2 s[10:11], s[4:5], 0x18
	s_lshl_b32 s3, s6, 6
	v_accvgpr_write_b32 a0, s22
	v_accvgpr_write_b32 a1, s22
	;; [unrolled: 1-line block ×16, first 2 shown]
	v_lshlrev_b32_e32 v92, 2, v89
	s_xor_b64 exec, exec, s[24:25]
	s_cbranch_execz .LBB104_6
; %bb.3:
	s_sub_i32 s6, 0, s27
	s_sub_i32 s22, 0, s26
	s_mul_i32 s6, s6, s21
	s_mul_i32 s22, s22, s20
	s_mul_hi_u32 s6, s21, s6
	s_mul_hi_u32 s22, s20, s22
	s_abs_i32 s29, s7
	s_add_i32 s6, s21, s6
	s_add_i32 s31, s20, s22
	s_load_dwordx4 s[20:23], s[4:5], 0x0
	s_mul_hi_u32 s4, s29, s6
	s_ashr_i32 s6, s7, 31
	s_ashr_i32 s12, s12, 31
	s_xor_b32 s6, s6, s12
	s_mul_i32 s12, s4, s27
	s_abs_i32 s30, s8
	s_sub_i32 s12, s29, s12
	s_mul_hi_u32 s5, s30, s31
	s_ashr_i32 s16, s16, 31
	s_add_i32 s29, s4, 1
	s_sub_i32 s31, s12, s27
	s_cmp_ge_u32 s12, s27
	s_cselect_b32 s4, s29, s4
	s_cselect_b32 s12, s31, s12
	s_add_i32 s29, s4, 1
	s_cmp_ge_u32 s12, s27
	s_cselect_b32 s4, s29, s4
	s_mul_i32 s12, s5, s26
	s_xor_b32 s4, s4, s6
	s_sub_i32 s12, s30, s12
	s_sub_i32 s6, s4, s6
	s_xor_b32 s4, s28, s16
	s_add_i32 s16, s5, 1
	s_sub_i32 s27, s12, s26
	s_cmp_ge_u32 s12, s26
	s_cselect_b32 s5, s16, s5
	s_cselect_b32 s12, s27, s12
	s_add_i32 s16, s5, 1
	s_cmp_ge_u32 s12, s26
	s_cselect_b32 s5, s16, s5
	s_xor_b32 s5, s5, s4
	s_sub_i32 s4, s5, s4
	s_mul_hi_i32 s5, s4, s17
	s_mul_i32 s4, s4, s17
	s_mul_i32 s12, s6, s13
	s_ashr_i32 s13, s12, 31
	s_lshl_b64 s[26:27], s[4:5], 2
	s_mul_i32 s16, s3, s0
	s_waitcnt lgkmcnt(0)
	s_add_u32 s6, s20, s26
	s_addc_u32 s29, s21, s27
	s_ashr_i32 s17, s16, 31
	s_lshl_b64 s[16:17], s[16:17], 2
	s_lshl_b64 s[12:13], s[12:13], 2
	s_mul_hi_i32 s5, s18, s8
	s_mul_i32 s4, s18, s8
	s_add_u32 s18, s12, s16
	s_addc_u32 s30, s13, s17
	s_mul_i32 s28, s7, s14
	s_add_u32 s6, s18, s6
	s_addc_u32 s73, s30, s29
	s_ashr_i32 s29, s28, 31
	s_lshl_b64 s[16:17], s[4:5], 2
	s_lshl_b64 s[4:5], s[28:29], 2
	s_add_u32 s22, s22, s4
	s_addc_u32 s23, s23, s5
	s_add_u32 s14, s22, s16
	s_movk_i32 s4, 0x1080
	s_addc_u32 s74, s23, s17
	v_mad_u32_u24 v0, v88, s4, 0
	s_ashr_i32 s5, s0, 31
	s_mov_b32 s4, s0
	v_lshrrev_b32_e32 v2, 1, v89
	s_ashr_i32 s13, s1, 31
	s_lshl_b64 s[4:5], s[4:5], 2
	v_mul_u32_u24_e32 v1, 0x108, v91
	v_and_b32_e32 v2, 0x1f8, v2
	s_add_u32 s18, s18, s26
	v_add_u32_e32 v94, v0, v92
	v_add3_u32 v95, v0, v1, v2
	v_lshlrev_b32_e32 v0, 8, v88
	s_addc_u32 s26, s30, s27
	v_mov_b32_e32 v1, s26
	v_add_co_u32_e32 v0, vcc, s18, v0
	v_addc_co_u32_e32 v1, vcc, 0, v1, vcc
	v_add_co_u32_e32 v0, vcc, v0, v92
	v_addc_co_u32_e32 v1, vcc, 0, v1, vcc
	v_mov_b32_e32 v2, s21
	v_add_co_u32_e32 v16, vcc, s20, v0
	v_addc_co_u32_e32 v17, vcc, v2, v1, vcc
	v_lshlrev_b32_e32 v0, 9, v88
	v_mov_b32_e32 v1, s17
	v_add_co_u32_e32 v0, vcc, s16, v0
	v_addc_co_u32_e32 v1, vcc, 0, v1, vcc
	v_lshlrev_b32_e32 v2, 3, v89
	v_add_co_u32_e32 v0, vcc, v0, v2
	s_mov_b32 s12, s1
	v_addc_co_u32_e32 v1, vcc, 0, v1, vcc
	s_lshl_b64 s[12:13], s[12:13], 3
	v_mov_b32_e32 v2, s23
	v_add_co_u32_e32 v18, vcc, s22, v0
	v_addc_co_u32_e32 v19, vcc, v2, v1, vcc
	s_mul_i32 s16, s0, 63
	s_lshl_b32 s17, s1, 1
	s_mul_i32 s18, s1, 3
	s_lshl_b32 s20, s0, 1
	;; [unrolled: 2-line block ×3, first 2 shown]
	s_mul_i32 s23, s0, 5
	s_mul_i32 s26, s0, 6
	;; [unrolled: 1-line block ×3, first 2 shown]
	s_lshl_b32 s28, s0, 3
	s_mul_i32 s29, s0, 9
	s_mul_i32 s30, s0, 10
	;; [unrolled: 1-line block ×7, first 2 shown]
	s_lshl_b32 s37, s0, 4
	s_mul_i32 s38, s0, 17
	s_mul_i32 s39, s0, 18
	;; [unrolled: 1-line block ×15, first 2 shown]
	s_lshl_b32 s53, s0, 5
	s_mul_i32 s54, s0, 33
	s_mul_i32 s55, s0, 34
	;; [unrolled: 1-line block ×19, first 2 shown]
	v_mov_b32_e32 v96, s73
	s_mul_i32 s73, s0, 52
	v_mov_b32_e32 v97, s74
	s_mul_i32 s74, s0, 53
	v_mov_b32_e32 v98, 0
	v_accvgpr_write_b32 a15, 0
	v_accvgpr_write_b32 a14, 0
	;; [unrolled: 1-line block ×16, first 2 shown]
	v_mov_b32_e32 v99, s5
	v_mov_b32_e32 v100, s13
	s_mul_i32 s5, s0, 54
	s_mul_i32 s13, s0, 55
	;; [unrolled: 1-line block ×9, first 2 shown]
	s_mov_b64 s[0:1], 0
.LBB104_4:                              ; =>This Inner Loop Header: Depth=1
	global_load_dword v20, v[16:17], off
	v_add_u32_e32 v36, s37, v93
	v_ashrrev_i32_e32 v37, 31, v36
	v_lshlrev_b64 v[36:37], 2, v[36:37]
	v_add_u32_e32 v52, s53, v93
	v_ashrrev_i32_e32 v53, 31, v52
	v_lshlrev_b64 v[52:53], 2, v[52:53]
	;; [unrolled: 3-line block ×3, first 2 shown]
	v_accvgpr_read_b32 v0, a12
	v_accvgpr_read_b32 v4, a8
	;; [unrolled: 1-line block ×16, first 2 shown]
	v_accvgpr_write_b32 a0, v0
	v_accvgpr_write_b32 a4, v4
	;; [unrolled: 1-line block ×16, first 2 shown]
	s_waitcnt vmcnt(0)
	ds_write_b32 v94, v20
	v_add_co_u32_e32 v20, vcc, s4, v16
	v_addc_co_u32_e32 v21, vcc, v17, v99, vcc
	global_load_dword v20, v[20:21], off
	s_waitcnt vmcnt(0)
	ds_write_b32 v94, v20 offset:264
	v_add_u32_e32 v20, s20, v93
	v_ashrrev_i32_e32 v21, 31, v20
	v_lshlrev_b64 v[20:21], 2, v[20:21]
	v_add_co_u32_e32 v20, vcc, s6, v20
	v_addc_co_u32_e32 v21, vcc, v96, v21, vcc
	global_load_dword v20, v[20:21], off
	s_waitcnt vmcnt(0)
	ds_write_b32 v94, v20 offset:528
	v_add_u32_e32 v20, s21, v93
	v_ashrrev_i32_e32 v21, 31, v20
	v_lshlrev_b64 v[20:21], 2, v[20:21]
	;; [unrolled: 8-line block ×14, first 2 shown]
	v_add_co_u32_e32 v20, vcc, s6, v20
	v_addc_co_u32_e32 v21, vcc, v96, v21, vcc
	global_load_dword v20, v[20:21], off
	v_add_co_u32_e32 v36, vcc, s6, v36
	v_addc_co_u32_e32 v37, vcc, v96, v37, vcc
	s_waitcnt vmcnt(0)
	ds_write_b32 v94, v20 offset:3960
	ds_read_b64 v[34:35], v95
	ds_read_b64 v[32:33], v95 offset:32
	ds_read_b64 v[30:31], v95 offset:64
	;; [unrolled: 1-line block ×7, first 2 shown]
	global_load_dword v36, v[36:37], off
	s_waitcnt vmcnt(0)
	ds_write_b32 v94, v36
	v_add_u32_e32 v36, s38, v93
	v_ashrrev_i32_e32 v37, 31, v36
	v_lshlrev_b64 v[36:37], 2, v[36:37]
	v_add_co_u32_e32 v36, vcc, s6, v36
	v_addc_co_u32_e32 v37, vcc, v96, v37, vcc
	global_load_dword v36, v[36:37], off
	s_waitcnt vmcnt(0)
	ds_write_b32 v94, v36 offset:264
	v_add_u32_e32 v36, s39, v93
	v_ashrrev_i32_e32 v37, 31, v36
	v_lshlrev_b64 v[36:37], 2, v[36:37]
	v_add_co_u32_e32 v36, vcc, s6, v36
	v_addc_co_u32_e32 v37, vcc, v96, v37, vcc
	global_load_dword v36, v[36:37], off
	s_waitcnt vmcnt(0)
	ds_write_b32 v94, v36 offset:528
	;; [unrolled: 8-line block ×14, first 2 shown]
	v_add_u32_e32 v36, s52, v93
	v_ashrrev_i32_e32 v37, 31, v36
	v_lshlrev_b64 v[36:37], 2, v[36:37]
	v_add_co_u32_e32 v36, vcc, s6, v36
	v_addc_co_u32_e32 v37, vcc, v96, v37, vcc
	global_load_dword v36, v[36:37], off
	v_add_co_u32_e32 v52, vcc, s6, v52
	v_addc_co_u32_e32 v53, vcc, v96, v53, vcc
	s_waitcnt vmcnt(0)
	ds_write_b32 v94, v36 offset:3960
	ds_read_b64 v[50:51], v95
	ds_read_b64 v[48:49], v95 offset:32
	ds_read_b64 v[46:47], v95 offset:64
	;; [unrolled: 1-line block ×7, first 2 shown]
	global_load_dword v52, v[52:53], off
	s_waitcnt vmcnt(0)
	ds_write_b32 v94, v52
	v_add_u32_e32 v52, s54, v93
	v_ashrrev_i32_e32 v53, 31, v52
	v_lshlrev_b64 v[52:53], 2, v[52:53]
	v_add_co_u32_e32 v52, vcc, s6, v52
	v_addc_co_u32_e32 v53, vcc, v96, v53, vcc
	global_load_dword v52, v[52:53], off
	s_waitcnt vmcnt(0)
	ds_write_b32 v94, v52 offset:264
	v_add_u32_e32 v52, s55, v93
	v_ashrrev_i32_e32 v53, 31, v52
	v_lshlrev_b64 v[52:53], 2, v[52:53]
	v_add_co_u32_e32 v52, vcc, s6, v52
	v_addc_co_u32_e32 v53, vcc, v96, v53, vcc
	global_load_dword v52, v[52:53], off
	s_waitcnt vmcnt(0)
	ds_write_b32 v94, v52 offset:528
	;; [unrolled: 8-line block ×14, first 2 shown]
	v_add_u32_e32 v52, s68, v93
	v_ashrrev_i32_e32 v53, 31, v52
	v_lshlrev_b64 v[52:53], 2, v[52:53]
	v_add_co_u32_e32 v52, vcc, s6, v52
	v_addc_co_u32_e32 v53, vcc, v96, v53, vcc
	global_load_dword v52, v[52:53], off
	v_add_co_u32_e32 v68, vcc, s6, v68
	v_addc_co_u32_e32 v69, vcc, v96, v69, vcc
	s_waitcnt vmcnt(0)
	ds_write_b32 v94, v52 offset:3960
	ds_read_b64 v[66:67], v95
	ds_read_b64 v[64:65], v95 offset:32
	ds_read_b64 v[62:63], v95 offset:64
	;; [unrolled: 1-line block ×7, first 2 shown]
	global_load_dword v68, v[68:69], off
	s_waitcnt vmcnt(0)
	ds_write_b32 v94, v68
	v_add_u32_e32 v68, s70, v93
	v_ashrrev_i32_e32 v69, 31, v68
	v_lshlrev_b64 v[68:69], 2, v[68:69]
	v_add_co_u32_e32 v68, vcc, s6, v68
	v_addc_co_u32_e32 v69, vcc, v96, v69, vcc
	global_load_dword v68, v[68:69], off
	s_waitcnt vmcnt(0)
	ds_write_b32 v94, v68 offset:264
	v_add_u32_e32 v68, s71, v93
	v_ashrrev_i32_e32 v69, 31, v68
	v_lshlrev_b64 v[68:69], 2, v[68:69]
	v_add_co_u32_e32 v68, vcc, s6, v68
	v_addc_co_u32_e32 v69, vcc, v96, v69, vcc
	global_load_dword v68, v[68:69], off
	s_waitcnt vmcnt(0)
	ds_write_b32 v94, v68 offset:528
	;; [unrolled: 8-line block ×15, first 2 shown]
	ds_read_b64 v[82:83], v95
	ds_read_b64 v[80:81], v95 offset:32
	ds_read_b64 v[78:79], v95 offset:64
	;; [unrolled: 1-line block ×7, first 2 shown]
	global_load_dwordx2 v[84:85], v[18:19], off
	s_waitcnt vmcnt(0)
	v_cvt_f16_f32_e32 v84, v84
	v_cvt_f16_f32_e32 v85, v85
	v_pack_b32_f16 v84, v84, v85
	ds_write_b32 v94, v84
	v_add_co_u32_e32 v84, vcc, s12, v18
	v_addc_co_u32_e32 v85, vcc, v19, v100, vcc
	global_load_dwordx2 v[84:85], v[84:85], off
	s_waitcnt vmcnt(0)
	v_cvt_f16_f32_e32 v84, v84
	v_cvt_f16_f32_e32 v85, v85
	v_pack_b32_f16 v84, v84, v85
	ds_write_b32 v94, v84 offset:264
	v_add_u32_e32 v84, s17, v93
	v_ashrrev_i32_e32 v85, 31, v84
	v_lshlrev_b64 v[84:85], 3, v[84:85]
	v_add_co_u32_e32 v84, vcc, s14, v84
	v_addc_co_u32_e32 v85, vcc, v97, v85, vcc
	global_load_dwordx2 v[84:85], v[84:85], off
	s_waitcnt vmcnt(0)
	v_cvt_f16_f32_e32 v84, v84
	v_cvt_f16_f32_e32 v85, v85
	v_pack_b32_f16 v84, v84, v85
	ds_write_b32 v94, v84 offset:528
	v_add_u32_e32 v84, s18, v93
	v_ashrrev_i32_e32 v85, 31, v84
	v_lshlrev_b64 v[84:85], 3, v[84:85]
	v_add_co_u32_e32 v84, vcc, s14, v84
	v_addc_co_u32_e32 v85, vcc, v97, v85, vcc
	global_load_dwordx2 v[84:85], v[84:85], off
	v_add_co_u32_e32 v16, vcc, 0x200, v16
	v_addc_co_u32_e32 v17, vcc, 0, v17, vcc
	v_add_co_u32_e32 v18, vcc, 0x400, v18
	v_add_u32_e32 v93, 0x80, v93
	v_addc_co_u32_e32 v19, vcc, 0, v19, vcc
	v_cmp_le_i32_e32 vcc, s9, v93
	s_or_b64 s[0:1], vcc, s[0:1]
	s_waitcnt vmcnt(0)
	v_cvt_f16_f32_e32 v84, v84
	v_cvt_f16_f32_e32 v85, v85
	v_pack_b32_f16 v84, v84, v85
	ds_write_b32 v94, v84 offset:792
	ds_write_b32 v94, v98 offset:1056
	;; [unrolled: 1-line block ×13, first 2 shown]
	ds_read_b64 v[86:87], v95
	ds_read_b64 v[84:85], v95 offset:32
	s_waitcnt lgkmcnt(1)
	v_mfma_f32_16x16x16f16 a[0:3], v[34:35], v[86:87], a[0:3]
	ds_read_b64 v[0:1], v95 offset:64
	v_mfma_f32_16x16x16f16 a[4:7], v[50:51], v[86:87], a[4:7]
	v_mfma_f32_16x16x16f16 a[8:11], v[66:67], v[86:87], a[8:11]
	;; [unrolled: 1-line block ×3, first 2 shown]
	s_waitcnt lgkmcnt(1)
	v_mfma_f32_16x16x16f16 a[0:3], v[32:33], v[84:85], a[0:3]
	v_mfma_f32_16x16x16f16 a[4:7], v[48:49], v[84:85], a[4:7]
	v_mfma_f32_16x16x16f16 a[8:11], v[64:65], v[84:85], a[8:11]
	v_mfma_f32_16x16x16f16 a[12:15], v[80:81], v[84:85], a[12:15]
	s_waitcnt lgkmcnt(0)
	v_mfma_f32_16x16x16f16 a[0:3], v[30:31], v[0:1], a[0:3]
	v_mfma_f32_16x16x16f16 a[4:7], v[46:47], v[0:1], a[4:7]
	v_mfma_f32_16x16x16f16 a[8:11], v[62:63], v[0:1], a[8:11]
	v_mfma_f32_16x16x16f16 a[12:15], v[78:79], v[0:1], a[12:15]
	ds_read_b64 v[0:1], v95 offset:96
	s_waitcnt lgkmcnt(0)
	v_mfma_f32_16x16x16f16 a[0:3], v[28:29], v[0:1], a[0:3]
	v_mfma_f32_16x16x16f16 a[4:7], v[44:45], v[0:1], a[4:7]
	v_mfma_f32_16x16x16f16 a[8:11], v[60:61], v[0:1], a[8:11]
	v_mfma_f32_16x16x16f16 a[12:15], v[76:77], v[0:1], a[12:15]
	ds_read_b64 v[0:1], v95 offset:128
	;; [unrolled: 6-line block ×5, first 2 shown]
	s_waitcnt lgkmcnt(0)
	v_mfma_f32_16x16x16f16 a[12:15], v[20:21], v[0:1], a[0:3]
	v_mfma_f32_16x16x16f16 a[8:11], v[36:37], v[0:1], a[4:7]
	;; [unrolled: 1-line block ×4, first 2 shown]
	s_andn2_b64 exec, exec, s[0:1]
	s_cbranch_execnz .LBB104_4
; %bb.5:
	s_or_b64 exec, exec, s[0:1]
.LBB104_6:
	s_or_b64 exec, exec, s[24:25]
	v_mul_u32_u24_e32 v0, 0x208, v91
	v_lshlrev_b32_e32 v1, 2, v90
	v_or_b32_e32 v2, 12, v89
	v_add3_u32 v0, 0, v0, v1
	v_and_b32_e32 v1, 0x3f0, v89
	v_and_b32_e32 v2, 0x3fc, v2
	v_add_u32_e32 v1, v0, v1
	v_add_u32_e32 v0, v0, v2
	s_waitcnt lgkmcnt(0)
	s_barrier
	ds_write2_b32 v1, a12, a13 offset1:1
	ds_write_b32 v1, a14 offset:8
	ds_write_b32 v0, a15
	ds_write2_b32 v1, a8, a9 offset0:16 offset1:17
	ds_write_b32 v1, a10 offset:72
	ds_write_b32 v0, a11 offset:64
	ds_write2_b32 v1, a4, a5 offset0:32 offset1:33
	ds_write_b32 v1, a6 offset:136
	ds_write_b32 v0, a7 offset:128
	ds_write2_b32 v1, a0, a1 offset0:48 offset1:49
	ds_write_b32 v1, a2 offset:200
	ds_write_b32 v0, a3 offset:192
	v_mul_u32_u24_e32 v0, 0x208, v88
	v_add3_u32 v4, 0, v92, v0
	s_waitcnt lgkmcnt(0)
	s_barrier
	ds_read2st64_b32 v[0:1], v4 offset1:1
	s_mul_hi_i32 s1, s19, s8
	s_mul_i32 s0, s19, s8
	s_lshl_b64 s[0:1], s[0:1], 2
	s_add_u32 s4, s10, s0
	s_mul_i32 s0, s7, s15
	s_addc_u32 s5, s11, s1
	s_ashr_i32 s1, s0, 31
	s_waitcnt lgkmcnt(0)
	v_add_f32_e32 v0, 0, v0
	v_add_u32_e32 v4, 16, v4
	s_lshl_b64 s[0:1], s[0:1], 2
	v_add_f32_e32 v6, v0, v1
	v_mul_lo_u32 v0, v88, s2
	ds_read2st64_b32 v[4:5], v4 offset0:4 offset1:5
	s_add_u32 s0, s4, s0
	v_add3_u32 v0, s3, v89, v0
	v_mov_b32_e32 v1, 0
	s_addc_u32 s1, s5, s1
	v_lshlrev_b64 v[2:3], 2, v[0:1]
	v_mov_b32_e32 v7, s1
	v_add_co_u32_e32 v2, vcc, s0, v2
	v_lshl_add_u32 v0, s2, 1, v0
	v_addc_co_u32_e32 v3, vcc, v7, v3, vcc
	v_lshlrev_b64 v[0:1], 2, v[0:1]
	global_store_dword v[2:3], v6, off
	s_waitcnt lgkmcnt(0)
	v_add_f32_e32 v2, 0, v4
	v_mov_b32_e32 v3, s1
	v_add_co_u32_e32 v0, vcc, s0, v0
	v_add_f32_e32 v2, v2, v5
	v_addc_co_u32_e32 v1, vcc, v3, v1, vcc
	global_store_dword v[0:1], v2, off
	s_endpgm
	.section	.rodata,"a",@progbits
	.p2align	6, 0x0
	.amdhsa_kernel _ZL9mul_mat_fI7__half2Li64ELi4ELi2ELb0EEvPKT_PKfPKiPfiiiiiiiiiiiiiiii
		.amdhsa_group_segment_fixed_size 0
		.amdhsa_private_segment_fixed_size 0
		.amdhsa_kernarg_size 96
		.amdhsa_user_sgpr_count 6
		.amdhsa_user_sgpr_private_segment_buffer 1
		.amdhsa_user_sgpr_dispatch_ptr 0
		.amdhsa_user_sgpr_queue_ptr 0
		.amdhsa_user_sgpr_kernarg_segment_ptr 1
		.amdhsa_user_sgpr_dispatch_id 0
		.amdhsa_user_sgpr_flat_scratch_init 0
		.amdhsa_user_sgpr_kernarg_preload_length 0
		.amdhsa_user_sgpr_kernarg_preload_offset 0
		.amdhsa_user_sgpr_private_segment_size 0
		.amdhsa_uses_dynamic_stack 0
		.amdhsa_system_sgpr_private_segment_wavefront_offset 0
		.amdhsa_system_sgpr_workgroup_id_x 1
		.amdhsa_system_sgpr_workgroup_id_y 1
		.amdhsa_system_sgpr_workgroup_id_z 1
		.amdhsa_system_sgpr_workgroup_info 0
		.amdhsa_system_vgpr_workitem_id 1
		.amdhsa_next_free_vgpr 128
		.amdhsa_next_free_sgpr 82
		.amdhsa_accum_offset 104
		.amdhsa_reserve_vcc 1
		.amdhsa_reserve_flat_scratch 0
		.amdhsa_float_round_mode_32 0
		.amdhsa_float_round_mode_16_64 0
		.amdhsa_float_denorm_mode_32 3
		.amdhsa_float_denorm_mode_16_64 3
		.amdhsa_dx10_clamp 1
		.amdhsa_ieee_mode 1
		.amdhsa_fp16_overflow 0
		.amdhsa_tg_split 0
		.amdhsa_exception_fp_ieee_invalid_op 0
		.amdhsa_exception_fp_denorm_src 0
		.amdhsa_exception_fp_ieee_div_zero 0
		.amdhsa_exception_fp_ieee_overflow 0
		.amdhsa_exception_fp_ieee_underflow 0
		.amdhsa_exception_fp_ieee_inexact 0
		.amdhsa_exception_int_div_zero 0
	.end_amdhsa_kernel
	.section	.text._ZL9mul_mat_fI7__half2Li64ELi4ELi2ELb0EEvPKT_PKfPKiPfiiiiiiiiiiiiiiii,"axG",@progbits,_ZL9mul_mat_fI7__half2Li64ELi4ELi2ELb0EEvPKT_PKfPKiPfiiiiiiiiiiiiiiii,comdat
.Lfunc_end104:
	.size	_ZL9mul_mat_fI7__half2Li64ELi4ELi2ELb0EEvPKT_PKfPKiPfiiiiiiiiiiiiiiii, .Lfunc_end104-_ZL9mul_mat_fI7__half2Li64ELi4ELi2ELb0EEvPKT_PKfPKiPfiiiiiiiiiiiiiiii
                                        ; -- End function
	.section	.AMDGPU.csdata,"",@progbits
; Kernel info:
; codeLenInByte = 5468
; NumSgprs: 86
; NumVgprs: 101
; NumAgprs: 24
; TotalNumVgprs: 128
; ScratchSize: 0
; MemoryBound: 0
; FloatMode: 240
; IeeeMode: 1
; LDSByteSize: 0 bytes/workgroup (compile time only)
; SGPRBlocks: 10
; VGPRBlocks: 15
; NumSGPRsForWavesPerEU: 86
; NumVGPRsForWavesPerEU: 128
; AccumOffset: 104
; Occupancy: 4
; WaveLimiterHint : 0
; COMPUTE_PGM_RSRC2:SCRATCH_EN: 0
; COMPUTE_PGM_RSRC2:USER_SGPR: 6
; COMPUTE_PGM_RSRC2:TRAP_HANDLER: 0
; COMPUTE_PGM_RSRC2:TGID_X_EN: 1
; COMPUTE_PGM_RSRC2:TGID_Y_EN: 1
; COMPUTE_PGM_RSRC2:TGID_Z_EN: 1
; COMPUTE_PGM_RSRC2:TIDIG_COMP_CNT: 1
; COMPUTE_PGM_RSRC3_GFX90A:ACCUM_OFFSET: 25
; COMPUTE_PGM_RSRC3_GFX90A:TG_SPLIT: 0
	.section	.text._ZL13mul_mat_f_idsI7__half2Li64ELi4ELi3EEvPKT_PKfPKiS7_S7_Pfiiiiiiiiiiiiii15HIP_vector_typeIjLj3EESA_,"axG",@progbits,_ZL13mul_mat_f_idsI7__half2Li64ELi4ELi3EEvPKT_PKfPKiS7_S7_Pfiiiiiiiiiiiiii15HIP_vector_typeIjLj3EESA_,comdat
	.globl	_ZL13mul_mat_f_idsI7__half2Li64ELi4ELi3EEvPKT_PKfPKiS7_S7_Pfiiiiiiiiiiiiii15HIP_vector_typeIjLj3EESA_ ; -- Begin function _ZL13mul_mat_f_idsI7__half2Li64ELi4ELi3EEvPKT_PKfPKiS7_S7_Pfiiiiiiiiiiiiii15HIP_vector_typeIjLj3EESA_
	.p2align	8
	.type	_ZL13mul_mat_f_idsI7__half2Li64ELi4ELi3EEvPKT_PKfPKiS7_S7_Pfiiiiiiiiiiiiii15HIP_vector_typeIjLj3EESA_,@function
_ZL13mul_mat_f_idsI7__half2Li64ELi4ELi3EEvPKT_PKfPKiS7_S7_Pfiiiiiiiiiiiiii15HIP_vector_typeIjLj3EESA_: ; @_ZL13mul_mat_f_idsI7__half2Li64ELi4ELi3EEvPKT_PKfPKiS7_S7_Pfiiiiiiiiiiiiii15HIP_vector_typeIjLj3EESA_
; %bb.0:
	s_load_dwordx2 s[0:1], s[4:5], 0x20
	s_mov_b32 s34, s7
	s_ashr_i32 s35, s7, 31
	s_lshl_b64 s[2:3], s[34:35], 2
	s_waitcnt lgkmcnt(0)
	s_add_u32 s0, s0, s2
	s_addc_u32 s1, s1, s3
	s_load_dwordx2 s[26:27], s[0:1], 0x0
	s_waitcnt lgkmcnt(0)
	s_sub_i32 s33, s27, s26
	s_add_i32 s0, s33, 3
	s_ashr_i32 s1, s0, 31
	s_lshr_b32 s1, s1, 30
	s_add_i32 s0, s0, s1
	s_ashr_i32 s0, s0, 2
	s_cmp_ge_i32 s8, s0
	s_cbranch_scc1 .LBB105_26
; %bb.1:
	v_bfe_u32 v90, v0, 10, 10
	v_lshlrev_b32_e32 v92, 6, v90
	v_and_b32_e32 v91, 0x3ff, v0
	s_load_dwordx4 s[12:15], s[4:5], 0x30
	s_load_dwordx2 s[20:21], s[4:5], 0x40
	s_load_dwordx4 s[0:3], s[4:5], 0x4c
	s_load_dwordx4 s[16:19], s[4:5], 0x68
	s_load_dwordx2 s[24:25], s[4:5], 0x78
	v_add_u32_e32 v94, v92, v91
	s_ashr_i32 s27, s26, 31
	s_waitcnt lgkmcnt(0)
	v_cmp_le_i32_e32 vcc, s12, v94
	v_and_b32_e32 v93, 15, v91
                                        ; implicit-def: $sgpr3
	s_and_saveexec_b64 s[10:11], vcc
	s_xor_b64 s[10:11], exec, s[10:11]
; %bb.2:
	v_and_b32_e32 v93, 15, v91
	s_mov_b32 s3, 0
                                        ; implicit-def: $vgpr94
; %bb.3:
	s_or_saveexec_b64 s[22:23], s[10:11]
	s_load_dwordx2 s[10:11], s[4:5], 0x18
                                        ; implicit-def: $vgpr101 : SGPR spill to VGPR lane
	s_lshl_b32 s7, s6, 6
	s_lshl_b32 s6, s8, 2
	v_accvgpr_write_b32 a0, s3
	v_accvgpr_write_b32 a1, s3
	s_waitcnt lgkmcnt(0)
	v_writelane_b32 v101, s10, 0
	v_writelane_b32 v101, s11, 1
	s_load_dwordx2 s[10:11], s[4:5], 0x28
	v_accvgpr_write_b32 a2, s3
	v_accvgpr_write_b32 a3, s3
	;; [unrolled: 1-line block ×4, first 2 shown]
	s_waitcnt lgkmcnt(0)
	v_writelane_b32 v101, s10, 2
	v_writelane_b32 v101, s11, 3
	v_accvgpr_write_b32 a6, s3
	v_accvgpr_write_b32 a7, s3
	;; [unrolled: 1-line block ×10, first 2 shown]
	v_writelane_b32 v101, s22, 4
	v_writelane_b32 v101, s23, 5
	s_xor_b64 exec, exec, s[22:23]
	s_cbranch_execz .LBB105_19
; %bb.4:
	v_writelane_b32 v101, s24, 6
	v_writelane_b32 v101, s25, 7
	s_load_dwordx4 s[8:11], s[4:5], 0x0
	s_load_dwordx2 s[22:23], s[4:5], 0x10
	s_mul_i32 s4, s34, s0
	s_mul_i32 s24, s7, s15
	s_ashr_i32 s5, s4, 31
	s_ashr_i32 s25, s24, 31
	s_lshl_b64 s[24:25], s[24:25], 2
	s_lshl_b64 s[4:5], s[4:5], 2
	s_add_u32 s3, s4, s24
	s_addc_u32 s24, s5, s25
	s_waitcnt lgkmcnt(0)
	s_add_u32 s0, s3, s8
	s_addc_u32 s25, s24, s9
	s_lshl_b64 s[4:5], s[26:27], 2
	s_add_u32 s28, s22, s4
	s_addc_u32 s29, s23, s5
	s_movk_i32 s4, 0x1080
	s_cmp_lt_i32 s6, s33
	v_writelane_b32 v101, s7, 8
	v_mad_u32_u24 v0, v90, s4, 0
	s_cselect_b64 s[4:5], -1, 0
	s_ashr_i32 s7, s6, 31
	s_lshl_b64 s[22:23], s[6:7], 2
	s_add_u32 s34, s28, s22
	v_lshrrev_b32_e32 v3, 1, v91
	s_addc_u32 s35, s29, s23
	s_or_b32 s7, s6, 1
	v_lshlrev_b32_e32 v1, 2, v91
	v_mul_u32_u24_e32 v2, 0x108, v93
	v_and_b32_e32 v3, 0x1f8, v3
	s_cmp_lt_i32 s7, s33
	v_add_u32_e32 v95, v0, v1
	v_add3_u32 v96, v0, v2, v3
	s_cselect_b64 s[36:37], -1, 0
	s_or_b32 s7, s6, 2
	v_lshlrev_b32_e32 v0, 8, v90
	s_cmp_lt_i32 s7, s33
	v_mov_b32_e32 v2, s24
	v_add_co_u32_e32 v0, vcc, s3, v0
	s_cselect_b64 s[38:39], -1, 0
	s_or_b32 s7, s6, 3
	v_addc_co_u32_e32 v2, vcc, 0, v2, vcc
	s_cmp_lt_i32 s7, s33
	v_add_co_u32_e32 v0, vcc, v0, v1
	s_cselect_b64 s[40:41], -1, 0
	s_ashr_i32 s23, s15, 31
	s_mov_b32 s22, s15
	v_addc_co_u32_e32 v1, vcc, 0, v2, vcc
	s_lshl_b64 s[42:43], s[22:23], 2
	v_mov_b32_e32 v2, s9
	v_add_co_u32_e32 v16, vcc, s8, v0
	v_addc_co_u32_e32 v17, vcc, v2, v1, vcc
	s_lshl_b32 s7, s15, 1
	s_mul_i32 s44, s15, 3
	s_lshl_b32 s45, s15, 2
	s_mul_i32 s46, s15, 5
	s_mul_i32 s47, s15, 6
	;; [unrolled: 1-line block ×3, first 2 shown]
	s_lshl_b32 s49, s15, 3
	s_mul_i32 s50, s15, 9
	s_mul_i32 s51, s15, 10
	;; [unrolled: 1-line block ×7, first 2 shown]
	s_lshl_b32 s57, s15, 4
	s_mul_i32 s58, s15, 17
	s_mul_i32 s59, s15, 18
	;; [unrolled: 1-line block ×15, first 2 shown]
	s_lshl_b32 s73, s15, 5
	s_mul_i32 s74, s15, 33
	s_mul_i32 s75, s15, 34
	;; [unrolled: 1-line block ×15, first 2 shown]
	v_mov_b32_e32 v97, s25
	s_mul_i32 s89, s15, 48
	v_mov_b32_e32 v98, 0
	v_accvgpr_write_b32 a15, 0
	v_accvgpr_write_b32 a14, 0
	;; [unrolled: 1-line block ×16, first 2 shown]
	v_mov_b32_e32 v99, s43
	s_mul_i32 s43, s15, 49
	s_mul_i32 s90, s15, 50
	;; [unrolled: 1-line block ×15, first 2 shown]
	s_mov_b64 s[8:9], 0
	s_branch .LBB105_6
.LBB105_5:                              ;   in Loop: Header=BB105_6 Depth=1
	s_waitcnt vmcnt(0)
	v_cvt_f16_f32_e32 v82, v82
	v_cvt_f16_f32_e32 v83, v83
	;; [unrolled: 1-line block ×4, first 2 shown]
	v_accvgpr_write_b32 a0, v12
	v_pack_b32_f16 v82, v82, v83
	v_cvt_f16_f32_e32 v83, v84
	v_cvt_f16_f32_e32 v84, v85
	;; [unrolled: 1-line block ×4, first 2 shown]
	v_pack_b32_f16 v86, v86, v87
	ds_write2_b32 v95, v82, v86 offset1:66
	v_pack_b32_f16 v82, v83, v84
	v_pack_b32_f16 v83, v85, v88
	ds_write2_b32 v95, v82, v83 offset0:132 offset1:198
	v_add_u32_e32 v82, 0x400, v95
	ds_write2_b32 v82, v98, v98 offset0:8 offset1:74
	ds_write2_b32 v82, v98, v98 offset0:140 offset1:206
	v_add_u32_e32 v82, 0x800, v95
	ds_write2_b32 v82, v98, v98 offset0:16 offset1:82
	;; [unrolled: 3-line block ×3, first 2 shown]
	ds_write2_b32 v82, v98, v98 offset0:156 offset1:222
	ds_read2_b64 v[82:85], v96 offset1:4
	v_accvgpr_write_b32 a4, v8
	v_accvgpr_write_b32 a11, v7
	;; [unrolled: 1-line block ×15, first 2 shown]
	s_waitcnt lgkmcnt(0)
	v_mfma_f32_16x16x16f16 a[0:3], v[36:37], v[82:83], a[0:3]
	ds_read2_b64 v[0:3], v96 offset0:8 offset1:12
	v_add_co_u32_e32 v16, vcc, 0x300, v16
	v_add_u32_e32 v94, 0xc0, v94
	v_addc_co_u32_e32 v17, vcc, 0, v17, vcc
	v_cmp_le_i32_e32 vcc, s12, v94
	v_mfma_f32_16x16x16f16 a[4:7], v[50:51], v[82:83], a[4:7]
	s_or_b64 s[8:9], vcc, s[8:9]
	v_mfma_f32_16x16x16f16 a[8:11], v[64:65], v[82:83], a[8:11]
	v_mfma_f32_16x16x16f16 a[12:15], v[80:81], v[82:83], a[12:15]
	;; [unrolled: 1-line block ×6, first 2 shown]
	s_waitcnt lgkmcnt(0)
	v_mfma_f32_16x16x16f16 a[0:3], v[28:29], v[0:1], a[0:3]
	v_mfma_f32_16x16x16f16 a[4:7], v[44:45], v[0:1], a[4:7]
	;; [unrolled: 1-line block ×8, first 2 shown]
	ds_read2_b64 v[0:3], v96 offset0:16 offset1:20
	s_waitcnt lgkmcnt(0)
	v_mfma_f32_16x16x16f16 a[0:3], v[24:25], v[0:1], a[0:3]
	v_mfma_f32_16x16x16f16 a[4:7], v[40:41], v[0:1], a[4:7]
	;; [unrolled: 1-line block ×8, first 2 shown]
	ds_read2_b64 v[0:3], v96 offset0:24 offset1:28
	s_waitcnt lgkmcnt(0)
	v_mfma_f32_16x16x16f16 a[0:3], v[20:21], v[0:1], a[0:3]
	v_mfma_f32_16x16x16f16 a[4:7], v[34:35], v[0:1], a[4:7]
	;; [unrolled: 1-line block ×8, first 2 shown]
	s_andn2_b64 exec, exec, s[8:9]
	s_cbranch_execz .LBB105_18
.LBB105_6:                              ; =>This Inner Loop Header: Depth=1
	v_add_co_u32_e32 v0, vcc, s42, v16
	v_addc_co_u32_e32 v1, vcc, v17, v99, vcc
	global_load_dword v22, v[16:17], off
	global_load_dword v23, v[0:1], off
	v_add_u32_e32 v0, s7, v94
	v_ashrrev_i32_e32 v1, 31, v0
	v_lshlrev_b64 v[0:1], 2, v[0:1]
	v_add_u32_e32 v2, s44, v94
	v_add_co_u32_e32 v0, vcc, s0, v0
	v_ashrrev_i32_e32 v3, 31, v2
	v_addc_co_u32_e32 v1, vcc, v97, v1, vcc
	v_lshlrev_b64 v[2:3], 2, v[2:3]
	v_add_u32_e32 v4, s45, v94
	v_add_co_u32_e32 v2, vcc, s0, v2
	v_ashrrev_i32_e32 v5, 31, v4
	v_addc_co_u32_e32 v3, vcc, v97, v3, vcc
	;; [unrolled: 5-line block ×5, first 2 shown]
	v_lshlrev_b64 v[10:11], 2, v[10:11]
	v_add_co_u32_e32 v10, vcc, s0, v10
	v_addc_co_u32_e32 v11, vcc, v97, v11, vcc
	global_load_dword v24, v[0:1], off
	global_load_dword v25, v[2:3], off
	;; [unrolled: 1-line block ×6, first 2 shown]
	v_add_u32_e32 v18, s49, v94
	v_ashrrev_i32_e32 v19, 31, v18
	v_add_u32_e32 v20, s50, v94
	v_lshlrev_b64 v[18:19], 2, v[18:19]
	v_ashrrev_i32_e32 v21, 31, v20
	v_add_co_u32_e32 v18, vcc, s0, v18
	v_lshlrev_b64 v[20:21], 2, v[20:21]
	v_addc_co_u32_e32 v19, vcc, v97, v19, vcc
	v_add_co_u32_e32 v20, vcc, s0, v20
	v_addc_co_u32_e32 v21, vcc, v97, v21, vcc
	v_add_u32_e32 v30, s56, v94
	v_ashrrev_i32_e32 v31, 31, v30
	v_lshlrev_b64 v[30:31], 2, v[30:31]
	v_add_u32_e32 v32, s57, v94
	v_ashrrev_i32_e32 v33, 31, v32
	v_lshlrev_b64 v[32:33], 2, v[32:33]
	;; [unrolled: 3-line block ×4, first 2 shown]
	v_accvgpr_read_b32 v3, a15
	v_accvgpr_read_b32 v2, a14
	;; [unrolled: 1-line block ×6, first 2 shown]
	s_waitcnt vmcnt(7)
	ds_write_b32 v95, v22
	s_waitcnt vmcnt(6)
	ds_write_b32 v95, v23 offset:264
	global_load_dword v18, v[18:19], off
	s_nop 0
	global_load_dword v19, v[20:21], off
	v_add_u32_e32 v20, s51, v94
	v_ashrrev_i32_e32 v21, 31, v20
	v_lshlrev_b64 v[20:21], 2, v[20:21]
	v_add_u32_e32 v22, s52, v94
	v_add_co_u32_e32 v20, vcc, s0, v20
	v_ashrrev_i32_e32 v23, 31, v22
	v_addc_co_u32_e32 v21, vcc, v97, v21, vcc
	v_lshlrev_b64 v[22:23], 2, v[22:23]
	s_waitcnt vmcnt(7)
	ds_write_b32 v95, v24 offset:528
	s_waitcnt vmcnt(6)
	ds_write_b32 v95, v25 offset:792
	;; [unrolled: 2-line block ×6, first 2 shown]
	v_add_u32_e32 v24, s53, v94
	v_add_co_u32_e32 v22, vcc, s0, v22
	v_ashrrev_i32_e32 v25, 31, v24
	v_addc_co_u32_e32 v23, vcc, v97, v23, vcc
	v_lshlrev_b64 v[24:25], 2, v[24:25]
	v_add_u32_e32 v26, s54, v94
	v_add_co_u32_e32 v24, vcc, s0, v24
	v_ashrrev_i32_e32 v27, 31, v26
	v_addc_co_u32_e32 v25, vcc, v97, v25, vcc
	v_lshlrev_b64 v[26:27], 2, v[26:27]
	;; [unrolled: 5-line block ×3, first 2 shown]
	v_add_co_u32_e32 v28, vcc, s0, v28
	v_addc_co_u32_e32 v29, vcc, v97, v29, vcc
	v_add_co_u32_e32 v30, vcc, s0, v30
	v_addc_co_u32_e32 v31, vcc, v97, v31, vcc
	;; [unrolled: 2-line block ×4, first 2 shown]
	global_load_dword v20, v[20:21], off
	s_nop 0
	global_load_dword v21, v[22:23], off
	s_nop 0
	global_load_dword v22, v[24:25], off
	global_load_dword v23, v[26:27], off
	s_nop 0
	global_load_dword v24, v[28:29], off
	;; [unrolled: 3-line block ×3, first 2 shown]
	s_nop 0
	global_load_dword v33, v[34:35], off
	v_add_u32_e32 v26, s59, v94
	v_ashrrev_i32_e32 v27, 31, v26
	v_lshlrev_b64 v[26:27], 2, v[26:27]
	v_add_u32_e32 v28, s60, v94
	v_add_co_u32_e32 v26, vcc, s0, v26
	v_ashrrev_i32_e32 v29, 31, v28
	v_addc_co_u32_e32 v27, vcc, v97, v27, vcc
	v_lshlrev_b64 v[28:29], 2, v[28:29]
	v_add_u32_e32 v30, s61, v94
	v_add_co_u32_e32 v28, vcc, s0, v28
	v_ashrrev_i32_e32 v31, 31, v30
	v_addc_co_u32_e32 v29, vcc, v97, v29, vcc
	;; [unrolled: 5-line block ×3, first 2 shown]
	v_lshlrev_b64 v[34:35], 2, v[34:35]
	v_add_co_u32_e32 v36, vcc, s0, v34
	v_add_u32_e32 v34, s63, v94
	v_addc_co_u32_e32 v37, vcc, v97, v35, vcc
	v_ashrrev_i32_e32 v35, 31, v34
	v_lshlrev_b64 v[34:35], 2, v[34:35]
	v_add_co_u32_e32 v40, vcc, s0, v34
	v_add_u32_e32 v34, s64, v94
	v_addc_co_u32_e32 v41, vcc, v97, v35, vcc
	v_ashrrev_i32_e32 v35, 31, v34
	;; [unrolled: 5-line block ×4, first 2 shown]
	v_lshlrev_b64 v[34:35], 2, v[34:35]
	v_add_co_u32_e32 v46, vcc, s0, v34
	v_addc_co_u32_e32 v47, vcc, v97, v35, vcc
	global_load_dword v34, v[26:27], off
	global_load_dword v35, v[28:29], off
	;; [unrolled: 1-line block ×4, first 2 shown]
	s_nop 0
	global_load_dword v40, v[40:41], off
	s_nop 0
	global_load_dword v41, v[42:43], off
	;; [unrolled: 2-line block ×3, first 2 shown]
	global_load_dword v43, v[46:47], off
	v_add_u32_e32 v26, s67, v94
	v_ashrrev_i32_e32 v27, 31, v26
	v_lshlrev_b64 v[26:27], 2, v[26:27]
	v_add_u32_e32 v28, s68, v94
	v_add_co_u32_e32 v26, vcc, s0, v26
	v_ashrrev_i32_e32 v29, 31, v28
	v_addc_co_u32_e32 v27, vcc, v97, v27, vcc
	v_lshlrev_b64 v[28:29], 2, v[28:29]
	v_add_u32_e32 v30, s69, v94
	v_add_co_u32_e32 v28, vcc, s0, v28
	v_ashrrev_i32_e32 v31, 31, v30
	v_addc_co_u32_e32 v29, vcc, v97, v29, vcc
	v_lshlrev_b64 v[30:31], 2, v[30:31]
	v_add_u32_e32 v36, s70, v94
	v_add_co_u32_e32 v30, vcc, s0, v30
	v_ashrrev_i32_e32 v37, 31, v36
	v_addc_co_u32_e32 v31, vcc, v97, v31, vcc
	v_lshlrev_b64 v[36:37], 2, v[36:37]
	v_add_u32_e32 v44, s71, v94
	v_add_co_u32_e32 v36, vcc, s0, v36
	v_ashrrev_i32_e32 v45, 31, v44
	v_addc_co_u32_e32 v37, vcc, v97, v37, vcc
	v_lshlrev_b64 v[44:45], 2, v[44:45]
	v_add_co_u32_e32 v48, vcc, s0, v44
	v_add_u32_e32 v44, s72, v94
	v_addc_co_u32_e32 v49, vcc, v97, v45, vcc
	v_ashrrev_i32_e32 v45, 31, v44
	v_lshlrev_b64 v[44:45], 2, v[44:45]
	v_add_co_u32_e32 v52, vcc, s0, v44
	v_add_u32_e32 v44, s73, v94
	v_addc_co_u32_e32 v53, vcc, v97, v45, vcc
	v_ashrrev_i32_e32 v45, 31, v44
	;; [unrolled: 5-line block ×3, first 2 shown]
	v_lshlrev_b64 v[44:45], 2, v[44:45]
	v_add_co_u32_e32 v56, vcc, s0, v44
	v_addc_co_u32_e32 v57, vcc, v97, v45, vcc
	global_load_dword v44, v[26:27], off
	global_load_dword v45, v[28:29], off
	;; [unrolled: 1-line block ×6, first 2 shown]
	s_nop 0
	global_load_dword v48, v[54:55], off
	global_load_dword v49, v[56:57], off
	v_add_u32_e32 v26, s75, v94
	v_ashrrev_i32_e32 v27, 31, v26
	v_lshlrev_b64 v[26:27], 2, v[26:27]
	v_add_u32_e32 v28, s76, v94
	v_add_co_u32_e32 v26, vcc, s0, v26
	v_ashrrev_i32_e32 v29, 31, v28
	v_addc_co_u32_e32 v27, vcc, v97, v27, vcc
	v_lshlrev_b64 v[28:29], 2, v[28:29]
	v_add_u32_e32 v30, s77, v94
	v_add_co_u32_e32 v28, vcc, s0, v28
	v_ashrrev_i32_e32 v31, 31, v30
	v_addc_co_u32_e32 v29, vcc, v97, v29, vcc
	;; [unrolled: 5-line block ×6, first 2 shown]
	v_lshlrev_b64 v[56:57], 2, v[56:57]
	v_add_co_u32_e32 v56, vcc, s0, v56
	v_addc_co_u32_e32 v57, vcc, v97, v57, vcc
	v_add_co_u32_e32 v58, vcc, s0, v58
	v_addc_co_u32_e32 v59, vcc, v97, v59, vcc
	global_load_dword v60, v[26:27], off
	global_load_dword v61, v[28:29], off
	;; [unrolled: 1-line block ×8, first 2 shown]
	v_add_u32_e32 v26, s83, v94
	v_ashrrev_i32_e32 v27, 31, v26
	v_lshlrev_b64 v[26:27], 2, v[26:27]
	v_add_u32_e32 v28, s84, v94
	v_add_co_u32_e32 v26, vcc, s0, v26
	v_ashrrev_i32_e32 v29, 31, v28
	v_addc_co_u32_e32 v27, vcc, v97, v27, vcc
	v_lshlrev_b64 v[28:29], 2, v[28:29]
	v_add_u32_e32 v30, s85, v94
	v_add_co_u32_e32 v28, vcc, s0, v28
	v_ashrrev_i32_e32 v31, 31, v30
	v_addc_co_u32_e32 v29, vcc, v97, v29, vcc
	;; [unrolled: 5-line block ×7, first 2 shown]
	v_lshlrev_b64 v[58:59], 2, v[58:59]
	v_add_co_u32_e32 v58, vcc, s0, v58
	v_addc_co_u32_e32 v59, vcc, v97, v59, vcc
	global_load_dword v68, v[26:27], off
	global_load_dword v69, v[28:29], off
	;; [unrolled: 1-line block ×8, first 2 shown]
	v_add_u32_e32 v26, s90, v94
	v_ashrrev_i32_e32 v27, 31, v26
	v_lshlrev_b64 v[26:27], 2, v[26:27]
	v_add_u32_e32 v28, s91, v94
	v_add_co_u32_e32 v26, vcc, s0, v26
	v_ashrrev_i32_e32 v29, 31, v28
	v_addc_co_u32_e32 v27, vcc, v97, v27, vcc
	v_lshlrev_b64 v[28:29], 2, v[28:29]
	v_add_u32_e32 v30, s92, v94
	v_add_co_u32_e32 v28, vcc, s0, v28
	v_ashrrev_i32_e32 v31, 31, v30
	v_addc_co_u32_e32 v29, vcc, v97, v29, vcc
	;; [unrolled: 5-line block ×7, first 2 shown]
	v_lshlrev_b64 v[58:59], 2, v[58:59]
	v_add_co_u32_e32 v58, vcc, s0, v58
	v_addc_co_u32_e32 v59, vcc, v97, v59, vcc
	global_load_dword v76, v[26:27], off
	global_load_dword v77, v[28:29], off
	global_load_dword v78, v[30:31], off
	global_load_dword v79, v[36:37], off
	global_load_dword v80, v[52:53], off
	global_load_dword v81, v[54:55], off
	global_load_dword v82, v[56:57], off
	global_load_dword v83, v[58:59], off
	v_add_u32_e32 v26, s22, v94
	v_ashrrev_i32_e32 v27, 31, v26
	v_lshlrev_b64 v[26:27], 2, v[26:27]
	v_add_u32_e32 v28, s23, v94
	v_add_co_u32_e32 v26, vcc, s0, v26
	v_ashrrev_i32_e32 v29, 31, v28
	v_addc_co_u32_e32 v27, vcc, v97, v27, vcc
	v_lshlrev_b64 v[28:29], 2, v[28:29]
	v_add_u32_e32 v30, s28, v94
	v_add_co_u32_e32 v28, vcc, s0, v28
	v_ashrrev_i32_e32 v31, 31, v30
	v_addc_co_u32_e32 v29, vcc, v97, v29, vcc
	;; [unrolled: 5-line block ×5, first 2 shown]
	v_lshlrev_b64 v[54:55], 2, v[54:55]
	v_add_co_u32_e32 v54, vcc, s0, v54
	v_addc_co_u32_e32 v55, vcc, v97, v55, vcc
	global_load_dword v84, v[26:27], off
	global_load_dword v85, v[28:29], off
	;; [unrolled: 1-line block ×6, first 2 shown]
	s_waitcnt vmcnt(55)
	ds_write_b32 v95, v18 offset:2112
	s_waitcnt vmcnt(54)
	ds_write_b32 v95, v19 offset:2376
	s_waitcnt vmcnt(53)
	ds_write_b32 v95, v20 offset:2640
	s_waitcnt vmcnt(52)
	ds_write_b32 v95, v21 offset:2904
	s_waitcnt vmcnt(51)
	ds_write_b32 v95, v22 offset:3168
	s_waitcnt vmcnt(50)
	ds_write_b32 v95, v23 offset:3432
	s_waitcnt vmcnt(49)
	ds_write_b32 v95, v24 offset:3696
	s_waitcnt vmcnt(48)
	ds_write_b32 v95, v25 offset:3960
	ds_read_b64 v[36:37], v96
	ds_read_b64 v[30:31], v96 offset:32
	ds_read_b64 v[28:29], v96 offset:64
	ds_read_b64 v[26:27], v96 offset:96
	ds_read_b64 v[24:25], v96 offset:128
	ds_read_b64 v[22:23], v96 offset:160
	ds_read_b64 v[20:21], v96 offset:192
	ds_read_b64 v[18:19], v96 offset:224
	s_waitcnt vmcnt(47)
	ds_write_b32 v95, v32
	s_waitcnt vmcnt(46)
	ds_write_b32 v95, v33 offset:264
	s_waitcnt vmcnt(45)
	ds_write_b32 v95, v34 offset:528
	s_waitcnt vmcnt(44)
	ds_write_b32 v95, v35 offset:792
	s_waitcnt vmcnt(43)
	ds_write_b32 v95, v38 offset:1056
	s_waitcnt vmcnt(42)
	ds_write_b32 v95, v39 offset:1320
	s_waitcnt vmcnt(41)
	ds_write_b32 v95, v40 offset:1584
	s_waitcnt vmcnt(40)
	ds_write_b32 v95, v41 offset:1848
	s_waitcnt vmcnt(39)
	ds_write_b32 v95, v42 offset:2112
	s_waitcnt vmcnt(38)
	ds_write_b32 v95, v43 offset:2376
	s_waitcnt vmcnt(37)
	ds_write_b32 v95, v44 offset:2640
	s_waitcnt vmcnt(36)
	ds_write_b32 v95, v45 offset:2904
	s_waitcnt vmcnt(35)
	ds_write_b32 v95, v46 offset:3168
	s_waitcnt vmcnt(34)
	ds_write_b32 v95, v47 offset:3432
	s_waitcnt vmcnt(33)
	ds_write_b32 v95, v50 offset:3696
	s_waitcnt vmcnt(32)
	ds_write_b32 v95, v51 offset:3960
	ds_read_b64 v[50:51], v96
	ds_read_b64 v[46:47], v96 offset:32
	ds_read_b64 v[44:45], v96 offset:64
	ds_read_b64 v[42:43], v96 offset:96
	ds_read_b64 v[40:41], v96 offset:128
	ds_read_b64 v[38:39], v96 offset:160
	ds_read_b64 v[34:35], v96 offset:192
	ds_read_b64 v[32:33], v96 offset:224
	s_waitcnt vmcnt(31)
	ds_write_b32 v95, v48
	s_waitcnt vmcnt(30)
	ds_write_b32 v95, v49 offset:264
	s_waitcnt vmcnt(29)
	ds_write_b32 v95, v60 offset:528
	s_waitcnt vmcnt(28)
	ds_write_b32 v95, v61 offset:792
	s_waitcnt vmcnt(27)
	ds_write_b32 v95, v62 offset:1056
	s_waitcnt vmcnt(26)
	ds_write_b32 v95, v63 offset:1320
	s_waitcnt vmcnt(25)
	ds_write_b32 v95, v64 offset:1584
	s_waitcnt vmcnt(24)
	ds_write_b32 v95, v65 offset:1848
	;; [unrolled: 40-line block ×3, first 2 shown]
	s_waitcnt vmcnt(7)
	ds_write_b32 v95, v82 offset:2112
	s_waitcnt vmcnt(6)
	ds_write_b32 v95, v83 offset:2376
	;; [unrolled: 2-line block ×8, first 2 shown]
	ds_read_b64 v[80:81], v96
	ds_read_b64 v[78:79], v96 offset:32
	ds_read_b64 v[76:77], v96 offset:64
	;; [unrolled: 1-line block ×7, first 2 shown]
	v_accvgpr_read_b32 v5, a9
	v_accvgpr_read_b32 v4, a8
	;; [unrolled: 1-line block ×10, first 2 shown]
	s_andn2_b64 vcc, exec, s[4:5]
	v_mov_b32_e32 v82, 0
	v_mov_b32_e32 v83, 0
	s_cbranch_vccnz .LBB105_9
; %bb.7:                                ;   in Loop: Header=BB105_6 Depth=1
	s_load_dword vcc_lo, s[34:35], 0x0
	v_mov_b32_e32 v83, 0
	v_mov_b32_e32 v82, 0
	s_waitcnt lgkmcnt(0)
	s_mul_hi_u32 vcc_hi, vcc_lo, s16
	s_add_i32 vcc_hi, vcc_lo, vcc_hi
	s_lshr_b32 s30, vcc_hi, s17
	s_cmp_ge_i32 s30, s13
	s_cbranch_scc1 .LBB105_9
; %bb.8:                                ;   in Loop: Header=BB105_6 Depth=1
	s_mul_i32 vcc_hi, s30, s18
	s_sub_i32 s31, vcc_lo, vcc_hi
	s_mul_i32 s30, s30, s20
	s_mul_i32 s31, s31, s1
	v_add_u32_e32 v82, s30, v94
	v_lshl_add_u32 v82, v82, 1, s31
	v_ashrrev_i32_e32 v83, 31, v82
	v_lshlrev_b64 v[82:83], 2, v[82:83]
	v_mov_b32_e32 v84, s11
	v_add_co_u32_e32 v82, vcc, s10, v82
	v_addc_co_u32_e32 v83, vcc, v84, v83, vcc
	global_load_dwordx2 v[82:83], v[82:83], off
.LBB105_9:                              ;   in Loop: Header=BB105_6 Depth=1
	s_andn2_b64 vcc, exec, s[36:37]
	v_mov_b32_e32 v84, 0
	v_mov_b32_e32 v86, 0
	v_mov_b32_e32 v87, 0
	s_cbranch_vccnz .LBB105_12
; %bb.10:                               ;   in Loop: Header=BB105_6 Depth=1
	s_load_dword vcc_lo, s[34:35], 0x4
	v_mov_b32_e32 v87, 0
	v_mov_b32_e32 v86, 0
	s_waitcnt lgkmcnt(0)
	s_mul_hi_u32 s30, vcc_lo, s16
	s_add_i32 s30, vcc_lo, s30
	s_lshr_b32 vcc_hi, s30, s17
	s_cmp_ge_i32 vcc_hi, s13
	s_cbranch_scc1 .LBB105_12
; %bb.11:                               ;   in Loop: Header=BB105_6 Depth=1
	s_mul_i32 s30, vcc_hi, s18
	s_sub_i32 s30, vcc_lo, s30
	s_mul_i32 vcc_hi, vcc_hi, s20
	s_mul_i32 s30, s30, s1
	v_add_u32_e32 v85, vcc_hi, v94
	v_lshl_add_u32 v86, v85, 1, s30
	v_ashrrev_i32_e32 v87, 31, v86
	v_lshlrev_b64 v[86:87], 2, v[86:87]
	v_mov_b32_e32 v85, s11
	v_add_co_u32_e32 v86, vcc, s10, v86
	v_addc_co_u32_e32 v87, vcc, v85, v87, vcc
	global_load_dwordx2 v[86:87], v[86:87], off
.LBB105_12:                             ;   in Loop: Header=BB105_6 Depth=1
	s_andn2_b64 vcc, exec, s[38:39]
	v_mov_b32_e32 v85, 0
	s_cbranch_vccnz .LBB105_15
; %bb.13:                               ;   in Loop: Header=BB105_6 Depth=1
	s_load_dword vcc_lo, s[34:35], 0x8
	v_mov_b32_e32 v85, 0
	v_mov_b32_e32 v84, 0
	s_waitcnt lgkmcnt(0)
	s_mul_hi_u32 s30, vcc_lo, s16
	s_add_i32 s30, vcc_lo, s30
	s_lshr_b32 vcc_hi, s30, s17
	s_cmp_ge_i32 vcc_hi, s13
	s_cbranch_scc1 .LBB105_15
; %bb.14:                               ;   in Loop: Header=BB105_6 Depth=1
	s_mul_i32 s30, vcc_hi, s18
	s_sub_i32 s30, vcc_lo, s30
	s_mul_i32 vcc_hi, vcc_hi, s20
	s_mul_i32 s30, s30, s1
	v_add_u32_e32 v84, vcc_hi, v94
	v_lshl_add_u32 v84, v84, 1, s30
	v_ashrrev_i32_e32 v85, 31, v84
	v_lshlrev_b64 v[84:85], 2, v[84:85]
	v_mov_b32_e32 v88, s11
	v_add_co_u32_e32 v84, vcc, s10, v84
	v_addc_co_u32_e32 v85, vcc, v88, v85, vcc
	global_load_dwordx2 v[84:85], v[84:85], off
.LBB105_15:                             ;   in Loop: Header=BB105_6 Depth=1
	s_andn2_b64 vcc, exec, s[40:41]
	v_mov_b32_e32 v88, 0
	v_mov_b32_e32 v89, 0
	s_cbranch_vccnz .LBB105_5
; %bb.16:                               ;   in Loop: Header=BB105_6 Depth=1
	s_load_dword vcc_lo, s[34:35], 0xc
	v_mov_b32_e32 v89, 0
	v_mov_b32_e32 v88, 0
	s_waitcnt lgkmcnt(0)
	s_mul_hi_u32 s30, vcc_lo, s16
	s_add_i32 s30, vcc_lo, s30
	s_lshr_b32 vcc_hi, s30, s17
	s_cmp_ge_i32 vcc_hi, s13
	s_cbranch_scc1 .LBB105_5
; %bb.17:                               ;   in Loop: Header=BB105_6 Depth=1
	s_mul_i32 s30, vcc_hi, s18
	s_sub_i32 s30, vcc_lo, s30
	s_mul_i32 vcc_hi, vcc_hi, s20
	s_mul_i32 s30, s30, s1
	v_add_u32_e32 v88, vcc_hi, v94
	v_lshl_add_u32 v88, v88, 1, s30
	v_ashrrev_i32_e32 v89, 31, v88
	v_lshlrev_b64 v[88:89], 2, v[88:89]
	v_mov_b32_e32 v100, s11
	v_add_co_u32_e32 v88, vcc, s10, v88
	v_addc_co_u32_e32 v89, vcc, v100, v89, vcc
	global_load_dwordx2 v[88:89], v[88:89], off
	s_branch .LBB105_5
.LBB105_18:
	s_or_b64 exec, exec, s[8:9]
	v_readlane_b32 s24, v101, 6
	v_readlane_b32 s25, v101, 7
	;; [unrolled: 1-line block ×3, first 2 shown]
.LBB105_19:
	v_readlane_b32 s0, v101, 4
	v_readlane_b32 s1, v101, 5
	s_or_b64 exec, exec, s[0:1]
	s_lshl_b64 s[0:1], s[26:27], 2
	v_readlane_b32 s4, v101, 0
	v_mul_u32_u24_e32 v0, 0x308, v93
	v_lshlrev_b32_e32 v1, 2, v92
	v_or_b32_e32 v2, 12, v91
	v_readlane_b32 s5, v101, 1
	s_add_u32 s3, s4, s0
	v_add3_u32 v0, 0, v0, v1
	v_and_b32_e32 v1, 0x3f0, v91
	v_and_b32_e32 v2, 0x3fc, v2
	s_addc_u32 s8, s5, s1
	v_add_u32_e32 v1, v0, v1
	v_add_u32_e32 v0, v0, v2
	s_barrier
	ds_write2_b32 v1, a0, a1 offset1:1
	ds_write_b32 v1, a2 offset:8
	ds_write_b32 v0, a3
	ds_write2_b32 v1, a4, a5 offset0:16 offset1:17
	ds_write_b32 v1, a6 offset:72
	ds_write_b32 v0, a7 offset:64
	ds_write2_b32 v1, a8, a9 offset0:32 offset1:33
	ds_write_b32 v1, a10 offset:136
	ds_write_b32 v0, a11 offset:128
	;; [unrolled: 3-line block ×3, first 2 shown]
	s_cmp_gt_i32 s14, 0
	v_add_u32_e32 v0, s6, v90
	s_cselect_b64 s[4:5], -1, 0
	v_cmp_gt_i32_e64 s[0:1], s33, v0
	v_cmp_gt_u32_e32 vcc, 4, v90
	s_and_b64 s[0:1], s[4:5], s[0:1]
	v_lshl_add_u32 v3, v91, 2, 0
	v_add_u32_e32 v2, s7, v91
	s_and_b64 s[10:11], vcc, s[0:1]
	s_waitcnt lgkmcnt(0)
	s_barrier
	s_and_saveexec_b64 s[0:1], s[10:11]
	s_cbranch_execz .LBB105_22
; %bb.20:
	v_ashrrev_i32_e32 v1, 31, v0
	v_lshlrev_b64 v[0:1], 2, v[0:1]
	v_mov_b32_e32 v4, s8
	v_add_co_u32_e32 v0, vcc, s3, v0
	v_addc_co_u32_e32 v1, vcc, v4, v1, vcc
	global_load_dword v1, v[0:1], off
	s_waitcnt vmcnt(0)
	v_mul_hi_u32 v0, v1, s19
	v_add_u32_e32 v0, v1, v0
	v_lshrrev_b32_e32 v0, s24, v0
	v_cmp_gt_i32_e32 vcc, s13, v0
	s_and_b64 exec, exec, vcc
	s_cbranch_execz .LBB105_22
; %bb.21:
	s_movk_i32 s7, 0x308
	v_mad_u32_u24 v6, v90, s7, v3
	ds_read2st64_b32 v[4:5], v6 offset1:1
	v_mul_lo_u32 v7, v0, s25
	ds_read_b32 v6, v6 offset:512
	v_sub_u32_e32 v1, v1, v7
	v_mul_lo_u32 v1, v1, s2
	v_mul_lo_u32 v0, v0, s21
	v_add3_u32 v0, v2, v0, v1
	v_mov_b32_e32 v1, 0
	v_readlane_b32 s10, v101, 2
	s_waitcnt lgkmcnt(1)
	v_add_f32_e32 v4, 0, v4
	v_lshlrev_b64 v[0:1], 2, v[0:1]
	v_readlane_b32 s11, v101, 3
	v_add_f32_e32 v4, v4, v5
	v_mov_b32_e32 v5, s11
	v_add_co_u32_e32 v0, vcc, s10, v0
	s_waitcnt lgkmcnt(0)
	v_add_f32_e32 v4, v4, v6
	v_addc_co_u32_e32 v1, vcc, v5, v1, vcc
	global_store_dword v[0:1], v4, off
.LBB105_22:
	s_or_b64 exec, exec, s[0:1]
	v_cmp_eq_u32_e32 vcc, 0, v90
	s_and_saveexec_b64 s[0:1], vcc
	s_cbranch_execz .LBB105_26
; %bb.23:
	s_or_b32 s0, s6, 3
	s_cmp_ge_i32 s0, s33
	s_cselect_b64 s[0:1], -1, 0
	s_xor_b64 s[4:5], s[4:5], -1
	s_or_b64 s[0:1], s[4:5], s[0:1]
	s_and_b64 vcc, exec, s[0:1]
	s_cbranch_vccnz .LBB105_26
; %bb.24:
	s_ashr_i32 s7, s6, 31
	s_lshl_b64 s[0:1], s[6:7], 2
	s_add_u32 s0, s3, s0
	s_addc_u32 s1, s8, s1
	s_load_dword s1, s[0:1], 0xc
	s_waitcnt lgkmcnt(0)
	s_mul_hi_u32 s0, s1, s19
	s_add_i32 s0, s1, s0
	s_lshr_b32 s0, s0, s24
	s_cmp_ge_i32 s0, s13
	s_cbranch_scc1 .LBB105_26
; %bb.25:
	v_add_u32_e32 v0, 24, v3
	ds_read2st64_b32 v[0:1], v0 offset0:9 offset1:10
	ds_read_b32 v3, v3 offset:2840
	s_mul_i32 s3, s0, s25
	s_sub_i32 s1, s1, s3
	s_mul_i32 s1, s1, s2
	s_waitcnt lgkmcnt(1)
	v_add_f32_e32 v0, 0, v0
	s_mul_i32 s0, s0, s21
	v_add_f32_e32 v0, v0, v1
	s_add_i32 s1, s1, s0
	s_waitcnt lgkmcnt(0)
	v_add_f32_e32 v3, v0, v3
	v_add_u32_e32 v0, s1, v2
	v_mov_b32_e32 v1, 0
	v_readlane_b32 s0, v101, 2
	v_lshlrev_b64 v[0:1], 2, v[0:1]
	v_readlane_b32 s1, v101, 3
	v_mov_b32_e32 v2, s1
	v_add_co_u32_e32 v0, vcc, s0, v0
	v_addc_co_u32_e32 v1, vcc, v2, v1, vcc
	global_store_dword v[0:1], v3, off
.LBB105_26:
	s_endpgm
	.section	.rodata,"a",@progbits
	.p2align	6, 0x0
	.amdhsa_kernel _ZL13mul_mat_f_idsI7__half2Li64ELi4ELi3EEvPKT_PKfPKiS7_S7_Pfiiiiiiiiiiiiii15HIP_vector_typeIjLj3EESA_
		.amdhsa_group_segment_fixed_size 0
		.amdhsa_private_segment_fixed_size 0
		.amdhsa_kernarg_size 128
		.amdhsa_user_sgpr_count 6
		.amdhsa_user_sgpr_private_segment_buffer 1
		.amdhsa_user_sgpr_dispatch_ptr 0
		.amdhsa_user_sgpr_queue_ptr 0
		.amdhsa_user_sgpr_kernarg_segment_ptr 1
		.amdhsa_user_sgpr_dispatch_id 0
		.amdhsa_user_sgpr_flat_scratch_init 0
		.amdhsa_user_sgpr_kernarg_preload_length 0
		.amdhsa_user_sgpr_kernarg_preload_offset 0
		.amdhsa_user_sgpr_private_segment_size 0
		.amdhsa_uses_dynamic_stack 0
		.amdhsa_system_sgpr_private_segment_wavefront_offset 0
		.amdhsa_system_sgpr_workgroup_id_x 1
		.amdhsa_system_sgpr_workgroup_id_y 1
		.amdhsa_system_sgpr_workgroup_id_z 1
		.amdhsa_system_sgpr_workgroup_info 0
		.amdhsa_system_vgpr_workitem_id 1
		.amdhsa_next_free_vgpr 120
		.amdhsa_next_free_sgpr 96
		.amdhsa_accum_offset 104
		.amdhsa_reserve_vcc 1
		.amdhsa_reserve_flat_scratch 0
		.amdhsa_float_round_mode_32 0
		.amdhsa_float_round_mode_16_64 0
		.amdhsa_float_denorm_mode_32 3
		.amdhsa_float_denorm_mode_16_64 3
		.amdhsa_dx10_clamp 1
		.amdhsa_ieee_mode 1
		.amdhsa_fp16_overflow 0
		.amdhsa_tg_split 0
		.amdhsa_exception_fp_ieee_invalid_op 0
		.amdhsa_exception_fp_denorm_src 0
		.amdhsa_exception_fp_ieee_div_zero 0
		.amdhsa_exception_fp_ieee_overflow 0
		.amdhsa_exception_fp_ieee_underflow 0
		.amdhsa_exception_fp_ieee_inexact 0
		.amdhsa_exception_int_div_zero 0
	.end_amdhsa_kernel
	.section	.text._ZL13mul_mat_f_idsI7__half2Li64ELi4ELi3EEvPKT_PKfPKiS7_S7_Pfiiiiiiiiiiiiii15HIP_vector_typeIjLj3EESA_,"axG",@progbits,_ZL13mul_mat_f_idsI7__half2Li64ELi4ELi3EEvPKT_PKfPKiS7_S7_Pfiiiiiiiiiiiiii15HIP_vector_typeIjLj3EESA_,comdat
.Lfunc_end105:
	.size	_ZL13mul_mat_f_idsI7__half2Li64ELi4ELi3EEvPKT_PKfPKiS7_S7_Pfiiiiiiiiiiiiii15HIP_vector_typeIjLj3EESA_, .Lfunc_end105-_ZL13mul_mat_f_idsI7__half2Li64ELi4ELi3EEvPKT_PKfPKiS7_S7_Pfiiiiiiiiiiiiii15HIP_vector_typeIjLj3EESA_
                                        ; -- End function
	.section	.AMDGPU.csdata,"",@progbits
; Kernel info:
; codeLenInByte = 6020
; NumSgprs: 100
; NumVgprs: 102
; NumAgprs: 16
; TotalNumVgprs: 120
; ScratchSize: 0
; MemoryBound: 0
; FloatMode: 240
; IeeeMode: 1
; LDSByteSize: 0 bytes/workgroup (compile time only)
; SGPRBlocks: 12
; VGPRBlocks: 14
; NumSGPRsForWavesPerEU: 100
; NumVGPRsForWavesPerEU: 120
; AccumOffset: 104
; Occupancy: 4
; WaveLimiterHint : 1
; COMPUTE_PGM_RSRC2:SCRATCH_EN: 0
; COMPUTE_PGM_RSRC2:USER_SGPR: 6
; COMPUTE_PGM_RSRC2:TRAP_HANDLER: 0
; COMPUTE_PGM_RSRC2:TGID_X_EN: 1
; COMPUTE_PGM_RSRC2:TGID_Y_EN: 1
; COMPUTE_PGM_RSRC2:TGID_Z_EN: 1
; COMPUTE_PGM_RSRC2:TIDIG_COMP_CNT: 1
; COMPUTE_PGM_RSRC3_GFX90A:ACCUM_OFFSET: 25
; COMPUTE_PGM_RSRC3_GFX90A:TG_SPLIT: 0
	.section	.text._ZL9mul_mat_fI7__half2Li64ELi4ELi3ELb1EEvPKT_PKfPKiPfiiiiiiiiiiiiiiii,"axG",@progbits,_ZL9mul_mat_fI7__half2Li64ELi4ELi3ELb1EEvPKT_PKfPKiPfiiiiiiiiiiiiiiii,comdat
	.globl	_ZL9mul_mat_fI7__half2Li64ELi4ELi3ELb1EEvPKT_PKfPKiPfiiiiiiiiiiiiiiii ; -- Begin function _ZL9mul_mat_fI7__half2Li64ELi4ELi3ELb1EEvPKT_PKfPKiPfiiiiiiiiiiiiiiii
	.p2align	8
	.type	_ZL9mul_mat_fI7__half2Li64ELi4ELi3ELb1EEvPKT_PKfPKiPfiiiiiiiiiiiiiiii,@function
_ZL9mul_mat_fI7__half2Li64ELi4ELi3ELb1EEvPKT_PKfPKiPfiiiiiiiiiiiiiiii: ; @_ZL9mul_mat_fI7__half2Li64ELi4ELi3ELb1EEvPKT_PKfPKiPfiiiiiiiiiiiiiiii
; %bb.0:
	s_load_dwordx8 s[16:23], s[4:5], 0x20
	v_and_b32_e32 v16, 0x3ff, v0
	v_bfe_u32 v17, v0, 10, 10
	v_cmp_eq_u32_e32 vcc, 0, v16
	s_waitcnt lgkmcnt(0)
	s_add_i32 s0, s17, 3
	s_ashr_i32 s1, s0, 31
	s_lshr_b32 s1, s1, 30
	s_add_i32 s0, s0, s1
	s_ashr_i32 s0, s0, 2
	v_cvt_f32_u32_e32 v1, s0
	s_load_dwordx4 s[24:27], s[4:5], 0x44
	s_load_dword s1, s[4:5], 0x64
	s_sub_i32 s2, 0, s0
	s_add_u32 s34, s4, 0x60
	v_rcp_iflag_f32_e32 v1, v1
	s_addc_u32 s35, s5, 0
	v_mul_f32_e32 v1, 0x4f7ffffe, v1
	v_cvt_u32_f32_e32 v1, v1
	v_readfirstlane_b32 s3, v1
	s_mul_i32 s2, s2, s3
	s_mul_hi_u32 s2, s3, s2
	s_add_i32 s3, s3, s2
	s_waitcnt lgkmcnt(0)
	s_mul_hi_u32 s2, s1, s3
	s_mul_i32 s3, s2, s0
	s_sub_i32 s1, s1, s3
	s_add_i32 s9, s2, 1
	s_sub_i32 s3, s1, s0
	s_cmp_ge_u32 s1, s0
	s_cselect_b32 s2, s9, s2
	s_cselect_b32 s1, s3, s1
	s_add_i32 s3, s2, 1
	s_cmp_ge_u32 s1, s0
	s_cselect_b32 s9, s3, s2
	v_cvt_f32_u32_e32 v1, s9
	s_abs_i32 s33, s27
	v_cvt_f32_u32_e32 v2, s33
	s_load_dwordx2 s[0:1], s[4:5], 0x10
	v_rcp_iflag_f32_e32 v1, v1
	s_sub_i32 s2, 0, s9
	v_rcp_iflag_f32_e32 v2, v2
	s_sub_i32 s38, 0, s33
	v_mul_f32_e32 v1, 0x4f7ffffe, v1
	v_cvt_u32_f32_e32 v1, v1
	v_mul_f32_e32 v2, 0x4f7ffffe, v2
	v_cvt_u32_f32_e32 v2, v2
	v_readfirstlane_b32 s3, v1
	s_mul_i32 s2, s2, s3
	s_mul_hi_u32 s2, s3, s2
	s_add_i32 s3, s3, s2
	v_readfirstlane_b32 s39, v2
	s_mul_hi_u32 s10, s7, s3
	s_and_saveexec_b64 s[2:3], vcc
	s_cbranch_execz .LBB106_2
; %bb.1:
	v_mov_b32_e32 v1, 0x100
	v_lshl_add_u32 v1, v17, 2, v1
	v_mov_b32_e32 v2, -1
	ds_write_b32 v1, v2
.LBB106_2:
	s_or_b64 exec, exec, s[2:3]
	s_mul_i32 s2, s10, s9
	s_sub_i32 s2, s7, s2
	s_add_i32 s3, s10, 1
	s_sub_i32 s11, s2, s9
	s_cmp_ge_u32 s2, s9
	s_cselect_b32 s3, s3, s10
	s_cselect_b32 s2, s11, s2
	s_add_i32 s10, s3, 1
	s_cmp_ge_u32 s2, s9
	s_cselect_b32 s2, s10, s3
	s_mul_i32 s3, s2, s9
	s_lshl_b32 s9, s2, 2
	s_sub_i32 s7, s7, s3
	s_mul_hi_i32 s3, s9, s23
	s_mul_i32 s2, s9, s23
	s_lshl_b64 s[2:3], s[2:3], 2
	s_waitcnt lgkmcnt(0)
	s_add_u32 s40, s0, s2
	v_add_u32_e32 v1, s9, v17
	s_mul_i32 s38, s38, s39
	s_addc_u32 s41, s1, s3
	v_cmp_gt_i32_e64 s[10:11], s18, v16
	v_cmp_gt_i32_e64 s[0:1], s17, v1
	v_mov_b32_e32 v1, 0
	s_and_saveexec_b64 s[14:15], s[0:1]
	s_cbranch_execz .LBB106_10
; %bb.3:
	v_mov_b32_e32 v1, 0
	s_and_saveexec_b64 s[28:29], s[10:11]
	s_cbranch_execz .LBB106_9
; %bb.4:
	v_mul_lo_u32 v2, v17, s23
	v_ashrrev_i32_e32 v3, 31, v2
	v_lshlrev_b64 v[2:3], 2, v[2:3]
	v_mov_b32_e32 v1, s41
	v_add_co_u32_e64 v4, s[2:3], s40, v2
	v_addc_co_u32_e64 v5, s[2:3], v1, v3, s[2:3]
	v_mov_b32_e32 v1, 0x100
	v_lshl_add_u32 v6, v17, 2, v1
	v_mul_lo_u32 v2, v16, s22
	s_lshl_b32 s42, s22, 6
	s_mov_b64 s[30:31], 0
	v_mov_b32_e32 v1, 0
	v_mov_b32_e32 v7, v16
	s_branch .LBB106_6
.LBB106_5:                              ;   in Loop: Header=BB106_6 Depth=1
	s_or_b64 exec, exec, s[36:37]
	v_add_u32_e32 v7, 64, v7
	v_cmp_le_i32_e64 s[12:13], s18, v7
	s_xor_b64 s[2:3], s[2:3], -1
	s_or_b64 s[2:3], s[2:3], s[12:13]
	s_and_b64 s[2:3], exec, s[2:3]
	s_or_b64 s[30:31], s[2:3], s[30:31]
	v_add_u32_e32 v2, s42, v2
	s_andn2_b64 exec, exec, s[30:31]
	s_cbranch_execz .LBB106_8
.LBB106_6:                              ; =>This Inner Loop Header: Depth=1
	v_ashrrev_i32_e32 v3, 31, v2
	v_lshlrev_b64 v[8:9], 2, v[2:3]
	v_add_co_u32_e64 v8, s[2:3], v4, v8
	v_addc_co_u32_e64 v9, s[2:3], v5, v9, s[2:3]
	global_load_dword v3, v[8:9], off
	s_waitcnt vmcnt(0)
	v_cmp_ne_u32_e64 s[2:3], s7, v3
	v_cmp_eq_u32_e64 s[12:13], s7, v3
	s_and_saveexec_b64 s[36:37], s[12:13]
	s_cbranch_execz .LBB106_5
; %bb.7:                                ;   in Loop: Header=BB106_6 Depth=1
	v_mov_b32_e32 v1, 1
	ds_write_b32 v6, v7
	s_branch .LBB106_5
.LBB106_8:
	s_or_b64 exec, exec, s[30:31]
.LBB106_9:
	s_or_b64 exec, exec, s[28:29]
.LBB106_10:
	s_or_b64 exec, exec, s[14:15]
	s_mul_hi_u32 s28, s39, s38
	s_and_saveexec_b64 s[2:3], vcc
	s_cbranch_execz .LBB106_12
; %bb.11:
	v_mov_b32_e32 v2, 0x100
	v_lshl_add_u32 v2, v17, 2, v2
	v_mov_b32_e32 v3, -1
	ds_write_b32 v2, v3 offset:12
.LBB106_12:
	s_or_b64 exec, exec, s[2:3]
	s_load_dwordx4 s[12:15], s[4:5], 0x54
	v_add_u32_e32 v88, 3, v17
	v_add_u32_e32 v2, s9, v88
	s_abs_i32 s38, s8
	s_add_i32 s39, s39, s28
	v_cmp_gt_i32_e64 s[2:3], s17, v2
	s_and_saveexec_b64 s[28:29], s[2:3]
	s_cbranch_execz .LBB106_20
; %bb.13:
	s_and_saveexec_b64 s[30:31], s[10:11]
	s_cbranch_execz .LBB106_19
; %bb.14:
	v_mul_lo_u32 v2, v88, s23
	v_ashrrev_i32_e32 v3, 31, v2
	v_lshlrev_b64 v[2:3], 2, v[2:3]
	v_mov_b32_e32 v5, s41
	v_add_co_u32_e32 v4, vcc, s40, v2
	v_mov_b32_e32 v2, 0x100
	v_addc_co_u32_e32 v5, vcc, v5, v3, vcc
	v_lshl_add_u32 v6, v17, 2, v2
	v_mul_lo_u32 v2, v16, s22
	s_waitcnt lgkmcnt(0)
	s_lshl_b32 s15, s22, 6
	s_mov_b64 s[22:23], 0
	v_mov_b32_e32 v7, v16
	s_branch .LBB106_16
.LBB106_15:                             ;   in Loop: Header=BB106_16 Depth=1
	s_or_b64 exec, exec, s[36:37]
	v_add_u32_e32 v7, 64, v7
	v_cmp_le_i32_e64 s[10:11], s18, v7
	s_xor_b64 s[36:37], vcc, -1
	s_or_b64 s[10:11], s[36:37], s[10:11]
	s_and_b64 s[10:11], exec, s[10:11]
	s_or_b64 s[22:23], s[10:11], s[22:23]
	v_add_u32_e32 v2, s15, v2
	s_andn2_b64 exec, exec, s[22:23]
	s_cbranch_execz .LBB106_18
.LBB106_16:                             ; =>This Inner Loop Header: Depth=1
	v_ashrrev_i32_e32 v3, 31, v2
	v_lshlrev_b64 v[8:9], 2, v[2:3]
	v_add_co_u32_e32 v8, vcc, v4, v8
	v_addc_co_u32_e32 v9, vcc, v5, v9, vcc
	global_load_dword v3, v[8:9], off
	s_waitcnt vmcnt(0)
	v_cmp_ne_u32_e32 vcc, s7, v3
	v_cmp_eq_u32_e64 s[10:11], s7, v3
	s_and_saveexec_b64 s[36:37], s[10:11]
	s_cbranch_execz .LBB106_15
; %bb.17:                               ;   in Loop: Header=BB106_16 Depth=1
	v_mov_b32_e32 v1, 1
	ds_write_b32 v6, v7 offset:12
	s_branch .LBB106_15
.LBB106_18:
	s_or_b64 exec, exec, s[22:23]
.LBB106_19:
	s_or_b64 exec, exec, s[30:31]
.LBB106_20:
	s_or_b64 exec, exec, s[28:29]
	s_load_dwordx2 s[22:23], s[34:35], 0xc
	s_load_dwordx4 s[28:31], s[4:5], 0x0
	s_load_dwordx2 s[10:11], s[4:5], 0x18
	v_cmp_ne_u32_e32 vcc, 0, v1
	v_cndmask_b32_e64 v1, 0, 1, vcc
	s_waitcnt lgkmcnt(0)
	s_lshr_b32 s5, s22, 16
	s_and_b32 s4, s22, 0xffff
	v_or_b32_dpp v1, v1, v1 row_shl:1 row_mask:0xf bank_mask:0xf bound_ctrl:1
	s_mul_i32 s22, s5, s4
	s_and_b32 s15, s23, 0xffff
	v_or_b32_dpp v1, v1, v1 row_shl:2 row_mask:0xf bank_mask:0xf bound_ctrl:1
	s_bfe_i32 s22, s22, 0x180000
	s_mul_i32 s15, s22, s15
	v_or_b32_dpp v1, v1, v1 row_shl:4 row_mask:0xf bank_mask:0xf bound_ctrl:1
	s_add_i32 s22, s15, 63
	s_bitcmp1_b32 exec_hi, 0
	v_or_b32_dpp v1, v1, v1 row_shl:8 row_mask:0xf bank_mask:0xf bound_ctrl:1
	s_mul_hi_u32 s18, s38, s39
	s_nop 0
	v_mov_b32_dpp v2, v1 wave_shl:1 row_mask:0xf bank_mask:0xf bound_ctrl:1
	s_nop 1
	v_or_b32_dpp v1, v2, v1 row_mirror row_mask:0xf bank_mask:0xf bound_ctrl:1
	v_readlane_b32 s15, v1, 32
	s_cselect_b32 s15, s15, 0
	v_readlane_b32 s23, v1, 0
	s_or_b32 s15, s15, s23
	s_andn2_b32 s22, s22, 63
	s_cmp_lg_u32 s22, 64
	v_mov_b32_e32 v1, s15
	s_cbranch_scc0 .LBB106_27
; %bb.21:
	v_bfe_u32 v0, v0, 20, 10
	v_mbcnt_lo_u32_b32 v1, -1, 0
	v_mad_u32_u24 v0, v0, s5, v17
	v_mbcnt_hi_u32_b32 v2, -1, v1
	v_mad_u64_u32 v[0:1], s[4:5], v0, s4, v[16:17]
	v_lshrrev_b32_e32 v1, 6, v0
	v_or_b32_e32 v1, v2, v1
	v_cmp_eq_u32_e32 vcc, 0, v1
	s_and_saveexec_b64 s[4:5], vcc
	s_cbranch_execz .LBB106_23
; %bb.22:
	v_mov_b32_e32 v1, 0
	v_mov_b32_e32 v3, s15
	ds_write_b32 v1, v3
.LBB106_23:
	s_or_b64 exec, exec, s[4:5]
	v_cmp_eq_u32_e32 vcc, 0, v2
	v_cmp_lt_u32_e64 s[4:5], 63, v0
	s_and_b64 s[22:23], s[4:5], vcc
	s_waitcnt lgkmcnt(0)
	s_barrier
	s_and_saveexec_b64 s[4:5], s[22:23]
	s_cbranch_execz .LBB106_26
; %bb.24:
	v_mbcnt_lo_u32_b32 v0, exec_lo, 0
	v_mbcnt_hi_u32_b32 v0, exec_hi, v0
	v_cmp_eq_u32_e32 vcc, 0, v0
	s_and_b64 exec, exec, vcc
	s_cbranch_execz .LBB106_26
; %bb.25:
	v_mov_b32_e32 v0, 0
	v_mov_b32_e32 v1, s15
	ds_or_b32 v0, v1
.LBB106_26:
	s_or_b64 exec, exec, s[4:5]
	v_mov_b32_e32 v0, 0
	s_waitcnt lgkmcnt(0)
	s_barrier
	ds_read_b32 v1, v0
	s_waitcnt lgkmcnt(0)
	s_barrier
.LBB106_27:
	v_cmp_ne_u32_e32 vcc, 0, v1
	s_ashr_i32 s22, s8, 31
	s_ashr_i32 s23, s27, 31
	s_cbranch_vccz .LBB106_53
; %bb.28:
	v_lshlrev_b32_e32 v89, 6, v17
	v_add_u32_e32 v91, v89, v16
	v_cmp_le_i32_e32 vcc, s16, v91
	v_and_b32_e32 v90, 15, v16
                                        ; implicit-def: $sgpr27
	s_and_saveexec_b64 s[4:5], vcc
	s_xor_b64 s[4:5], exec, s[4:5]
; %bb.29:
	v_and_b32_e32 v90, 15, v16
	s_mov_b32 s27, 0
                                        ; implicit-def: $vgpr91
; %bb.30:
	s_or_saveexec_b64 s[4:5], s[4:5]
	s_lshl_b32 s15, s6, 6
	v_accvgpr_write_b32 a8, s27
	v_accvgpr_write_b32 a9, s27
	;; [unrolled: 1-line block ×16, first 2 shown]
	s_xor_b64 exec, exec, s[4:5]
	s_cbranch_execz .LBB106_46
; %bb.31:
	s_xor_b32 s6, s22, s23
	s_mul_i32 s22, s18, s33
	s_sub_i32 s22, s38, s22
	s_add_i32 s23, s18, 1
	s_sub_i32 s27, s22, s33
	s_cmp_ge_u32 s22, s33
	s_cselect_b32 s18, s23, s18
	s_cselect_b32 s22, s27, s22
	s_add_i32 s23, s18, 1
	s_cmp_ge_u32 s22, s33
	s_cselect_b32 s18, s23, s18
	s_xor_b32 s18, s18, s6
	s_sub_i32 s6, s18, s6
	s_mul_hi_i32 s23, s6, s12
	s_mul_i32 s22, s6, s12
	s_mul_i32 s6, s7, s24
	s_ashr_i32 s7, s6, 31
	s_lshl_b64 s[38:39], s[22:23], 2
	s_add_u32 s12, s28, s38
	s_addc_u32 s18, s29, s39
	s_lshl_b64 s[40:41], s[6:7], 2
	s_mul_i32 s34, s15, s19
	s_add_u32 s6, s12, s40
	s_addc_u32 s7, s18, s41
	s_ashr_i32 s35, s34, 31
	s_lshl_b64 s[42:43], s[34:35], 2
	s_add_u32 s24, s6, s42
	s_movk_i32 s6, 0x1080
	v_mov_b32_e32 v92, 0x100
	s_addc_u32 s18, s7, s43
	v_mad_u32_u24 v0, v17, s6, v92
	s_mul_hi_i32 s7, s13, s8
	s_mul_i32 s6, s13, s8
	s_mul_hi_i32 s13, s20, s9
	s_mul_i32 s12, s20, s9
	s_lshl_b64 s[12:13], s[12:13], 3
	s_lshl_b64 s[6:7], s[6:7], 2
	s_add_u32 s6, s30, s6
	s_addc_u32 s7, s31, s7
	s_add_u32 s27, s6, s12
	s_addc_u32 s33, s7, s13
	s_cmp_lt_i32 s9, s17
	s_cselect_b64 s[6:7], -1, 0
	s_or_b32 s12, s9, 1
	s_cmp_lt_i32 s12, s17
	s_cselect_b64 s[12:13], -1, 0
	s_or_b32 s22, s9, 2
	s_cmp_lt_i32 s22, s17
	s_cselect_b64 s[22:23], -1, 0
	s_lshl_b32 s36, s20, 2
	s_or_b32 s30, s9, 3
	s_cmp_lt_i32 s30, s17
	s_cselect_b64 s[30:31], -1, 0
	s_ashr_i32 s35, s19, 31
	s_mov_b32 s34, s19
	s_lshl_b64 s[34:35], s[34:35], 2
	s_add_u32 s17, s38, s42
	s_addc_u32 s37, s39, s43
	v_lshrrev_b32_e32 v2, 1, v16
	s_add_u32 s17, s17, s40
	v_mul_u32_u24_e32 v1, 0x108, v90
	v_and_b32_e32 v2, 0x1f8, v2
	s_addc_u32 s37, s37, s41
	v_lshl_add_u32 v93, v16, 2, v0
	v_add3_u32 v94, v0, v1, v2
	v_lshlrev_b32_e32 v0, 1, v16
	s_add_u32 s17, s28, s17
	v_lshl_add_u32 v95, v17, 7, v0
	v_lshlrev_b32_e32 v0, 2, v91
	s_addc_u32 s28, s29, s37
	v_mov_b32_e32 v1, s28
	v_add_co_u32_e32 v18, vcc, s17, v0
	v_addc_co_u32_e32 v19, vcc, 0, v1, vcc
	s_mul_i32 s17, s20, 6
	s_lshl_b32 s20, s20, 1
	s_lshl_b32 s28, s19, 1
	s_mul_i32 s29, s19, 3
	s_lshl_b32 s37, s19, 2
	s_mul_i32 s38, s19, 5
	s_mul_i32 s39, s19, 6
	s_mul_i32 s40, s19, 7
	s_lshl_b32 s41, s19, 3
	s_mul_i32 s42, s19, 9
	s_mul_i32 s43, s19, 10
	;; [unrolled: 1-line block ×7, first 2 shown]
	s_lshl_b32 s49, s19, 4
	s_mul_i32 s50, s19, 17
	s_mul_i32 s51, s19, 18
	;; [unrolled: 1-line block ×15, first 2 shown]
	s_lshl_b32 s65, s19, 5
	s_mul_i32 s66, s19, 33
	s_mul_i32 s67, s19, 34
	;; [unrolled: 1-line block ×11, first 2 shown]
	v_mov_b32_e32 v96, s18
	s_mul_i32 s77, s19, 44
	v_mov_b32_e32 v97, 0
	v_accvgpr_write_b32 a15, 0
	v_accvgpr_write_b32 a14, 0
	;; [unrolled: 1-line block ×16, first 2 shown]
	v_mov_b32_e32 v98, s35
	s_mul_i32 s35, s19, 45
	s_mul_i32 s78, s19, 46
	;; [unrolled: 1-line block ×19, first 2 shown]
	s_mov_b64 s[18:19], 0
	s_branch .LBB106_33
.LBB106_32:                             ;   in Loop: Header=BB106_33 Depth=1
	s_waitcnt vmcnt(0)
	v_cvt_f16_f32_e32 v84, v84
	v_cvt_f16_f32_e32 v85, v85
	v_add_u32_e32 v86, 0x200, v93
	v_add_u32_e32 v87, 0x400, v93
	v_accvgpr_write_b32 a0, v0
	v_pack_b32_f16 v84, v84, v85
	ds_write2_b32 v86, v84, v97 offset0:86 offset1:152
	ds_write2_b32 v87, v97, v97 offset0:90 offset1:156
	v_add_u32_e32 v84, 0x600, v93
	ds_write2_b32 v84, v97, v97 offset0:94 offset1:160
	v_add_u32_e32 v84, 0x800, v93
	;; [unrolled: 2-line block ×4, first 2 shown]
	ds_write2_b32 v84, v97, v97 offset0:106 offset1:172
	ds_write_b32 v93, v97 offset:4024
	ds_read2_b64 v[84:87], v94 offset0:8 offset1:12
	v_accvgpr_write_b32 a4, v4
	v_accvgpr_write_b32 a8, v8
	;; [unrolled: 1-line block ×15, first 2 shown]
	s_waitcnt lgkmcnt(0)
	v_mfma_f32_16x16x16f16 a[0:3], v[38:39], v[84:85], a[0:3]
	ds_read2_b64 v[0:3], v94 offset0:16 offset1:20
	v_add_co_u32_e32 v18, vcc, 0x300, v18
	v_add_u32_e32 v91, 0xc0, v91
	v_addc_co_u32_e32 v19, vcc, 0, v19, vcc
	v_cmp_le_i32_e32 vcc, s16, v91
	v_mfma_f32_16x16x16f16 a[4:7], v[52:53], v[84:85], a[4:7]
	v_add_u32_e32 v95, 0x180, v95
	s_or_b64 s[18:19], vcc, s[18:19]
	v_mfma_f32_16x16x16f16 a[8:11], v[66:67], v[84:85], a[8:11]
	v_mfma_f32_16x16x16f16 a[12:15], v[82:83], v[84:85], a[12:15]
	;; [unrolled: 1-line block ×6, first 2 shown]
	s_waitcnt lgkmcnt(0)
	v_mfma_f32_16x16x16f16 a[0:3], v[30:31], v[0:1], a[0:3]
	v_mfma_f32_16x16x16f16 a[4:7], v[46:47], v[0:1], a[4:7]
	;; [unrolled: 1-line block ×8, first 2 shown]
	ds_read2_b64 v[0:3], v94 offset0:24 offset1:28
	s_waitcnt lgkmcnt(0)
	v_mfma_f32_16x16x16f16 a[0:3], v[26:27], v[0:1], a[0:3]
	v_mfma_f32_16x16x16f16 a[4:7], v[42:43], v[0:1], a[4:7]
	;; [unrolled: 1-line block ×8, first 2 shown]
	ds_read2_b64 v[0:3], v94 offset0:32 offset1:36
	s_waitcnt lgkmcnt(0)
	v_mfma_f32_16x16x16f16 a[0:3], v[22:23], v[0:1], a[0:3]
	v_mfma_f32_16x16x16f16 a[4:7], v[36:37], v[0:1], a[4:7]
	;; [unrolled: 1-line block ×8, first 2 shown]
	s_andn2_b64 exec, exec, s[18:19]
	s_cbranch_execz .LBB106_45
.LBB106_33:                             ; =>This Inner Loop Header: Depth=1
	v_add_co_u32_e32 v0, vcc, s34, v18
	v_addc_co_u32_e32 v1, vcc, v19, v98, vcc
	global_load_dword v24, v[18:19], off
	global_load_dword v25, v[0:1], off
	v_add_u32_e32 v0, s28, v91
	v_ashrrev_i32_e32 v1, 31, v0
	v_lshlrev_b64 v[0:1], 2, v[0:1]
	v_add_u32_e32 v2, s29, v91
	v_add_co_u32_e32 v0, vcc, s24, v0
	v_ashrrev_i32_e32 v3, 31, v2
	v_addc_co_u32_e32 v1, vcc, v96, v1, vcc
	v_lshlrev_b64 v[2:3], 2, v[2:3]
	v_add_u32_e32 v4, s37, v91
	v_add_co_u32_e32 v2, vcc, s24, v2
	v_ashrrev_i32_e32 v5, 31, v4
	v_addc_co_u32_e32 v3, vcc, v96, v3, vcc
	v_lshlrev_b64 v[4:5], 2, v[4:5]
	v_add_u32_e32 v6, s38, v91
	v_add_co_u32_e32 v4, vcc, s24, v4
	v_ashrrev_i32_e32 v7, 31, v6
	v_addc_co_u32_e32 v5, vcc, v96, v5, vcc
	v_lshlrev_b64 v[6:7], 2, v[6:7]
	v_add_u32_e32 v8, s39, v91
	v_add_co_u32_e32 v6, vcc, s24, v6
	v_ashrrev_i32_e32 v9, 31, v8
	v_addc_co_u32_e32 v7, vcc, v96, v7, vcc
	v_lshlrev_b64 v[8:9], 2, v[8:9]
	v_add_u32_e32 v10, s40, v91
	v_add_co_u32_e32 v8, vcc, s24, v8
	v_ashrrev_i32_e32 v11, 31, v10
	v_addc_co_u32_e32 v9, vcc, v96, v9, vcc
	v_lshlrev_b64 v[10:11], 2, v[10:11]
	v_add_co_u32_e32 v10, vcc, s24, v10
	v_addc_co_u32_e32 v11, vcc, v96, v11, vcc
	global_load_dword v26, v[0:1], off
	global_load_dword v27, v[2:3], off
	;; [unrolled: 1-line block ×6, first 2 shown]
	v_add_u32_e32 v20, s41, v91
	v_ashrrev_i32_e32 v21, 31, v20
	v_add_u32_e32 v22, s42, v91
	v_lshlrev_b64 v[20:21], 2, v[20:21]
	v_ashrrev_i32_e32 v23, 31, v22
	v_add_co_u32_e32 v20, vcc, s24, v20
	v_lshlrev_b64 v[22:23], 2, v[22:23]
	v_addc_co_u32_e32 v21, vcc, v96, v21, vcc
	v_add_co_u32_e32 v22, vcc, s24, v22
	v_addc_co_u32_e32 v23, vcc, v96, v23, vcc
	v_add_u32_e32 v32, s48, v91
	v_ashrrev_i32_e32 v33, 31, v32
	v_lshlrev_b64 v[32:33], 2, v[32:33]
	v_add_u32_e32 v34, s49, v91
	v_ashrrev_i32_e32 v35, 31, v34
	v_lshlrev_b64 v[34:35], 2, v[34:35]
	v_add_u32_e32 v36, s50, v91
	v_ashrrev_i32_e32 v37, 31, v36
	v_lshlrev_b64 v[36:37], 2, v[36:37]
	v_add_u32_e32 v60, s74, v91
	v_ashrrev_i32_e32 v61, 31, v60
	v_lshlrev_b64 v[60:61], 2, v[60:61]
	v_accvgpr_read_b32 v3, a15
	v_accvgpr_read_b32 v2, a14
	v_accvgpr_read_b32 v1, a13
	v_accvgpr_read_b32 v0, a12
	v_accvgpr_read_b32 v7, a7
	v_accvgpr_read_b32 v6, a6
	s_waitcnt vmcnt(7)
	ds_write_b32 v93, v24 offset:64
	s_waitcnt vmcnt(6)
	ds_write_b32 v93, v25 offset:328
	global_load_dword v20, v[20:21], off
	s_nop 0
	global_load_dword v21, v[22:23], off
	v_add_u32_e32 v22, s43, v91
	v_ashrrev_i32_e32 v23, 31, v22
	v_lshlrev_b64 v[22:23], 2, v[22:23]
	v_add_u32_e32 v24, s44, v91
	v_add_co_u32_e32 v22, vcc, s24, v22
	v_ashrrev_i32_e32 v25, 31, v24
	v_addc_co_u32_e32 v23, vcc, v96, v23, vcc
	v_lshlrev_b64 v[24:25], 2, v[24:25]
	s_waitcnt vmcnt(7)
	ds_write_b32 v93, v26 offset:592
	s_waitcnt vmcnt(6)
	ds_write_b32 v93, v27 offset:856
	;; [unrolled: 2-line block ×6, first 2 shown]
	v_add_u32_e32 v26, s45, v91
	v_add_co_u32_e32 v24, vcc, s24, v24
	v_ashrrev_i32_e32 v27, 31, v26
	v_addc_co_u32_e32 v25, vcc, v96, v25, vcc
	v_lshlrev_b64 v[26:27], 2, v[26:27]
	v_add_u32_e32 v28, s46, v91
	v_add_co_u32_e32 v26, vcc, s24, v26
	v_ashrrev_i32_e32 v29, 31, v28
	v_addc_co_u32_e32 v27, vcc, v96, v27, vcc
	v_lshlrev_b64 v[28:29], 2, v[28:29]
	;; [unrolled: 5-line block ×3, first 2 shown]
	v_add_co_u32_e32 v30, vcc, s24, v30
	v_addc_co_u32_e32 v31, vcc, v96, v31, vcc
	v_add_co_u32_e32 v32, vcc, s24, v32
	v_addc_co_u32_e32 v33, vcc, v96, v33, vcc
	;; [unrolled: 2-line block ×4, first 2 shown]
	global_load_dword v22, v[22:23], off
	s_nop 0
	global_load_dword v23, v[24:25], off
	s_nop 0
	global_load_dword v24, v[26:27], off
	global_load_dword v25, v[28:29], off
	s_nop 0
	global_load_dword v26, v[30:31], off
	;; [unrolled: 3-line block ×3, first 2 shown]
	s_nop 0
	global_load_dword v35, v[36:37], off
	v_add_u32_e32 v28, s51, v91
	v_ashrrev_i32_e32 v29, 31, v28
	v_lshlrev_b64 v[28:29], 2, v[28:29]
	v_add_u32_e32 v30, s52, v91
	v_add_co_u32_e32 v28, vcc, s24, v28
	v_ashrrev_i32_e32 v31, 31, v30
	v_addc_co_u32_e32 v29, vcc, v96, v29, vcc
	v_lshlrev_b64 v[30:31], 2, v[30:31]
	v_add_u32_e32 v32, s53, v91
	v_add_co_u32_e32 v30, vcc, s24, v30
	v_ashrrev_i32_e32 v33, 31, v32
	v_addc_co_u32_e32 v31, vcc, v96, v31, vcc
	;; [unrolled: 5-line block ×3, first 2 shown]
	v_lshlrev_b64 v[36:37], 2, v[36:37]
	v_add_co_u32_e32 v38, vcc, s24, v36
	v_add_u32_e32 v36, s55, v91
	v_addc_co_u32_e32 v39, vcc, v96, v37, vcc
	v_ashrrev_i32_e32 v37, 31, v36
	v_lshlrev_b64 v[36:37], 2, v[36:37]
	v_add_co_u32_e32 v42, vcc, s24, v36
	v_add_u32_e32 v36, s56, v91
	v_addc_co_u32_e32 v43, vcc, v96, v37, vcc
	v_ashrrev_i32_e32 v37, 31, v36
	;; [unrolled: 5-line block ×4, first 2 shown]
	v_lshlrev_b64 v[36:37], 2, v[36:37]
	v_add_co_u32_e32 v48, vcc, s24, v36
	v_addc_co_u32_e32 v49, vcc, v96, v37, vcc
	global_load_dword v36, v[28:29], off
	global_load_dword v37, v[30:31], off
	;; [unrolled: 1-line block ×4, first 2 shown]
	s_nop 0
	global_load_dword v42, v[42:43], off
	s_nop 0
	global_load_dword v43, v[44:45], off
	s_nop 0
	global_load_dword v44, v[46:47], off
	global_load_dword v45, v[48:49], off
	v_add_u32_e32 v28, s59, v91
	v_ashrrev_i32_e32 v29, 31, v28
	v_lshlrev_b64 v[28:29], 2, v[28:29]
	v_add_u32_e32 v30, s60, v91
	v_add_co_u32_e32 v28, vcc, s24, v28
	v_ashrrev_i32_e32 v31, 31, v30
	v_addc_co_u32_e32 v29, vcc, v96, v29, vcc
	v_lshlrev_b64 v[30:31], 2, v[30:31]
	v_add_u32_e32 v32, s61, v91
	v_add_co_u32_e32 v30, vcc, s24, v30
	v_ashrrev_i32_e32 v33, 31, v32
	v_addc_co_u32_e32 v31, vcc, v96, v31, vcc
	v_lshlrev_b64 v[32:33], 2, v[32:33]
	v_add_u32_e32 v38, s62, v91
	v_add_co_u32_e32 v32, vcc, s24, v32
	v_ashrrev_i32_e32 v39, 31, v38
	v_addc_co_u32_e32 v33, vcc, v96, v33, vcc
	v_lshlrev_b64 v[38:39], 2, v[38:39]
	v_add_u32_e32 v46, s63, v91
	v_add_co_u32_e32 v38, vcc, s24, v38
	v_ashrrev_i32_e32 v47, 31, v46
	v_addc_co_u32_e32 v39, vcc, v96, v39, vcc
	v_lshlrev_b64 v[46:47], 2, v[46:47]
	v_add_co_u32_e32 v48, vcc, s24, v46
	v_add_u32_e32 v46, s64, v91
	v_addc_co_u32_e32 v49, vcc, v96, v47, vcc
	v_ashrrev_i32_e32 v47, 31, v46
	v_lshlrev_b64 v[46:47], 2, v[46:47]
	v_add_co_u32_e32 v54, vcc, s24, v46
	v_add_u32_e32 v46, s65, v91
	v_addc_co_u32_e32 v55, vcc, v96, v47, vcc
	v_ashrrev_i32_e32 v47, 31, v46
	v_lshlrev_b64 v[46:47], 2, v[46:47]
	v_add_co_u32_e32 v56, vcc, s24, v46
	v_add_u32_e32 v46, s66, v91
	v_addc_co_u32_e32 v57, vcc, v96, v47, vcc
	v_ashrrev_i32_e32 v47, 31, v46
	v_lshlrev_b64 v[46:47], 2, v[46:47]
	v_add_co_u32_e32 v58, vcc, s24, v46
	v_addc_co_u32_e32 v59, vcc, v96, v47, vcc
	global_load_dword v46, v[28:29], off
	global_load_dword v47, v[30:31], off
	;; [unrolled: 1-line block ×6, first 2 shown]
	s_nop 0
	global_load_dword v48, v[56:57], off
	global_load_dword v49, v[58:59], off
	v_add_u32_e32 v28, s67, v91
	v_ashrrev_i32_e32 v29, 31, v28
	v_lshlrev_b64 v[28:29], 2, v[28:29]
	v_add_u32_e32 v30, s68, v91
	v_add_co_u32_e32 v28, vcc, s24, v28
	v_ashrrev_i32_e32 v31, 31, v30
	v_addc_co_u32_e32 v29, vcc, v96, v29, vcc
	v_lshlrev_b64 v[30:31], 2, v[30:31]
	v_add_u32_e32 v32, s69, v91
	v_add_co_u32_e32 v30, vcc, s24, v30
	v_ashrrev_i32_e32 v33, 31, v32
	v_addc_co_u32_e32 v31, vcc, v96, v31, vcc
	;; [unrolled: 5-line block ×6, first 2 shown]
	v_lshlrev_b64 v[58:59], 2, v[58:59]
	v_add_co_u32_e32 v58, vcc, s24, v58
	v_addc_co_u32_e32 v59, vcc, v96, v59, vcc
	v_add_co_u32_e32 v60, vcc, s24, v60
	v_addc_co_u32_e32 v61, vcc, v96, v61, vcc
	global_load_dword v62, v[28:29], off
	global_load_dword v63, v[30:31], off
	;; [unrolled: 1-line block ×8, first 2 shown]
	v_add_u32_e32 v28, s75, v91
	v_ashrrev_i32_e32 v29, 31, v28
	v_lshlrev_b64 v[28:29], 2, v[28:29]
	v_add_u32_e32 v30, s76, v91
	v_add_co_u32_e32 v28, vcc, s24, v28
	v_ashrrev_i32_e32 v31, 31, v30
	v_addc_co_u32_e32 v29, vcc, v96, v29, vcc
	v_lshlrev_b64 v[30:31], 2, v[30:31]
	v_add_u32_e32 v32, s77, v91
	v_add_co_u32_e32 v30, vcc, s24, v30
	v_ashrrev_i32_e32 v33, 31, v32
	v_addc_co_u32_e32 v31, vcc, v96, v31, vcc
	;; [unrolled: 5-line block ×7, first 2 shown]
	v_lshlrev_b64 v[60:61], 2, v[60:61]
	v_add_co_u32_e32 v60, vcc, s24, v60
	v_addc_co_u32_e32 v61, vcc, v96, v61, vcc
	global_load_dword v70, v[28:29], off
	global_load_dword v71, v[30:31], off
	;; [unrolled: 1-line block ×8, first 2 shown]
	v_add_u32_e32 v28, s82, v91
	v_ashrrev_i32_e32 v29, 31, v28
	v_lshlrev_b64 v[28:29], 2, v[28:29]
	v_add_u32_e32 v30, s83, v91
	v_add_co_u32_e32 v28, vcc, s24, v28
	v_ashrrev_i32_e32 v31, 31, v30
	v_addc_co_u32_e32 v29, vcc, v96, v29, vcc
	v_lshlrev_b64 v[30:31], 2, v[30:31]
	v_add_u32_e32 v32, s84, v91
	v_add_co_u32_e32 v30, vcc, s24, v30
	v_ashrrev_i32_e32 v33, 31, v32
	v_addc_co_u32_e32 v31, vcc, v96, v31, vcc
	;; [unrolled: 5-line block ×7, first 2 shown]
	v_lshlrev_b64 v[60:61], 2, v[60:61]
	v_add_co_u32_e32 v60, vcc, s24, v60
	v_addc_co_u32_e32 v61, vcc, v96, v61, vcc
	global_load_dword v78, v[28:29], off
	global_load_dword v79, v[30:31], off
	global_load_dword v80, v[32:33], off
	global_load_dword v81, v[38:39], off
	global_load_dword v82, v[54:55], off
	global_load_dword v83, v[56:57], off
	global_load_dword v84, v[58:59], off
	global_load_dword v85, v[60:61], off
	v_add_u32_e32 v28, s90, v91
	v_ashrrev_i32_e32 v29, 31, v28
	v_lshlrev_b64 v[28:29], 2, v[28:29]
	v_add_u32_e32 v30, s91, v91
	v_add_co_u32_e32 v28, vcc, s24, v28
	v_ashrrev_i32_e32 v31, 31, v30
	v_addc_co_u32_e32 v29, vcc, v96, v29, vcc
	v_lshlrev_b64 v[30:31], 2, v[30:31]
	v_add_u32_e32 v32, s92, v91
	v_add_co_u32_e32 v30, vcc, s24, v30
	v_ashrrev_i32_e32 v33, 31, v32
	v_addc_co_u32_e32 v31, vcc, v96, v31, vcc
	;; [unrolled: 5-line block ×5, first 2 shown]
	v_lshlrev_b64 v[56:57], 2, v[56:57]
	v_add_co_u32_e32 v56, vcc, s24, v56
	v_addc_co_u32_e32 v57, vcc, v96, v57, vcc
	global_load_dword v86, v[28:29], off
	global_load_dword v87, v[30:31], off
	;; [unrolled: 1-line block ×6, first 2 shown]
	s_waitcnt vmcnt(55)
	ds_write_b32 v93, v20 offset:2176
	s_waitcnt vmcnt(54)
	ds_write_b32 v93, v21 offset:2440
	s_waitcnt vmcnt(53)
	ds_write_b32 v93, v22 offset:2704
	s_waitcnt vmcnt(52)
	ds_write_b32 v93, v23 offset:2968
	s_waitcnt vmcnt(51)
	ds_write_b32 v93, v24 offset:3232
	s_waitcnt vmcnt(50)
	ds_write_b32 v93, v25 offset:3496
	s_waitcnt vmcnt(49)
	ds_write_b32 v93, v26 offset:3760
	s_waitcnt vmcnt(48)
	ds_write_b32 v93, v27 offset:4024
	ds_read_b64 v[38:39], v94 offset:64
	ds_read_b64 v[32:33], v94 offset:96
	ds_read_b64 v[30:31], v94 offset:128
	ds_read_b64 v[28:29], v94 offset:160
	ds_read_b64 v[26:27], v94 offset:192
	ds_read_b64 v[24:25], v94 offset:224
	ds_read_b64 v[22:23], v94 offset:256
	ds_read_b64 v[20:21], v94 offset:288
	s_waitcnt vmcnt(47)
	ds_write_b32 v93, v34 offset:64
	s_waitcnt vmcnt(46)
	ds_write_b32 v93, v35 offset:328
	s_waitcnt vmcnt(45)
	ds_write_b32 v93, v36 offset:592
	s_waitcnt vmcnt(44)
	ds_write_b32 v93, v37 offset:856
	s_waitcnt vmcnt(43)
	ds_write_b32 v93, v40 offset:1120
	s_waitcnt vmcnt(42)
	ds_write_b32 v93, v41 offset:1384
	s_waitcnt vmcnt(41)
	ds_write_b32 v93, v42 offset:1648
	s_waitcnt vmcnt(40)
	ds_write_b32 v93, v43 offset:1912
	s_waitcnt vmcnt(39)
	ds_write_b32 v93, v44 offset:2176
	s_waitcnt vmcnt(38)
	ds_write_b32 v93, v45 offset:2440
	s_waitcnt vmcnt(37)
	ds_write_b32 v93, v46 offset:2704
	s_waitcnt vmcnt(36)
	ds_write_b32 v93, v47 offset:2968
	s_waitcnt vmcnt(35)
	ds_write_b32 v93, v50 offset:3232
	s_waitcnt vmcnt(34)
	ds_write_b32 v93, v51 offset:3496
	s_waitcnt vmcnt(33)
	ds_write_b32 v93, v52 offset:3760
	s_waitcnt vmcnt(32)
	ds_write_b32 v93, v53 offset:4024
	ds_read_b64 v[52:53], v94 offset:64
	ds_read_b64 v[50:51], v94 offset:96
	ds_read_b64 v[46:47], v94 offset:128
	ds_read_b64 v[44:45], v94 offset:160
	ds_read_b64 v[42:43], v94 offset:192
	ds_read_b64 v[40:41], v94 offset:224
	ds_read_b64 v[36:37], v94 offset:256
	ds_read_b64 v[34:35], v94 offset:288
	s_waitcnt vmcnt(31)
	ds_write_b32 v93, v48 offset:64
	s_waitcnt vmcnt(30)
	ds_write_b32 v93, v49 offset:328
	s_waitcnt vmcnt(29)
	ds_write_b32 v93, v62 offset:592
	s_waitcnt vmcnt(28)
	ds_write_b32 v93, v63 offset:856
	s_waitcnt vmcnt(27)
	ds_write_b32 v93, v64 offset:1120
	s_waitcnt vmcnt(26)
	ds_write_b32 v93, v65 offset:1384
	s_waitcnt vmcnt(25)
	ds_write_b32 v93, v66 offset:1648
	s_waitcnt vmcnt(24)
	ds_write_b32 v93, v67 offset:1912
	;; [unrolled: 40-line block ×3, first 2 shown]
	s_waitcnt vmcnt(7)
	ds_write_b32 v93, v84 offset:2176
	s_waitcnt vmcnt(6)
	ds_write_b32 v93, v85 offset:2440
	;; [unrolled: 2-line block ×8, first 2 shown]
	ds_read_b64 v[82:83], v94 offset:64
	ds_read_b64 v[80:81], v94 offset:96
	;; [unrolled: 1-line block ×8, first 2 shown]
	v_accvgpr_read_b32 v5, a5
	v_accvgpr_read_b32 v4, a4
	;; [unrolled: 1-line block ×10, first 2 shown]
	s_andn2_b64 vcc, exec, s[6:7]
	v_mov_b32_e32 v84, 0
	v_mov_b32_e32 v85, 0
	s_cbranch_vccnz .LBB106_36
; %bb.34:                               ;   in Loop: Header=BB106_33 Depth=1
	ds_read_b32 v86, v92
	v_mov_b32_e32 v85, 0
	v_mov_b32_e32 v84, 0
	s_waitcnt lgkmcnt(0)
	v_cmp_gt_i32_e32 vcc, 0, v86
	s_cbranch_vccnz .LBB106_36
; %bb.35:                               ;   in Loop: Header=BB106_33 Depth=1
	v_mul_lo_u32 v84, v86, s25
	v_add_u32_e32 v84, v95, v84
	v_ashrrev_i32_e32 v85, 31, v84
	v_lshlrev_b64 v[84:85], 2, v[84:85]
	v_mov_b32_e32 v86, s33
	v_add_co_u32_e32 v84, vcc, s27, v84
	v_addc_co_u32_e32 v85, vcc, v86, v85, vcc
	global_load_dwordx2 v[84:85], v[84:85], off
.LBB106_36:                             ;   in Loop: Header=BB106_33 Depth=1
	s_waitcnt vmcnt(0)
	v_cvt_f16_f32_e32 v84, v84
	v_cvt_f16_f32_e32 v85, v85
	s_andn2_b64 vcc, exec, s[12:13]
	v_mov_b32_e32 v86, 0
	v_mov_b32_e32 v87, 0
	v_pack_b32_f16 v84, v84, v85
	ds_write_b32 v93, v84 offset:64
	v_mov_b32_e32 v84, 0
	s_cbranch_vccnz .LBB106_39
; %bb.37:                               ;   in Loop: Header=BB106_33 Depth=1
	ds_read_b32 v85, v92 offset:4
	v_mov_b32_e32 v87, 0
	v_mov_b32_e32 v86, 0
	s_waitcnt lgkmcnt(0)
	v_cmp_gt_i32_e32 vcc, 0, v85
	s_cbranch_vccnz .LBB106_39
; %bb.38:                               ;   in Loop: Header=BB106_33 Depth=1
	v_mul_lo_u32 v85, v85, s25
	v_add_u32_e32 v85, s20, v85
	v_add_u32_e32 v86, v85, v95
	v_ashrrev_i32_e32 v87, 31, v86
	v_lshlrev_b64 v[86:87], 2, v[86:87]
	v_mov_b32_e32 v85, s33
	v_add_co_u32_e32 v86, vcc, s27, v86
	v_addc_co_u32_e32 v87, vcc, v85, v87, vcc
	global_load_dwordx2 v[86:87], v[86:87], off
.LBB106_39:                             ;   in Loop: Header=BB106_33 Depth=1
	s_waitcnt vmcnt(0)
	v_cvt_f16_f32_e32 v85, v86
	v_cvt_f16_f32_e32 v86, v87
	s_andn2_b64 vcc, exec, s[22:23]
	v_pack_b32_f16 v85, v85, v86
	ds_write_b32 v93, v85 offset:328
	v_mov_b32_e32 v85, 0
	s_cbranch_vccnz .LBB106_42
; %bb.40:                               ;   in Loop: Header=BB106_33 Depth=1
	ds_read_b32 v86, v92 offset:8
	v_mov_b32_e32 v85, 0
	v_mov_b32_e32 v84, 0
	s_waitcnt lgkmcnt(0)
	v_cmp_gt_i32_e32 vcc, 0, v86
	s_cbranch_vccnz .LBB106_42
; %bb.41:                               ;   in Loop: Header=BB106_33 Depth=1
	v_mul_lo_u32 v84, v86, s25
	v_add_u32_e32 v84, s36, v84
	v_add_u32_e32 v84, v84, v95
	v_ashrrev_i32_e32 v85, 31, v84
	v_lshlrev_b64 v[84:85], 2, v[84:85]
	v_mov_b32_e32 v86, s33
	v_add_co_u32_e32 v84, vcc, s27, v84
	v_addc_co_u32_e32 v85, vcc, v86, v85, vcc
	global_load_dwordx2 v[84:85], v[84:85], off
.LBB106_42:                             ;   in Loop: Header=BB106_33 Depth=1
	s_waitcnt vmcnt(0)
	v_cvt_f16_f32_e32 v84, v84
	v_cvt_f16_f32_e32 v85, v85
	s_andn2_b64 vcc, exec, s[30:31]
	v_pack_b32_f16 v84, v84, v85
	ds_write_b32 v93, v84 offset:592
	v_mov_b32_e32 v84, 0
	v_mov_b32_e32 v85, 0
	s_cbranch_vccnz .LBB106_32
; %bb.43:                               ;   in Loop: Header=BB106_33 Depth=1
	ds_read_b32 v86, v92 offset:12
	v_mov_b32_e32 v85, 0
	v_mov_b32_e32 v84, 0
	s_waitcnt lgkmcnt(0)
	v_cmp_gt_i32_e32 vcc, 0, v86
	s_cbranch_vccnz .LBB106_32
; %bb.44:                               ;   in Loop: Header=BB106_33 Depth=1
	v_mul_lo_u32 v84, v86, s25
	v_add_u32_e32 v84, s17, v84
	v_add_u32_e32 v84, v84, v95
	v_ashrrev_i32_e32 v85, 31, v84
	v_lshlrev_b64 v[84:85], 2, v[84:85]
	v_mov_b32_e32 v86, s33
	v_add_co_u32_e32 v84, vcc, s27, v84
	v_addc_co_u32_e32 v85, vcc, v86, v85, vcc
	global_load_dwordx2 v[84:85], v[84:85], off
	s_branch .LBB106_32
.LBB106_45:
	s_or_b64 exec, exec, s[18:19]
.LBB106_46:
	s_or_b64 exec, exec, s[4:5]
	v_mul_u32_u24_e32 v0, 0x308, v90
	s_movk_i32 s5, 0x100
	v_lshlrev_b32_e32 v1, 2, v89
	v_add3_u32 v0, s5, v0, v1
	v_and_b32_e32 v2, 0x3f0, v16
	v_add_u32_e32 v3, v0, v2
	s_barrier
	ds_write2_b32 v3, a12, a13 offset0:16 offset1:17
	v_or_b32_e32 v3, 12, v16
	v_add_u32_e32 v1, 64, v0
	v_and_b32_e32 v3, 0x3fc, v3
	v_add_u32_e32 v2, v1, v2
	v_add_u32_e32 v0, v0, v3
	ds_write_b32 v2, a14 offset:8
	ds_write_b32 v0, a15 offset:64
	ds_write2_b32 v2, a4, a5 offset0:16 offset1:17
	ds_write_b32 v2, a6 offset:72
	v_add_u32_e32 v0, v1, v3
	v_mov_b32_e32 v3, 0x100
	s_movk_i32 s4, 0x308
	ds_write_b32 v0, a7 offset:64
	ds_write2_b32 v2, a0, a1 offset0:32 offset1:33
	ds_write_b32 v2, a2 offset:136
	ds_write_b32 v0, a3 offset:128
	ds_write2_b32 v2, a8, a9 offset0:48 offset1:49
	ds_write_b32 v2, a10 offset:200
	ds_write_b32 v0, a11 offset:192
	v_lshl_add_u32 v2, v16, 2, v3
	v_mad_u32_u24 v4, v17, s4, v2
	s_waitcnt lgkmcnt(0)
	s_barrier
	ds_read2_b32 v[0:1], v4 offset0:16 offset1:80
	ds_read_b32 v4, v4 offset:576
	v_cmp_gt_u32_e32 vcc, 4, v17
	v_mov_b32_e32 v5, -1
	s_and_saveexec_b64 s[4:5], vcc
	s_cbranch_execz .LBB106_48
; %bb.47:
	v_lshl_add_u32 v3, v17, 2, v3
	ds_read_b32 v5, v3
.LBB106_48:
	s_or_b64 exec, exec, s[4:5]
	s_mul_hi_i32 s5, s14, s8
	s_mul_i32 s4, s14, s8
	s_lshl_b64 s[4:5], s[4:5], 2
	s_mul_hi_i32 s7, s9, s21
	s_mul_i32 s6, s9, s21
	s_add_u32 s8, s10, s4
	s_addc_u32 s9, s11, s5
	s_lshl_b64 s[4:5], s[6:7], 2
	s_add_u32 s4, s8, s4
	s_waitcnt lgkmcnt(0)
	v_cmp_lt_i32_e32 vcc, -1, v5
	v_add_u32_e32 v3, s15, v16
	s_addc_u32 s5, s9, s5
	s_and_b64 s[6:7], vcc, s[0:1]
	s_and_saveexec_b64 s[0:1], s[6:7]
	s_cbranch_execz .LBB106_50
; %bb.49:
	v_add_f32_e32 v0, 0, v0
	v_add_f32_e32 v0, v0, v1
	;; [unrolled: 1-line block ×3, first 2 shown]
	v_mul_lo_u32 v0, v5, s26
	v_mul_lo_u32 v1, v17, s21
	v_add3_u32 v0, v3, v1, v0
	v_mov_b32_e32 v1, 0
	v_lshlrev_b64 v[0:1], 2, v[0:1]
	v_mov_b32_e32 v5, s5
	v_add_co_u32_e32 v0, vcc, s4, v0
	v_addc_co_u32_e32 v1, vcc, v5, v1, vcc
	global_store_dword v[0:1], v4, off
.LBB106_50:
	s_or_b64 exec, exec, s[0:1]
	v_cmp_eq_u32_e32 vcc, 0, v17
	s_and_saveexec_b64 s[0:1], vcc
	s_cbranch_execz .LBB106_53
; %bb.51:
	v_mov_b32_e32 v0, 0x100
	ds_read_b32 v0, v0 offset:12
	s_waitcnt lgkmcnt(0)
	v_readfirstlane_b32 s0, v0
	s_cmp_gt_i32 s0, -1
	s_cselect_b64 s[0:1], -1, 0
	s_and_b64 s[0:1], s[0:1], s[2:3]
	s_and_b64 exec, exec, s[0:1]
	s_cbranch_execz .LBB106_53
; %bb.52:
	v_mul_u32_u24_e32 v1, 0x308, v17
	v_add_u32_e32 v1, v1, v2
	v_add_u32_e32 v2, 0x58, v1
	ds_read2st64_b32 v[4:5], v2 offset0:9 offset1:10
	ds_read_b32 v1, v1 offset:2904
	v_mul_lo_u32 v0, v0, s26
	v_mul_lo_u32 v2, v88, s21
	v_add3_u32 v0, v3, v2, v0
	s_waitcnt lgkmcnt(1)
	v_add_f32_e32 v2, 0, v4
	v_add_f32_e32 v2, v2, v5
	s_waitcnt lgkmcnt(0)
	v_add_f32_e32 v2, v2, v1
	v_mov_b32_e32 v1, 0
	v_lshlrev_b64 v[0:1], 2, v[0:1]
	v_mov_b32_e32 v3, s5
	v_add_co_u32_e32 v0, vcc, s4, v0
	v_addc_co_u32_e32 v1, vcc, v3, v1, vcc
	global_store_dword v[0:1], v2, off
.LBB106_53:
	s_endpgm
	.section	.rodata,"a",@progbits
	.p2align	6, 0x0
	.amdhsa_kernel _ZL9mul_mat_fI7__half2Li64ELi4ELi3ELb1EEvPKT_PKfPKiPfiiiiiiiiiiiiiiii
		.amdhsa_group_segment_fixed_size 256
		.amdhsa_private_segment_fixed_size 0
		.amdhsa_kernarg_size 352
		.amdhsa_user_sgpr_count 6
		.amdhsa_user_sgpr_private_segment_buffer 1
		.amdhsa_user_sgpr_dispatch_ptr 0
		.amdhsa_user_sgpr_queue_ptr 0
		.amdhsa_user_sgpr_kernarg_segment_ptr 1
		.amdhsa_user_sgpr_dispatch_id 0
		.amdhsa_user_sgpr_flat_scratch_init 0
		.amdhsa_user_sgpr_kernarg_preload_length 0
		.amdhsa_user_sgpr_kernarg_preload_offset 0
		.amdhsa_user_sgpr_private_segment_size 0
		.amdhsa_uses_dynamic_stack 0
		.amdhsa_system_sgpr_private_segment_wavefront_offset 0
		.amdhsa_system_sgpr_workgroup_id_x 1
		.amdhsa_system_sgpr_workgroup_id_y 1
		.amdhsa_system_sgpr_workgroup_id_z 1
		.amdhsa_system_sgpr_workgroup_info 0
		.amdhsa_system_vgpr_workitem_id 2
		.amdhsa_next_free_vgpr 124
		.amdhsa_next_free_sgpr 96
		.amdhsa_accum_offset 104
		.amdhsa_reserve_vcc 1
		.amdhsa_reserve_flat_scratch 0
		.amdhsa_float_round_mode_32 0
		.amdhsa_float_round_mode_16_64 0
		.amdhsa_float_denorm_mode_32 3
		.amdhsa_float_denorm_mode_16_64 3
		.amdhsa_dx10_clamp 1
		.amdhsa_ieee_mode 1
		.amdhsa_fp16_overflow 0
		.amdhsa_tg_split 0
		.amdhsa_exception_fp_ieee_invalid_op 0
		.amdhsa_exception_fp_denorm_src 0
		.amdhsa_exception_fp_ieee_div_zero 0
		.amdhsa_exception_fp_ieee_overflow 0
		.amdhsa_exception_fp_ieee_underflow 0
		.amdhsa_exception_fp_ieee_inexact 0
		.amdhsa_exception_int_div_zero 0
	.end_amdhsa_kernel
	.section	.text._ZL9mul_mat_fI7__half2Li64ELi4ELi3ELb1EEvPKT_PKfPKiPfiiiiiiiiiiiiiiii,"axG",@progbits,_ZL9mul_mat_fI7__half2Li64ELi4ELi3ELb1EEvPKT_PKfPKiPfiiiiiiiiiiiiiiii,comdat
.Lfunc_end106:
	.size	_ZL9mul_mat_fI7__half2Li64ELi4ELi3ELb1EEvPKT_PKfPKiPfiiiiiiiiiiiiiiii, .Lfunc_end106-_ZL9mul_mat_fI7__half2Li64ELi4ELi3ELb1EEvPKT_PKfPKiPfiiiiiiiiiiiiiiii
                                        ; -- End function
	.section	.AMDGPU.csdata,"",@progbits
; Kernel info:
; codeLenInByte = 7036
; NumSgprs: 100
; NumVgprs: 103
; NumAgprs: 20
; TotalNumVgprs: 124
; ScratchSize: 0
; MemoryBound: 0
; FloatMode: 240
; IeeeMode: 1
; LDSByteSize: 256 bytes/workgroup (compile time only)
; SGPRBlocks: 12
; VGPRBlocks: 15
; NumSGPRsForWavesPerEU: 100
; NumVGPRsForWavesPerEU: 124
; AccumOffset: 104
; Occupancy: 4
; WaveLimiterHint : 0
; COMPUTE_PGM_RSRC2:SCRATCH_EN: 0
; COMPUTE_PGM_RSRC2:USER_SGPR: 6
; COMPUTE_PGM_RSRC2:TRAP_HANDLER: 0
; COMPUTE_PGM_RSRC2:TGID_X_EN: 1
; COMPUTE_PGM_RSRC2:TGID_Y_EN: 1
; COMPUTE_PGM_RSRC2:TGID_Z_EN: 1
; COMPUTE_PGM_RSRC2:TIDIG_COMP_CNT: 2
; COMPUTE_PGM_RSRC3_GFX90A:ACCUM_OFFSET: 25
; COMPUTE_PGM_RSRC3_GFX90A:TG_SPLIT: 0
	.section	.text._ZL9mul_mat_fI7__half2Li64ELi4ELi3ELb0EEvPKT_PKfPKiPfiiiiiiiiiiiiiiii,"axG",@progbits,_ZL9mul_mat_fI7__half2Li64ELi4ELi3ELb0EEvPKT_PKfPKiPfiiiiiiiiiiiiiiii,comdat
	.globl	_ZL9mul_mat_fI7__half2Li64ELi4ELi3ELb0EEvPKT_PKfPKiPfiiiiiiiiiiiiiiii ; -- Begin function _ZL9mul_mat_fI7__half2Li64ELi4ELi3ELb0EEvPKT_PKfPKiPfiiiiiiiiiiiiiiii
	.p2align	8
	.type	_ZL9mul_mat_fI7__half2Li64ELi4ELi3ELb0EEvPKT_PKfPKiPfiiiiiiiiiiiiiiii,@function
_ZL9mul_mat_fI7__half2Li64ELi4ELi3ELb0EEvPKT_PKfPKiPfiiiiiiiiiiiiiiii: ; @_ZL9mul_mat_fI7__half2Li64ELi4ELi3ELb0EEvPKT_PKfPKiPfiiiiiiiiiiiiiiii
; %bb.0:
	s_load_dwordx8 s[12:19], s[4:5], 0x40
	s_load_dword s9, s[4:5], 0x20
	s_load_dwordx4 s[0:3], s[4:5], 0x2c
	v_bfe_u32 v88, v0, 10, 10
	v_lshlrev_b32_e32 v90, 6, v88
	v_and_b32_e32 v89, 0x3ff, v0
	s_waitcnt lgkmcnt(0)
	s_abs_i32 s27, s12
	s_abs_i32 s26, s16
	v_cvt_f32_u32_e32 v1, s27
	v_cvt_f32_u32_e32 v2, s26
	v_add_u32_e32 v92, v90, v89
	s_mov_b32 s22, 0
	v_rcp_iflag_f32_e32 v1, v1
	v_rcp_iflag_f32_e32 v2, v2
	s_ashr_i32 s28, s8, 31
	v_cmp_le_i32_e32 vcc, s9, v92
	v_mul_f32_e32 v1, 0x4f7ffffe, v1
	v_mul_f32_e32 v2, 0x4f7ffffe, v2
	v_cvt_u32_f32_e32 v1, v1
	v_cvt_u32_f32_e32 v2, v2
	v_and_b32_e32 v91, 15, v89
	v_readfirstlane_b32 s21, v1
	v_readfirstlane_b32 s20, v2
	s_and_saveexec_b64 s[10:11], vcc
	s_xor_b64 s[10:11], exec, s[10:11]
; %bb.1:
	v_and_b32_e32 v91, 15, v89
                                        ; implicit-def: $vgpr92
; %bb.2:
	s_or_saveexec_b64 s[24:25], s[10:11]
	s_load_dwordx2 s[10:11], s[4:5], 0x18
	s_lshl_b32 s3, s6, 6
	v_accvgpr_write_b32 a0, s22
	v_accvgpr_write_b32 a1, s22
	;; [unrolled: 1-line block ×16, first 2 shown]
	s_xor_b64 exec, exec, s[24:25]
	s_cbranch_execz .LBB107_6
; %bb.3:
	s_sub_i32 s6, 0, s27
	s_sub_i32 s22, 0, s26
	s_mul_i32 s6, s6, s21
	s_mul_i32 s22, s22, s20
	s_mul_hi_u32 s6, s21, s6
	s_mul_hi_u32 s22, s20, s22
	s_abs_i32 s29, s7
	s_add_i32 s6, s21, s6
	s_add_i32 s31, s20, s22
	s_load_dwordx4 s[20:23], s[4:5], 0x0
	s_mul_hi_u32 s4, s29, s6
	s_ashr_i32 s6, s7, 31
	s_ashr_i32 s12, s12, 31
	s_xor_b32 s6, s6, s12
	s_mul_i32 s12, s4, s27
	s_abs_i32 s30, s8
	s_sub_i32 s12, s29, s12
	s_mul_hi_u32 s5, s30, s31
	s_ashr_i32 s16, s16, 31
	s_add_i32 s29, s4, 1
	s_sub_i32 s31, s12, s27
	s_cmp_ge_u32 s12, s27
	s_cselect_b32 s4, s29, s4
	s_cselect_b32 s12, s31, s12
	s_add_i32 s29, s4, 1
	s_cmp_ge_u32 s12, s27
	s_cselect_b32 s4, s29, s4
	s_mul_i32 s12, s5, s26
	s_xor_b32 s4, s4, s6
	s_sub_i32 s12, s30, s12
	s_sub_i32 s6, s4, s6
	s_xor_b32 s4, s28, s16
	s_add_i32 s16, s5, 1
	s_sub_i32 s27, s12, s26
	s_cmp_ge_u32 s12, s26
	s_cselect_b32 s5, s16, s5
	s_cselect_b32 s12, s27, s12
	s_add_i32 s16, s5, 1
	s_cmp_ge_u32 s12, s26
	s_cselect_b32 s5, s16, s5
	s_xor_b32 s5, s5, s4
	s_sub_i32 s4, s5, s4
	s_mul_hi_i32 s5, s4, s17
	s_mul_i32 s4, s4, s17
	s_mul_i32 s12, s6, s13
	s_ashr_i32 s13, s12, 31
	s_lshl_b64 s[26:27], s[4:5], 2
	s_mul_i32 s16, s3, s0
	s_waitcnt lgkmcnt(0)
	s_add_u32 s6, s20, s26
	s_addc_u32 s29, s21, s27
	s_ashr_i32 s17, s16, 31
	s_lshl_b64 s[16:17], s[16:17], 2
	s_lshl_b64 s[12:13], s[12:13], 2
	s_mul_hi_i32 s5, s18, s8
	s_mul_i32 s4, s18, s8
	s_add_u32 s18, s12, s16
	s_addc_u32 s30, s13, s17
	s_mul_i32 s28, s7, s14
	s_add_u32 s6, s18, s6
	s_addc_u32 s73, s30, s29
	s_ashr_i32 s29, s28, 31
	s_lshl_b64 s[16:17], s[4:5], 2
	s_lshl_b64 s[4:5], s[28:29], 2
	s_add_u32 s22, s22, s4
	s_addc_u32 s23, s23, s5
	s_add_u32 s14, s22, s16
	s_movk_i32 s4, 0x1080
	s_addc_u32 s74, s23, s17
	v_mad_u32_u24 v0, v88, s4, 0
	s_ashr_i32 s5, s0, 31
	s_mov_b32 s4, s0
	v_lshrrev_b32_e32 v3, 1, v89
	s_ashr_i32 s13, s1, 31
	s_lshl_b64 s[4:5], s[4:5], 2
	v_lshlrev_b32_e32 v1, 2, v89
	v_mul_u32_u24_e32 v2, 0x108, v91
	v_and_b32_e32 v3, 0x1f8, v3
	s_add_u32 s18, s18, s26
	v_add_u32_e32 v93, v0, v1
	v_add3_u32 v94, v0, v2, v3
	v_lshlrev_b32_e32 v0, 8, v88
	s_addc_u32 s26, s30, s27
	v_mov_b32_e32 v2, s26
	v_add_co_u32_e32 v0, vcc, s18, v0
	v_addc_co_u32_e32 v2, vcc, 0, v2, vcc
	v_add_co_u32_e32 v0, vcc, v0, v1
	v_addc_co_u32_e32 v1, vcc, 0, v2, vcc
	v_mov_b32_e32 v2, s21
	v_add_co_u32_e32 v16, vcc, s20, v0
	v_addc_co_u32_e32 v17, vcc, v2, v1, vcc
	v_lshlrev_b32_e32 v0, 9, v88
	v_mov_b32_e32 v1, s17
	v_add_co_u32_e32 v0, vcc, s16, v0
	v_addc_co_u32_e32 v1, vcc, 0, v1, vcc
	v_lshlrev_b32_e32 v2, 3, v89
	v_add_co_u32_e32 v0, vcc, v0, v2
	s_mov_b32 s12, s1
	v_addc_co_u32_e32 v1, vcc, 0, v1, vcc
	s_lshl_b64 s[12:13], s[12:13], 3
	v_mov_b32_e32 v2, s23
	v_add_co_u32_e32 v18, vcc, s22, v0
	v_addc_co_u32_e32 v19, vcc, v2, v1, vcc
	s_mul_i32 s16, s0, 63
	s_lshl_b32 s17, s1, 1
	s_mul_i32 s18, s1, 3
	s_lshl_b32 s20, s0, 1
	s_mul_i32 s21, s0, 3
	s_lshl_b32 s22, s0, 2
	s_mul_i32 s23, s0, 5
	s_mul_i32 s26, s0, 6
	;; [unrolled: 1-line block ×3, first 2 shown]
	s_lshl_b32 s28, s0, 3
	s_mul_i32 s29, s0, 9
	s_mul_i32 s30, s0, 10
	s_mul_i32 s31, s0, 11
	s_mul_i32 s33, s0, 12
	s_mul_i32 s34, s0, 13
	s_mul_i32 s35, s0, 14
	s_mul_i32 s36, s0, 15
	s_lshl_b32 s37, s0, 4
	s_mul_i32 s38, s0, 17
	s_mul_i32 s39, s0, 18
	;; [unrolled: 1-line block ×15, first 2 shown]
	s_lshl_b32 s53, s0, 5
	s_mul_i32 s54, s0, 33
	s_mul_i32 s55, s0, 34
	;; [unrolled: 1-line block ×19, first 2 shown]
	v_mov_b32_e32 v95, s73
	s_mul_i32 s73, s0, 52
	v_mov_b32_e32 v96, s74
	s_mul_i32 s74, s0, 53
	v_mov_b32_e32 v97, 0
	v_accvgpr_write_b32 a15, 0
	v_accvgpr_write_b32 a14, 0
	;; [unrolled: 1-line block ×16, first 2 shown]
	v_mov_b32_e32 v98, s5
	v_mov_b32_e32 v99, s13
	s_mul_i32 s5, s0, 54
	s_mul_i32 s13, s0, 55
	;; [unrolled: 1-line block ×9, first 2 shown]
	s_mov_b64 s[0:1], 0
.LBB107_4:                              ; =>This Inner Loop Header: Depth=1
	global_load_dword v20, v[16:17], off
	v_add_u32_e32 v36, s37, v92
	v_ashrrev_i32_e32 v37, 31, v36
	v_lshlrev_b64 v[36:37], 2, v[36:37]
	v_add_u32_e32 v52, s53, v92
	v_ashrrev_i32_e32 v53, 31, v52
	v_lshlrev_b64 v[52:53], 2, v[52:53]
	;; [unrolled: 3-line block ×3, first 2 shown]
	v_accvgpr_read_b32 v0, a12
	v_accvgpr_read_b32 v4, a8
	v_accvgpr_read_b32 v8, a4
	v_accvgpr_read_b32 v12, a0
	v_accvgpr_read_b32 v3, a15
	v_accvgpr_read_b32 v2, a14
	v_accvgpr_read_b32 v1, a13
	v_accvgpr_read_b32 v7, a11
	v_accvgpr_read_b32 v6, a10
	v_accvgpr_read_b32 v5, a9
	v_accvgpr_read_b32 v11, a7
	v_accvgpr_read_b32 v10, a6
	v_accvgpr_read_b32 v9, a5
	v_accvgpr_read_b32 v15, a3
	v_accvgpr_read_b32 v14, a2
	v_accvgpr_read_b32 v13, a1
	v_accvgpr_write_b32 a0, v0
	v_accvgpr_write_b32 a4, v4
	;; [unrolled: 1-line block ×16, first 2 shown]
	s_waitcnt vmcnt(0)
	ds_write_b32 v93, v20
	v_add_co_u32_e32 v20, vcc, s4, v16
	v_addc_co_u32_e32 v21, vcc, v17, v98, vcc
	global_load_dword v20, v[20:21], off
	s_waitcnt vmcnt(0)
	ds_write_b32 v93, v20 offset:264
	v_add_u32_e32 v20, s20, v92
	v_ashrrev_i32_e32 v21, 31, v20
	v_lshlrev_b64 v[20:21], 2, v[20:21]
	v_add_co_u32_e32 v20, vcc, s6, v20
	v_addc_co_u32_e32 v21, vcc, v95, v21, vcc
	global_load_dword v20, v[20:21], off
	s_waitcnt vmcnt(0)
	ds_write_b32 v93, v20 offset:528
	v_add_u32_e32 v20, s21, v92
	v_ashrrev_i32_e32 v21, 31, v20
	v_lshlrev_b64 v[20:21], 2, v[20:21]
	;; [unrolled: 8-line block ×14, first 2 shown]
	v_add_co_u32_e32 v20, vcc, s6, v20
	v_addc_co_u32_e32 v21, vcc, v95, v21, vcc
	global_load_dword v20, v[20:21], off
	v_add_co_u32_e32 v36, vcc, s6, v36
	v_addc_co_u32_e32 v37, vcc, v95, v37, vcc
	s_waitcnt vmcnt(0)
	ds_write_b32 v93, v20 offset:3960
	ds_read_b64 v[34:35], v94
	ds_read_b64 v[32:33], v94 offset:32
	ds_read_b64 v[30:31], v94 offset:64
	;; [unrolled: 1-line block ×7, first 2 shown]
	global_load_dword v36, v[36:37], off
	s_waitcnt vmcnt(0)
	ds_write_b32 v93, v36
	v_add_u32_e32 v36, s38, v92
	v_ashrrev_i32_e32 v37, 31, v36
	v_lshlrev_b64 v[36:37], 2, v[36:37]
	v_add_co_u32_e32 v36, vcc, s6, v36
	v_addc_co_u32_e32 v37, vcc, v95, v37, vcc
	global_load_dword v36, v[36:37], off
	s_waitcnt vmcnt(0)
	ds_write_b32 v93, v36 offset:264
	v_add_u32_e32 v36, s39, v92
	v_ashrrev_i32_e32 v37, 31, v36
	v_lshlrev_b64 v[36:37], 2, v[36:37]
	v_add_co_u32_e32 v36, vcc, s6, v36
	v_addc_co_u32_e32 v37, vcc, v95, v37, vcc
	global_load_dword v36, v[36:37], off
	s_waitcnt vmcnt(0)
	ds_write_b32 v93, v36 offset:528
	;; [unrolled: 8-line block ×14, first 2 shown]
	v_add_u32_e32 v36, s52, v92
	v_ashrrev_i32_e32 v37, 31, v36
	v_lshlrev_b64 v[36:37], 2, v[36:37]
	v_add_co_u32_e32 v36, vcc, s6, v36
	v_addc_co_u32_e32 v37, vcc, v95, v37, vcc
	global_load_dword v36, v[36:37], off
	v_add_co_u32_e32 v52, vcc, s6, v52
	v_addc_co_u32_e32 v53, vcc, v95, v53, vcc
	s_waitcnt vmcnt(0)
	ds_write_b32 v93, v36 offset:3960
	ds_read_b64 v[50:51], v94
	ds_read_b64 v[48:49], v94 offset:32
	ds_read_b64 v[46:47], v94 offset:64
	;; [unrolled: 1-line block ×7, first 2 shown]
	global_load_dword v52, v[52:53], off
	s_waitcnt vmcnt(0)
	ds_write_b32 v93, v52
	v_add_u32_e32 v52, s54, v92
	v_ashrrev_i32_e32 v53, 31, v52
	v_lshlrev_b64 v[52:53], 2, v[52:53]
	v_add_co_u32_e32 v52, vcc, s6, v52
	v_addc_co_u32_e32 v53, vcc, v95, v53, vcc
	global_load_dword v52, v[52:53], off
	s_waitcnt vmcnt(0)
	ds_write_b32 v93, v52 offset:264
	v_add_u32_e32 v52, s55, v92
	v_ashrrev_i32_e32 v53, 31, v52
	v_lshlrev_b64 v[52:53], 2, v[52:53]
	v_add_co_u32_e32 v52, vcc, s6, v52
	v_addc_co_u32_e32 v53, vcc, v95, v53, vcc
	global_load_dword v52, v[52:53], off
	s_waitcnt vmcnt(0)
	ds_write_b32 v93, v52 offset:528
	;; [unrolled: 8-line block ×14, first 2 shown]
	v_add_u32_e32 v52, s68, v92
	v_ashrrev_i32_e32 v53, 31, v52
	v_lshlrev_b64 v[52:53], 2, v[52:53]
	v_add_co_u32_e32 v52, vcc, s6, v52
	v_addc_co_u32_e32 v53, vcc, v95, v53, vcc
	global_load_dword v52, v[52:53], off
	v_add_co_u32_e32 v68, vcc, s6, v68
	v_addc_co_u32_e32 v69, vcc, v95, v69, vcc
	s_waitcnt vmcnt(0)
	ds_write_b32 v93, v52 offset:3960
	ds_read_b64 v[66:67], v94
	ds_read_b64 v[64:65], v94 offset:32
	ds_read_b64 v[62:63], v94 offset:64
	;; [unrolled: 1-line block ×7, first 2 shown]
	global_load_dword v68, v[68:69], off
	s_waitcnt vmcnt(0)
	ds_write_b32 v93, v68
	v_add_u32_e32 v68, s70, v92
	v_ashrrev_i32_e32 v69, 31, v68
	v_lshlrev_b64 v[68:69], 2, v[68:69]
	v_add_co_u32_e32 v68, vcc, s6, v68
	v_addc_co_u32_e32 v69, vcc, v95, v69, vcc
	global_load_dword v68, v[68:69], off
	s_waitcnt vmcnt(0)
	ds_write_b32 v93, v68 offset:264
	v_add_u32_e32 v68, s71, v92
	v_ashrrev_i32_e32 v69, 31, v68
	v_lshlrev_b64 v[68:69], 2, v[68:69]
	v_add_co_u32_e32 v68, vcc, s6, v68
	v_addc_co_u32_e32 v69, vcc, v95, v69, vcc
	global_load_dword v68, v[68:69], off
	s_waitcnt vmcnt(0)
	ds_write_b32 v93, v68 offset:528
	;; [unrolled: 8-line block ×15, first 2 shown]
	ds_read_b64 v[82:83], v94
	ds_read_b64 v[80:81], v94 offset:32
	ds_read_b64 v[78:79], v94 offset:64
	;; [unrolled: 1-line block ×7, first 2 shown]
	global_load_dwordx2 v[84:85], v[18:19], off
	s_waitcnt vmcnt(0)
	v_cvt_f16_f32_e32 v84, v84
	v_cvt_f16_f32_e32 v85, v85
	v_pack_b32_f16 v84, v84, v85
	ds_write_b32 v93, v84
	v_add_co_u32_e32 v84, vcc, s12, v18
	v_addc_co_u32_e32 v85, vcc, v19, v99, vcc
	global_load_dwordx2 v[84:85], v[84:85], off
	s_waitcnt vmcnt(0)
	v_cvt_f16_f32_e32 v84, v84
	v_cvt_f16_f32_e32 v85, v85
	v_pack_b32_f16 v84, v84, v85
	ds_write_b32 v93, v84 offset:264
	v_add_u32_e32 v84, s17, v92
	v_ashrrev_i32_e32 v85, 31, v84
	v_lshlrev_b64 v[84:85], 3, v[84:85]
	v_add_co_u32_e32 v84, vcc, s14, v84
	v_addc_co_u32_e32 v85, vcc, v96, v85, vcc
	global_load_dwordx2 v[84:85], v[84:85], off
	s_waitcnt vmcnt(0)
	v_cvt_f16_f32_e32 v84, v84
	v_cvt_f16_f32_e32 v85, v85
	v_pack_b32_f16 v84, v84, v85
	ds_write_b32 v93, v84 offset:528
	v_add_u32_e32 v84, s18, v92
	v_ashrrev_i32_e32 v85, 31, v84
	v_lshlrev_b64 v[84:85], 3, v[84:85]
	v_add_co_u32_e32 v84, vcc, s14, v84
	v_addc_co_u32_e32 v85, vcc, v96, v85, vcc
	global_load_dwordx2 v[84:85], v[84:85], off
	v_add_co_u32_e32 v16, vcc, 0x300, v16
	v_addc_co_u32_e32 v17, vcc, 0, v17, vcc
	v_add_co_u32_e32 v18, vcc, 0x600, v18
	v_add_u32_e32 v92, 0xc0, v92
	v_addc_co_u32_e32 v19, vcc, 0, v19, vcc
	v_cmp_le_i32_e32 vcc, s9, v92
	s_or_b64 s[0:1], vcc, s[0:1]
	s_waitcnt vmcnt(0)
	v_cvt_f16_f32_e32 v84, v84
	v_cvt_f16_f32_e32 v85, v85
	v_pack_b32_f16 v84, v84, v85
	ds_write_b32 v93, v84 offset:792
	ds_write_b32 v93, v97 offset:1056
	;; [unrolled: 1-line block ×13, first 2 shown]
	ds_read_b64 v[86:87], v94
	ds_read_b64 v[84:85], v94 offset:32
	s_waitcnt lgkmcnt(1)
	v_mfma_f32_16x16x16f16 a[0:3], v[34:35], v[86:87], a[0:3]
	ds_read_b64 v[0:1], v94 offset:64
	v_mfma_f32_16x16x16f16 a[4:7], v[50:51], v[86:87], a[4:7]
	v_mfma_f32_16x16x16f16 a[8:11], v[66:67], v[86:87], a[8:11]
	;; [unrolled: 1-line block ×3, first 2 shown]
	s_waitcnt lgkmcnt(1)
	v_mfma_f32_16x16x16f16 a[0:3], v[32:33], v[84:85], a[0:3]
	v_mfma_f32_16x16x16f16 a[4:7], v[48:49], v[84:85], a[4:7]
	;; [unrolled: 1-line block ×4, first 2 shown]
	s_waitcnt lgkmcnt(0)
	v_mfma_f32_16x16x16f16 a[0:3], v[30:31], v[0:1], a[0:3]
	v_mfma_f32_16x16x16f16 a[4:7], v[46:47], v[0:1], a[4:7]
	v_mfma_f32_16x16x16f16 a[8:11], v[62:63], v[0:1], a[8:11]
	v_mfma_f32_16x16x16f16 a[12:15], v[78:79], v[0:1], a[12:15]
	ds_read_b64 v[0:1], v94 offset:96
	s_waitcnt lgkmcnt(0)
	v_mfma_f32_16x16x16f16 a[0:3], v[28:29], v[0:1], a[0:3]
	v_mfma_f32_16x16x16f16 a[4:7], v[44:45], v[0:1], a[4:7]
	v_mfma_f32_16x16x16f16 a[8:11], v[60:61], v[0:1], a[8:11]
	v_mfma_f32_16x16x16f16 a[12:15], v[76:77], v[0:1], a[12:15]
	ds_read_b64 v[0:1], v94 offset:128
	;; [unrolled: 6-line block ×5, first 2 shown]
	s_waitcnt lgkmcnt(0)
	v_mfma_f32_16x16x16f16 a[12:15], v[20:21], v[0:1], a[0:3]
	v_mfma_f32_16x16x16f16 a[8:11], v[36:37], v[0:1], a[4:7]
	;; [unrolled: 1-line block ×4, first 2 shown]
	s_andn2_b64 exec, exec, s[0:1]
	s_cbranch_execnz .LBB107_4
; %bb.5:
	s_or_b64 exec, exec, s[0:1]
.LBB107_6:
	s_or_b64 exec, exec, s[24:25]
	s_mul_hi_i32 s1, s19, s8
	s_mul_i32 s0, s19, s8
	s_lshl_b64 s[0:1], s[0:1], 2
	v_mul_u32_u24_e32 v0, 0x308, v91
	v_lshlrev_b32_e32 v1, 2, v90
	v_or_b32_e32 v2, 12, v89
	s_mul_i32 s4, s7, s15
	s_waitcnt lgkmcnt(0)
	s_add_u32 s6, s10, s0
	v_add3_u32 v0, 0, v0, v1
	v_and_b32_e32 v1, 0x3f0, v89
	v_and_b32_e32 v2, 0x3fc, v2
	s_addc_u32 s7, s11, s1
	s_ashr_i32 s5, s4, 31
	v_add_u32_e32 v1, v0, v1
	v_add_u32_e32 v0, v0, v2
	s_lshl_b64 s[0:1], s[4:5], 2
	s_barrier
	s_movk_i32 s4, 0x308
	ds_write2_b32 v1, a12, a13 offset1:1
	ds_write_b32 v1, a14 offset:8
	ds_write_b32 v0, a15
	ds_write2_b32 v1, a8, a9 offset0:16 offset1:17
	ds_write_b32 v1, a10 offset:72
	ds_write_b32 v0, a11 offset:64
	ds_write2_b32 v1, a4, a5 offset0:32 offset1:33
	ds_write_b32 v1, a6 offset:136
	ds_write_b32 v0, a7 offset:128
	;; [unrolled: 3-line block ×3, first 2 shown]
	v_lshl_add_u32 v1, v89, 2, 0
	v_mad_u32_u24 v0, v88, s4, v1
	s_waitcnt lgkmcnt(0)
	s_barrier
	ds_read2st64_b32 v[2:3], v0 offset1:1
	ds_read_b32 v4, v0 offset:512
	v_add_u32_e32 v0, s3, v89
	s_add_u32 s0, s6, s0
	s_addc_u32 s1, s7, s1
	s_waitcnt lgkmcnt(1)
	v_add_f32_e32 v2, 0, v2
	v_add_f32_e32 v2, v2, v3
	s_waitcnt lgkmcnt(0)
	v_add_f32_e32 v6, v2, v4
	v_mad_u64_u32 v[2:3], s[4:5], v88, s2, v[0:1]
	v_mov_b32_e32 v3, 0
	v_lshlrev_b64 v[4:5], 2, v[2:3]
	v_mov_b32_e32 v2, s1
	v_add_co_u32_e32 v4, vcc, s0, v4
	v_addc_co_u32_e32 v5, vcc, v2, v5, vcc
	v_cmp_eq_u32_e32 vcc, 0, v88
	global_store_dword v[4:5], v6, off
	s_and_saveexec_b64 s[4:5], vcc
	s_cbranch_execz .LBB107_8
; %bb.7:
	v_add_u32_e32 v2, 24, v1
	ds_read2st64_b32 v[4:5], v2 offset0:9 offset1:10
	ds_read_b32 v2, v1 offset:2840
	v_mad_u64_u32 v[0:1], s[2:3], s2, 3, v[0:1]
	v_mov_b32_e32 v1, v3
	s_waitcnt lgkmcnt(1)
	v_add_f32_e32 v3, 0, v4
	v_add_f32_e32 v3, v3, v5
	v_lshlrev_b64 v[0:1], 2, v[0:1]
	s_waitcnt lgkmcnt(0)
	v_add_f32_e32 v2, v3, v2
	v_mov_b32_e32 v3, s1
	v_add_co_u32_e32 v0, vcc, s0, v0
	v_addc_co_u32_e32 v1, vcc, v3, v1, vcc
	global_store_dword v[0:1], v2, off
.LBB107_8:
	s_endpgm
	.section	.rodata,"a",@progbits
	.p2align	6, 0x0
	.amdhsa_kernel _ZL9mul_mat_fI7__half2Li64ELi4ELi3ELb0EEvPKT_PKfPKiPfiiiiiiiiiiiiiiii
		.amdhsa_group_segment_fixed_size 0
		.amdhsa_private_segment_fixed_size 0
		.amdhsa_kernarg_size 96
		.amdhsa_user_sgpr_count 6
		.amdhsa_user_sgpr_private_segment_buffer 1
		.amdhsa_user_sgpr_dispatch_ptr 0
		.amdhsa_user_sgpr_queue_ptr 0
		.amdhsa_user_sgpr_kernarg_segment_ptr 1
		.amdhsa_user_sgpr_dispatch_id 0
		.amdhsa_user_sgpr_flat_scratch_init 0
		.amdhsa_user_sgpr_kernarg_preload_length 0
		.amdhsa_user_sgpr_kernarg_preload_offset 0
		.amdhsa_user_sgpr_private_segment_size 0
		.amdhsa_uses_dynamic_stack 0
		.amdhsa_system_sgpr_private_segment_wavefront_offset 0
		.amdhsa_system_sgpr_workgroup_id_x 1
		.amdhsa_system_sgpr_workgroup_id_y 1
		.amdhsa_system_sgpr_workgroup_id_z 1
		.amdhsa_system_sgpr_workgroup_info 0
		.amdhsa_system_vgpr_workitem_id 1
		.amdhsa_next_free_vgpr 124
		.amdhsa_next_free_sgpr 82
		.amdhsa_accum_offset 100
		.amdhsa_reserve_vcc 1
		.amdhsa_reserve_flat_scratch 0
		.amdhsa_float_round_mode_32 0
		.amdhsa_float_round_mode_16_64 0
		.amdhsa_float_denorm_mode_32 3
		.amdhsa_float_denorm_mode_16_64 3
		.amdhsa_dx10_clamp 1
		.amdhsa_ieee_mode 1
		.amdhsa_fp16_overflow 0
		.amdhsa_tg_split 0
		.amdhsa_exception_fp_ieee_invalid_op 0
		.amdhsa_exception_fp_denorm_src 0
		.amdhsa_exception_fp_ieee_div_zero 0
		.amdhsa_exception_fp_ieee_overflow 0
		.amdhsa_exception_fp_ieee_underflow 0
		.amdhsa_exception_fp_ieee_inexact 0
		.amdhsa_exception_int_div_zero 0
	.end_amdhsa_kernel
	.section	.text._ZL9mul_mat_fI7__half2Li64ELi4ELi3ELb0EEvPKT_PKfPKiPfiiiiiiiiiiiiiiii,"axG",@progbits,_ZL9mul_mat_fI7__half2Li64ELi4ELi3ELb0EEvPKT_PKfPKiPfiiiiiiiiiiiiiiii,comdat
.Lfunc_end107:
	.size	_ZL9mul_mat_fI7__half2Li64ELi4ELi3ELb0EEvPKT_PKfPKiPfiiiiiiiiiiiiiiii, .Lfunc_end107-_ZL9mul_mat_fI7__half2Li64ELi4ELi3ELb0EEvPKT_PKfPKiPfiiiiiiiiiiiiiiii
                                        ; -- End function
	.section	.AMDGPU.csdata,"",@progbits
; Kernel info:
; codeLenInByte = 5516
; NumSgprs: 86
; NumVgprs: 100
; NumAgprs: 24
; TotalNumVgprs: 124
; ScratchSize: 0
; MemoryBound: 0
; FloatMode: 240
; IeeeMode: 1
; LDSByteSize: 0 bytes/workgroup (compile time only)
; SGPRBlocks: 10
; VGPRBlocks: 15
; NumSGPRsForWavesPerEU: 86
; NumVGPRsForWavesPerEU: 124
; AccumOffset: 100
; Occupancy: 4
; WaveLimiterHint : 0
; COMPUTE_PGM_RSRC2:SCRATCH_EN: 0
; COMPUTE_PGM_RSRC2:USER_SGPR: 6
; COMPUTE_PGM_RSRC2:TRAP_HANDLER: 0
; COMPUTE_PGM_RSRC2:TGID_X_EN: 1
; COMPUTE_PGM_RSRC2:TGID_Y_EN: 1
; COMPUTE_PGM_RSRC2:TGID_Z_EN: 1
; COMPUTE_PGM_RSRC2:TIDIG_COMP_CNT: 1
; COMPUTE_PGM_RSRC3_GFX90A:ACCUM_OFFSET: 24
; COMPUTE_PGM_RSRC3_GFX90A:TG_SPLIT: 0
	.section	.text._ZL13mul_mat_f_idsI7__half2Li64ELi4ELi4EEvPKT_PKfPKiS7_S7_Pfiiiiiiiiiiiiii15HIP_vector_typeIjLj3EESA_,"axG",@progbits,_ZL13mul_mat_f_idsI7__half2Li64ELi4ELi4EEvPKT_PKfPKiS7_S7_Pfiiiiiiiiiiiiii15HIP_vector_typeIjLj3EESA_,comdat
	.globl	_ZL13mul_mat_f_idsI7__half2Li64ELi4ELi4EEvPKT_PKfPKiS7_S7_Pfiiiiiiiiiiiiii15HIP_vector_typeIjLj3EESA_ ; -- Begin function _ZL13mul_mat_f_idsI7__half2Li64ELi4ELi4EEvPKT_PKfPKiS7_S7_Pfiiiiiiiiiiiiii15HIP_vector_typeIjLj3EESA_
	.p2align	8
	.type	_ZL13mul_mat_f_idsI7__half2Li64ELi4ELi4EEvPKT_PKfPKiS7_S7_Pfiiiiiiiiiiiiii15HIP_vector_typeIjLj3EESA_,@function
_ZL13mul_mat_f_idsI7__half2Li64ELi4ELi4EEvPKT_PKfPKiS7_S7_Pfiiiiiiiiiiiiii15HIP_vector_typeIjLj3EESA_: ; @_ZL13mul_mat_f_idsI7__half2Li64ELi4ELi4EEvPKT_PKfPKiS7_S7_Pfiiiiiiiiiiiiii15HIP_vector_typeIjLj3EESA_
; %bb.0:
	s_load_dwordx2 s[0:1], s[4:5], 0x20
	s_mov_b32 s34, s7
	s_ashr_i32 s35, s7, 31
	s_lshl_b64 s[2:3], s[34:35], 2
	s_waitcnt lgkmcnt(0)
	s_add_u32 s0, s0, s2
	s_addc_u32 s1, s1, s3
	s_load_dwordx2 s[26:27], s[0:1], 0x0
	s_waitcnt lgkmcnt(0)
	s_sub_i32 s33, s27, s26
	s_add_i32 s0, s33, 3
	s_ashr_i32 s1, s0, 31
	s_lshr_b32 s1, s1, 30
	s_add_i32 s0, s0, s1
	s_ashr_i32 s0, s0, 2
	s_cmp_ge_i32 s8, s0
	s_cbranch_scc1 .LBB108_23
; %bb.1:
	v_bfe_u32 v91, v0, 10, 10
	v_lshlrev_b32_e32 v92, 6, v91
	v_and_b32_e32 v90, 0x3ff, v0
	s_load_dwordx4 s[12:15], s[4:5], 0x30
	s_load_dwordx2 s[20:21], s[4:5], 0x40
	s_load_dwordx4 s[0:3], s[4:5], 0x4c
	s_load_dwordx4 s[16:19], s[4:5], 0x68
	s_load_dwordx2 s[24:25], s[4:5], 0x78
	v_add_u32_e32 v94, v92, v90
	s_ashr_i32 s27, s26, 31
	s_waitcnt lgkmcnt(0)
	v_cmp_le_i32_e32 vcc, s12, v94
	v_and_b32_e32 v93, 15, v90
                                        ; implicit-def: $sgpr3
	s_and_saveexec_b64 s[10:11], vcc
	s_xor_b64 s[10:11], exec, s[10:11]
; %bb.2:
	v_and_b32_e32 v93, 15, v90
	s_mov_b32 s3, 0
                                        ; implicit-def: $vgpr94
; %bb.3:
	s_or_saveexec_b64 s[22:23], s[10:11]
	s_load_dwordx2 s[10:11], s[4:5], 0x18
                                        ; implicit-def: $vgpr101 : SGPR spill to VGPR lane
	s_lshl_b32 s7, s6, 6
	s_lshl_b32 s6, s8, 2
	v_accvgpr_write_b32 a0, s3
	v_accvgpr_write_b32 a1, s3
	s_waitcnt lgkmcnt(0)
	v_writelane_b32 v101, s10, 0
	v_writelane_b32 v101, s11, 1
	s_load_dwordx2 s[10:11], s[4:5], 0x28
	v_accvgpr_write_b32 a2, s3
	v_accvgpr_write_b32 a3, s3
	;; [unrolled: 1-line block ×4, first 2 shown]
	s_waitcnt lgkmcnt(0)
	v_writelane_b32 v101, s10, 2
	v_writelane_b32 v101, s11, 3
	v_accvgpr_write_b32 a6, s3
	v_accvgpr_write_b32 a7, s3
	v_accvgpr_write_b32 a8, s3
	v_accvgpr_write_b32 a9, s3
	v_accvgpr_write_b32 a10, s3
	v_accvgpr_write_b32 a11, s3
	v_accvgpr_write_b32 a12, s3
	v_accvgpr_write_b32 a13, s3
	v_accvgpr_write_b32 a14, s3
	v_accvgpr_write_b32 a15, s3
	v_writelane_b32 v101, s22, 4
	v_writelane_b32 v101, s23, 5
	s_xor_b64 exec, exec, s[22:23]
	s_cbranch_execz .LBB108_19
; %bb.4:
	v_writelane_b32 v101, s24, 6
	v_writelane_b32 v101, s25, 7
	s_load_dwordx4 s[8:11], s[4:5], 0x0
	s_load_dwordx2 s[22:23], s[4:5], 0x10
	s_mul_i32 s4, s34, s0
	s_mul_i32 s24, s7, s15
	s_ashr_i32 s5, s4, 31
	s_ashr_i32 s25, s24, 31
	s_lshl_b64 s[24:25], s[24:25], 2
	s_lshl_b64 s[4:5], s[4:5], 2
	s_add_u32 s3, s4, s24
	s_addc_u32 s24, s5, s25
	s_waitcnt lgkmcnt(0)
	s_add_u32 s0, s3, s8
	s_addc_u32 s25, s24, s9
	s_lshl_b64 s[4:5], s[26:27], 2
	s_add_u32 s28, s22, s4
	s_addc_u32 s29, s23, s5
	s_movk_i32 s4, 0x1080
	s_cmp_lt_i32 s6, s33
	v_writelane_b32 v101, s7, 8
	v_mad_u32_u24 v0, v91, s4, 0
	s_cselect_b64 s[4:5], -1, 0
	s_ashr_i32 s7, s6, 31
	s_lshl_b64 s[22:23], s[6:7], 2
	s_add_u32 s34, s28, s22
	v_lshrrev_b32_e32 v3, 1, v90
	s_addc_u32 s35, s29, s23
	s_or_b32 s7, s6, 1
	v_lshlrev_b32_e32 v1, 2, v90
	v_mul_u32_u24_e32 v2, 0x108, v93
	v_and_b32_e32 v3, 0x1f8, v3
	s_cmp_lt_i32 s7, s33
	v_add_u32_e32 v95, v0, v1
	v_add3_u32 v96, v0, v2, v3
	s_cselect_b64 s[36:37], -1, 0
	s_or_b32 s7, s6, 2
	v_lshlrev_b32_e32 v0, 8, v91
	s_cmp_lt_i32 s7, s33
	v_mov_b32_e32 v2, s24
	v_add_co_u32_e32 v0, vcc, s3, v0
	s_cselect_b64 s[38:39], -1, 0
	s_or_b32 s7, s6, 3
	v_addc_co_u32_e32 v2, vcc, 0, v2, vcc
	s_cmp_lt_i32 s7, s33
	v_add_co_u32_e32 v0, vcc, v0, v1
	s_cselect_b64 s[40:41], -1, 0
	s_ashr_i32 s23, s15, 31
	s_mov_b32 s22, s15
	v_addc_co_u32_e32 v1, vcc, 0, v2, vcc
	s_lshl_b64 s[42:43], s[22:23], 2
	v_mov_b32_e32 v2, s9
	v_add_co_u32_e32 v16, vcc, s8, v0
	v_addc_co_u32_e32 v17, vcc, v2, v1, vcc
	s_lshl_b32 s7, s15, 1
	s_mul_i32 s44, s15, 3
	s_lshl_b32 s45, s15, 2
	s_mul_i32 s46, s15, 5
	s_mul_i32 s47, s15, 6
	;; [unrolled: 1-line block ×3, first 2 shown]
	s_lshl_b32 s49, s15, 3
	s_mul_i32 s50, s15, 9
	s_mul_i32 s51, s15, 10
	;; [unrolled: 1-line block ×7, first 2 shown]
	s_lshl_b32 s57, s15, 4
	s_mul_i32 s58, s15, 17
	s_mul_i32 s59, s15, 18
	;; [unrolled: 1-line block ×15, first 2 shown]
	s_lshl_b32 s73, s15, 5
	s_mul_i32 s74, s15, 33
	s_mul_i32 s75, s15, 34
	;; [unrolled: 1-line block ×15, first 2 shown]
	v_mov_b32_e32 v97, s25
	s_mul_i32 s89, s15, 48
	v_mov_b32_e32 v98, 0
	v_accvgpr_write_b32 a15, 0
	v_accvgpr_write_b32 a14, 0
	;; [unrolled: 1-line block ×16, first 2 shown]
	v_mov_b32_e32 v99, s43
	s_mul_i32 s43, s15, 49
	s_mul_i32 s90, s15, 50
	;; [unrolled: 1-line block ×15, first 2 shown]
	s_mov_b64 s[8:9], 0
	s_branch .LBB108_6
.LBB108_5:                              ;   in Loop: Header=BB108_6 Depth=1
	s_waitcnt vmcnt(0)
	v_cvt_f16_f32_e32 v82, v82
	v_cvt_f16_f32_e32 v83, v83
	;; [unrolled: 1-line block ×4, first 2 shown]
	v_accvgpr_write_b32 a0, v12
	v_pack_b32_f16 v82, v82, v83
	v_cvt_f16_f32_e32 v83, v84
	v_cvt_f16_f32_e32 v84, v85
	v_cvt_f16_f32_e32 v85, v88
	v_cvt_f16_f32_e32 v88, v89
	v_pack_b32_f16 v86, v86, v87
	ds_write2_b32 v95, v82, v86 offset1:66
	v_pack_b32_f16 v82, v83, v84
	v_pack_b32_f16 v83, v85, v88
	ds_write2_b32 v95, v82, v83 offset0:132 offset1:198
	v_add_u32_e32 v82, 0x400, v95
	ds_write2_b32 v82, v98, v98 offset0:8 offset1:74
	ds_write2_b32 v82, v98, v98 offset0:140 offset1:206
	v_add_u32_e32 v82, 0x800, v95
	ds_write2_b32 v82, v98, v98 offset0:16 offset1:82
	;; [unrolled: 3-line block ×3, first 2 shown]
	ds_write2_b32 v82, v98, v98 offset0:156 offset1:222
	ds_read2_b64 v[82:85], v96 offset1:4
	v_accvgpr_write_b32 a4, v8
	v_accvgpr_write_b32 a11, v7
	;; [unrolled: 1-line block ×15, first 2 shown]
	s_waitcnt lgkmcnt(0)
	v_mfma_f32_16x16x16f16 a[0:3], v[36:37], v[82:83], a[0:3]
	ds_read2_b64 v[0:3], v96 offset0:8 offset1:12
	v_add_co_u32_e32 v16, vcc, 0x400, v16
	v_add_u32_e32 v94, 0x100, v94
	v_addc_co_u32_e32 v17, vcc, 0, v17, vcc
	v_cmp_le_i32_e32 vcc, s12, v94
	v_mfma_f32_16x16x16f16 a[4:7], v[50:51], v[82:83], a[4:7]
	s_or_b64 s[8:9], vcc, s[8:9]
	v_mfma_f32_16x16x16f16 a[8:11], v[64:65], v[82:83], a[8:11]
	v_mfma_f32_16x16x16f16 a[12:15], v[80:81], v[82:83], a[12:15]
	v_mfma_f32_16x16x16f16 a[0:3], v[30:31], v[84:85], a[0:3]
	v_mfma_f32_16x16x16f16 a[4:7], v[46:47], v[84:85], a[4:7]
	v_mfma_f32_16x16x16f16 a[8:11], v[62:63], v[84:85], a[8:11]
	v_mfma_f32_16x16x16f16 a[12:15], v[78:79], v[84:85], a[12:15]
	s_waitcnt lgkmcnt(0)
	v_mfma_f32_16x16x16f16 a[0:3], v[28:29], v[0:1], a[0:3]
	v_mfma_f32_16x16x16f16 a[4:7], v[44:45], v[0:1], a[4:7]
	;; [unrolled: 1-line block ×8, first 2 shown]
	ds_read2_b64 v[0:3], v96 offset0:16 offset1:20
	s_waitcnt lgkmcnt(0)
	v_mfma_f32_16x16x16f16 a[0:3], v[24:25], v[0:1], a[0:3]
	v_mfma_f32_16x16x16f16 a[4:7], v[40:41], v[0:1], a[4:7]
	;; [unrolled: 1-line block ×8, first 2 shown]
	ds_read2_b64 v[0:3], v96 offset0:24 offset1:28
	s_waitcnt lgkmcnt(0)
	v_mfma_f32_16x16x16f16 a[0:3], v[20:21], v[0:1], a[0:3]
	v_mfma_f32_16x16x16f16 a[4:7], v[34:35], v[0:1], a[4:7]
	v_mfma_f32_16x16x16f16 a[8:11], v[52:53], v[0:1], a[8:11]
	v_mfma_f32_16x16x16f16 a[12:15], v[68:69], v[0:1], a[12:15]
	v_mfma_f32_16x16x16f16 a[0:3], v[18:19], v[2:3], a[0:3]
	v_mfma_f32_16x16x16f16 a[4:7], v[32:33], v[2:3], a[4:7]
	v_mfma_f32_16x16x16f16 a[8:11], v[48:49], v[2:3], a[8:11]
	v_mfma_f32_16x16x16f16 a[12:15], v[66:67], v[2:3], a[12:15]
	s_andn2_b64 exec, exec, s[8:9]
	s_cbranch_execz .LBB108_18
.LBB108_6:                              ; =>This Inner Loop Header: Depth=1
	v_add_co_u32_e32 v0, vcc, s42, v16
	v_addc_co_u32_e32 v1, vcc, v17, v99, vcc
	global_load_dword v22, v[16:17], off
	global_load_dword v23, v[0:1], off
	v_add_u32_e32 v0, s7, v94
	v_ashrrev_i32_e32 v1, 31, v0
	v_lshlrev_b64 v[0:1], 2, v[0:1]
	v_add_u32_e32 v2, s44, v94
	v_add_co_u32_e32 v0, vcc, s0, v0
	v_ashrrev_i32_e32 v3, 31, v2
	v_addc_co_u32_e32 v1, vcc, v97, v1, vcc
	v_lshlrev_b64 v[2:3], 2, v[2:3]
	v_add_u32_e32 v4, s45, v94
	v_add_co_u32_e32 v2, vcc, s0, v2
	v_ashrrev_i32_e32 v5, 31, v4
	v_addc_co_u32_e32 v3, vcc, v97, v3, vcc
	;; [unrolled: 5-line block ×5, first 2 shown]
	v_lshlrev_b64 v[10:11], 2, v[10:11]
	v_add_co_u32_e32 v10, vcc, s0, v10
	v_addc_co_u32_e32 v11, vcc, v97, v11, vcc
	global_load_dword v24, v[0:1], off
	global_load_dword v25, v[2:3], off
	;; [unrolled: 1-line block ×6, first 2 shown]
	v_add_u32_e32 v18, s49, v94
	v_ashrrev_i32_e32 v19, 31, v18
	v_add_u32_e32 v20, s50, v94
	v_lshlrev_b64 v[18:19], 2, v[18:19]
	v_ashrrev_i32_e32 v21, 31, v20
	v_add_co_u32_e32 v18, vcc, s0, v18
	v_lshlrev_b64 v[20:21], 2, v[20:21]
	v_addc_co_u32_e32 v19, vcc, v97, v19, vcc
	v_add_co_u32_e32 v20, vcc, s0, v20
	v_addc_co_u32_e32 v21, vcc, v97, v21, vcc
	v_add_u32_e32 v30, s56, v94
	v_ashrrev_i32_e32 v31, 31, v30
	v_lshlrev_b64 v[30:31], 2, v[30:31]
	v_add_u32_e32 v32, s57, v94
	v_ashrrev_i32_e32 v33, 31, v32
	v_lshlrev_b64 v[32:33], 2, v[32:33]
	v_add_u32_e32 v34, s58, v94
	v_ashrrev_i32_e32 v35, 31, v34
	v_lshlrev_b64 v[34:35], 2, v[34:35]
	v_add_u32_e32 v58, s82, v94
	v_ashrrev_i32_e32 v59, 31, v58
	v_lshlrev_b64 v[58:59], 2, v[58:59]
	v_accvgpr_read_b32 v3, a15
	v_accvgpr_read_b32 v2, a14
	;; [unrolled: 1-line block ×6, first 2 shown]
	s_waitcnt vmcnt(7)
	ds_write_b32 v95, v22
	s_waitcnt vmcnt(6)
	ds_write_b32 v95, v23 offset:264
	global_load_dword v18, v[18:19], off
	s_nop 0
	global_load_dword v19, v[20:21], off
	v_add_u32_e32 v20, s51, v94
	v_ashrrev_i32_e32 v21, 31, v20
	v_lshlrev_b64 v[20:21], 2, v[20:21]
	v_add_u32_e32 v22, s52, v94
	v_add_co_u32_e32 v20, vcc, s0, v20
	v_ashrrev_i32_e32 v23, 31, v22
	v_addc_co_u32_e32 v21, vcc, v97, v21, vcc
	v_lshlrev_b64 v[22:23], 2, v[22:23]
	s_waitcnt vmcnt(7)
	ds_write_b32 v95, v24 offset:528
	s_waitcnt vmcnt(6)
	ds_write_b32 v95, v25 offset:792
	;; [unrolled: 2-line block ×6, first 2 shown]
	v_add_u32_e32 v24, s53, v94
	v_add_co_u32_e32 v22, vcc, s0, v22
	v_ashrrev_i32_e32 v25, 31, v24
	v_addc_co_u32_e32 v23, vcc, v97, v23, vcc
	v_lshlrev_b64 v[24:25], 2, v[24:25]
	v_add_u32_e32 v26, s54, v94
	v_add_co_u32_e32 v24, vcc, s0, v24
	v_ashrrev_i32_e32 v27, 31, v26
	v_addc_co_u32_e32 v25, vcc, v97, v25, vcc
	v_lshlrev_b64 v[26:27], 2, v[26:27]
	v_add_u32_e32 v28, s55, v94
	v_add_co_u32_e32 v26, vcc, s0, v26
	v_ashrrev_i32_e32 v29, 31, v28
	v_addc_co_u32_e32 v27, vcc, v97, v27, vcc
	v_lshlrev_b64 v[28:29], 2, v[28:29]
	v_add_co_u32_e32 v28, vcc, s0, v28
	v_addc_co_u32_e32 v29, vcc, v97, v29, vcc
	v_add_co_u32_e32 v30, vcc, s0, v30
	v_addc_co_u32_e32 v31, vcc, v97, v31, vcc
	v_add_co_u32_e32 v32, vcc, s0, v32
	v_addc_co_u32_e32 v33, vcc, v97, v33, vcc
	v_add_co_u32_e32 v34, vcc, s0, v34
	v_addc_co_u32_e32 v35, vcc, v97, v35, vcc
	global_load_dword v20, v[20:21], off
	s_nop 0
	global_load_dword v21, v[22:23], off
	s_nop 0
	global_load_dword v22, v[24:25], off
	global_load_dword v23, v[26:27], off
	s_nop 0
	global_load_dword v24, v[28:29], off
	;; [unrolled: 3-line block ×3, first 2 shown]
	s_nop 0
	global_load_dword v33, v[34:35], off
	v_add_u32_e32 v26, s59, v94
	v_ashrrev_i32_e32 v27, 31, v26
	v_lshlrev_b64 v[26:27], 2, v[26:27]
	v_add_u32_e32 v28, s60, v94
	v_add_co_u32_e32 v26, vcc, s0, v26
	v_ashrrev_i32_e32 v29, 31, v28
	v_addc_co_u32_e32 v27, vcc, v97, v27, vcc
	v_lshlrev_b64 v[28:29], 2, v[28:29]
	v_add_u32_e32 v30, s61, v94
	v_add_co_u32_e32 v28, vcc, s0, v28
	v_ashrrev_i32_e32 v31, 31, v30
	v_addc_co_u32_e32 v29, vcc, v97, v29, vcc
	;; [unrolled: 5-line block ×3, first 2 shown]
	v_lshlrev_b64 v[34:35], 2, v[34:35]
	v_add_co_u32_e32 v36, vcc, s0, v34
	v_add_u32_e32 v34, s63, v94
	v_addc_co_u32_e32 v37, vcc, v97, v35, vcc
	v_ashrrev_i32_e32 v35, 31, v34
	v_lshlrev_b64 v[34:35], 2, v[34:35]
	v_add_co_u32_e32 v40, vcc, s0, v34
	v_add_u32_e32 v34, s64, v94
	v_addc_co_u32_e32 v41, vcc, v97, v35, vcc
	v_ashrrev_i32_e32 v35, 31, v34
	;; [unrolled: 5-line block ×4, first 2 shown]
	v_lshlrev_b64 v[34:35], 2, v[34:35]
	v_add_co_u32_e32 v46, vcc, s0, v34
	v_addc_co_u32_e32 v47, vcc, v97, v35, vcc
	global_load_dword v34, v[26:27], off
	global_load_dword v35, v[28:29], off
	;; [unrolled: 1-line block ×4, first 2 shown]
	s_nop 0
	global_load_dword v40, v[40:41], off
	s_nop 0
	global_load_dword v41, v[42:43], off
	;; [unrolled: 2-line block ×3, first 2 shown]
	global_load_dword v43, v[46:47], off
	v_add_u32_e32 v26, s67, v94
	v_ashrrev_i32_e32 v27, 31, v26
	v_lshlrev_b64 v[26:27], 2, v[26:27]
	v_add_u32_e32 v28, s68, v94
	v_add_co_u32_e32 v26, vcc, s0, v26
	v_ashrrev_i32_e32 v29, 31, v28
	v_addc_co_u32_e32 v27, vcc, v97, v27, vcc
	v_lshlrev_b64 v[28:29], 2, v[28:29]
	v_add_u32_e32 v30, s69, v94
	v_add_co_u32_e32 v28, vcc, s0, v28
	v_ashrrev_i32_e32 v31, 31, v30
	v_addc_co_u32_e32 v29, vcc, v97, v29, vcc
	;; [unrolled: 5-line block ×4, first 2 shown]
	v_lshlrev_b64 v[44:45], 2, v[44:45]
	v_add_co_u32_e32 v48, vcc, s0, v44
	v_add_u32_e32 v44, s72, v94
	v_addc_co_u32_e32 v49, vcc, v97, v45, vcc
	v_ashrrev_i32_e32 v45, 31, v44
	v_lshlrev_b64 v[44:45], 2, v[44:45]
	v_add_co_u32_e32 v52, vcc, s0, v44
	v_add_u32_e32 v44, s73, v94
	v_addc_co_u32_e32 v53, vcc, v97, v45, vcc
	v_ashrrev_i32_e32 v45, 31, v44
	;; [unrolled: 5-line block ×3, first 2 shown]
	v_lshlrev_b64 v[44:45], 2, v[44:45]
	v_add_co_u32_e32 v56, vcc, s0, v44
	v_addc_co_u32_e32 v57, vcc, v97, v45, vcc
	global_load_dword v44, v[26:27], off
	global_load_dword v45, v[28:29], off
	;; [unrolled: 1-line block ×6, first 2 shown]
	s_nop 0
	global_load_dword v48, v[54:55], off
	global_load_dword v49, v[56:57], off
	v_add_u32_e32 v26, s75, v94
	v_ashrrev_i32_e32 v27, 31, v26
	v_lshlrev_b64 v[26:27], 2, v[26:27]
	v_add_u32_e32 v28, s76, v94
	v_add_co_u32_e32 v26, vcc, s0, v26
	v_ashrrev_i32_e32 v29, 31, v28
	v_addc_co_u32_e32 v27, vcc, v97, v27, vcc
	v_lshlrev_b64 v[28:29], 2, v[28:29]
	v_add_u32_e32 v30, s77, v94
	v_add_co_u32_e32 v28, vcc, s0, v28
	v_ashrrev_i32_e32 v31, 31, v30
	v_addc_co_u32_e32 v29, vcc, v97, v29, vcc
	v_lshlrev_b64 v[30:31], 2, v[30:31]
	v_add_u32_e32 v36, s78, v94
	v_add_co_u32_e32 v30, vcc, s0, v30
	v_ashrrev_i32_e32 v37, 31, v36
	v_addc_co_u32_e32 v31, vcc, v97, v31, vcc
	v_lshlrev_b64 v[36:37], 2, v[36:37]
	v_add_u32_e32 v52, s79, v94
	v_add_co_u32_e32 v36, vcc, s0, v36
	v_ashrrev_i32_e32 v53, 31, v52
	v_addc_co_u32_e32 v37, vcc, v97, v37, vcc
	v_lshlrev_b64 v[52:53], 2, v[52:53]
	v_add_u32_e32 v54, s80, v94
	v_add_co_u32_e32 v52, vcc, s0, v52
	v_ashrrev_i32_e32 v55, 31, v54
	v_addc_co_u32_e32 v53, vcc, v97, v53, vcc
	v_lshlrev_b64 v[54:55], 2, v[54:55]
	v_add_u32_e32 v56, s81, v94
	v_add_co_u32_e32 v54, vcc, s0, v54
	v_ashrrev_i32_e32 v57, 31, v56
	v_addc_co_u32_e32 v55, vcc, v97, v55, vcc
	v_lshlrev_b64 v[56:57], 2, v[56:57]
	v_add_co_u32_e32 v56, vcc, s0, v56
	v_addc_co_u32_e32 v57, vcc, v97, v57, vcc
	v_add_co_u32_e32 v58, vcc, s0, v58
	v_addc_co_u32_e32 v59, vcc, v97, v59, vcc
	global_load_dword v60, v[26:27], off
	global_load_dword v61, v[28:29], off
	;; [unrolled: 1-line block ×8, first 2 shown]
	v_add_u32_e32 v26, s83, v94
	v_ashrrev_i32_e32 v27, 31, v26
	v_lshlrev_b64 v[26:27], 2, v[26:27]
	v_add_u32_e32 v28, s84, v94
	v_add_co_u32_e32 v26, vcc, s0, v26
	v_ashrrev_i32_e32 v29, 31, v28
	v_addc_co_u32_e32 v27, vcc, v97, v27, vcc
	v_lshlrev_b64 v[28:29], 2, v[28:29]
	v_add_u32_e32 v30, s85, v94
	v_add_co_u32_e32 v28, vcc, s0, v28
	v_ashrrev_i32_e32 v31, 31, v30
	v_addc_co_u32_e32 v29, vcc, v97, v29, vcc
	;; [unrolled: 5-line block ×7, first 2 shown]
	v_lshlrev_b64 v[58:59], 2, v[58:59]
	v_add_co_u32_e32 v58, vcc, s0, v58
	v_addc_co_u32_e32 v59, vcc, v97, v59, vcc
	global_load_dword v68, v[26:27], off
	global_load_dword v69, v[28:29], off
	;; [unrolled: 1-line block ×8, first 2 shown]
	v_add_u32_e32 v26, s90, v94
	v_ashrrev_i32_e32 v27, 31, v26
	v_lshlrev_b64 v[26:27], 2, v[26:27]
	v_add_u32_e32 v28, s91, v94
	v_add_co_u32_e32 v26, vcc, s0, v26
	v_ashrrev_i32_e32 v29, 31, v28
	v_addc_co_u32_e32 v27, vcc, v97, v27, vcc
	v_lshlrev_b64 v[28:29], 2, v[28:29]
	v_add_u32_e32 v30, s92, v94
	v_add_co_u32_e32 v28, vcc, s0, v28
	v_ashrrev_i32_e32 v31, 31, v30
	v_addc_co_u32_e32 v29, vcc, v97, v29, vcc
	;; [unrolled: 5-line block ×7, first 2 shown]
	v_lshlrev_b64 v[58:59], 2, v[58:59]
	v_add_co_u32_e32 v58, vcc, s0, v58
	v_addc_co_u32_e32 v59, vcc, v97, v59, vcc
	global_load_dword v76, v[26:27], off
	global_load_dword v77, v[28:29], off
	;; [unrolled: 1-line block ×8, first 2 shown]
	v_add_u32_e32 v26, s22, v94
	v_ashrrev_i32_e32 v27, 31, v26
	v_lshlrev_b64 v[26:27], 2, v[26:27]
	v_add_u32_e32 v28, s23, v94
	v_add_co_u32_e32 v26, vcc, s0, v26
	v_ashrrev_i32_e32 v29, 31, v28
	v_addc_co_u32_e32 v27, vcc, v97, v27, vcc
	v_lshlrev_b64 v[28:29], 2, v[28:29]
	v_add_u32_e32 v30, s28, v94
	v_add_co_u32_e32 v28, vcc, s0, v28
	v_ashrrev_i32_e32 v31, 31, v30
	v_addc_co_u32_e32 v29, vcc, v97, v29, vcc
	;; [unrolled: 5-line block ×5, first 2 shown]
	v_lshlrev_b64 v[54:55], 2, v[54:55]
	v_add_co_u32_e32 v54, vcc, s0, v54
	v_addc_co_u32_e32 v55, vcc, v97, v55, vcc
	global_load_dword v84, v[26:27], off
	global_load_dword v85, v[28:29], off
	;; [unrolled: 1-line block ×6, first 2 shown]
	s_waitcnt vmcnt(55)
	ds_write_b32 v95, v18 offset:2112
	s_waitcnt vmcnt(54)
	ds_write_b32 v95, v19 offset:2376
	s_waitcnt vmcnt(53)
	ds_write_b32 v95, v20 offset:2640
	s_waitcnt vmcnt(52)
	ds_write_b32 v95, v21 offset:2904
	s_waitcnt vmcnt(51)
	ds_write_b32 v95, v22 offset:3168
	s_waitcnt vmcnt(50)
	ds_write_b32 v95, v23 offset:3432
	s_waitcnt vmcnt(49)
	ds_write_b32 v95, v24 offset:3696
	s_waitcnt vmcnt(48)
	ds_write_b32 v95, v25 offset:3960
	ds_read_b64 v[36:37], v96
	ds_read_b64 v[30:31], v96 offset:32
	ds_read_b64 v[28:29], v96 offset:64
	ds_read_b64 v[26:27], v96 offset:96
	ds_read_b64 v[24:25], v96 offset:128
	ds_read_b64 v[22:23], v96 offset:160
	ds_read_b64 v[20:21], v96 offset:192
	ds_read_b64 v[18:19], v96 offset:224
	s_waitcnt vmcnt(47)
	ds_write_b32 v95, v32
	s_waitcnt vmcnt(46)
	ds_write_b32 v95, v33 offset:264
	s_waitcnt vmcnt(45)
	ds_write_b32 v95, v34 offset:528
	s_waitcnt vmcnt(44)
	ds_write_b32 v95, v35 offset:792
	s_waitcnt vmcnt(43)
	ds_write_b32 v95, v38 offset:1056
	s_waitcnt vmcnt(42)
	ds_write_b32 v95, v39 offset:1320
	s_waitcnt vmcnt(41)
	ds_write_b32 v95, v40 offset:1584
	s_waitcnt vmcnt(40)
	ds_write_b32 v95, v41 offset:1848
	s_waitcnt vmcnt(39)
	ds_write_b32 v95, v42 offset:2112
	s_waitcnt vmcnt(38)
	ds_write_b32 v95, v43 offset:2376
	s_waitcnt vmcnt(37)
	ds_write_b32 v95, v44 offset:2640
	s_waitcnt vmcnt(36)
	ds_write_b32 v95, v45 offset:2904
	s_waitcnt vmcnt(35)
	ds_write_b32 v95, v46 offset:3168
	s_waitcnt vmcnt(34)
	ds_write_b32 v95, v47 offset:3432
	s_waitcnt vmcnt(33)
	ds_write_b32 v95, v50 offset:3696
	s_waitcnt vmcnt(32)
	ds_write_b32 v95, v51 offset:3960
	ds_read_b64 v[50:51], v96
	ds_read_b64 v[46:47], v96 offset:32
	ds_read_b64 v[44:45], v96 offset:64
	ds_read_b64 v[42:43], v96 offset:96
	ds_read_b64 v[40:41], v96 offset:128
	ds_read_b64 v[38:39], v96 offset:160
	ds_read_b64 v[34:35], v96 offset:192
	ds_read_b64 v[32:33], v96 offset:224
	s_waitcnt vmcnt(31)
	ds_write_b32 v95, v48
	s_waitcnt vmcnt(30)
	ds_write_b32 v95, v49 offset:264
	s_waitcnt vmcnt(29)
	ds_write_b32 v95, v60 offset:528
	s_waitcnt vmcnt(28)
	ds_write_b32 v95, v61 offset:792
	s_waitcnt vmcnt(27)
	ds_write_b32 v95, v62 offset:1056
	s_waitcnt vmcnt(26)
	ds_write_b32 v95, v63 offset:1320
	s_waitcnt vmcnt(25)
	ds_write_b32 v95, v64 offset:1584
	s_waitcnt vmcnt(24)
	ds_write_b32 v95, v65 offset:1848
	;; [unrolled: 40-line block ×3, first 2 shown]
	s_waitcnt vmcnt(7)
	ds_write_b32 v95, v82 offset:2112
	s_waitcnt vmcnt(6)
	ds_write_b32 v95, v83 offset:2376
	;; [unrolled: 2-line block ×8, first 2 shown]
	ds_read_b64 v[80:81], v96
	ds_read_b64 v[78:79], v96 offset:32
	ds_read_b64 v[76:77], v96 offset:64
	ds_read_b64 v[74:75], v96 offset:96
	ds_read_b64 v[72:73], v96 offset:128
	ds_read_b64 v[70:71], v96 offset:160
	ds_read_b64 v[68:69], v96 offset:192
	ds_read_b64 v[66:67], v96 offset:224
	v_accvgpr_read_b32 v5, a9
	v_accvgpr_read_b32 v4, a8
	;; [unrolled: 1-line block ×10, first 2 shown]
	s_andn2_b64 vcc, exec, s[4:5]
	v_mov_b32_e32 v82, 0
	v_mov_b32_e32 v83, 0
	s_cbranch_vccnz .LBB108_9
; %bb.7:                                ;   in Loop: Header=BB108_6 Depth=1
	s_load_dword vcc_lo, s[34:35], 0x0
	v_mov_b32_e32 v83, 0
	v_mov_b32_e32 v82, 0
	s_waitcnt lgkmcnt(0)
	s_mul_hi_u32 vcc_hi, vcc_lo, s16
	s_add_i32 vcc_hi, vcc_lo, vcc_hi
	s_lshr_b32 s30, vcc_hi, s17
	s_cmp_ge_i32 s30, s13
	s_cbranch_scc1 .LBB108_9
; %bb.8:                                ;   in Loop: Header=BB108_6 Depth=1
	s_mul_i32 vcc_hi, s30, s18
	s_sub_i32 s31, vcc_lo, vcc_hi
	s_mul_i32 s30, s30, s20
	s_mul_i32 s31, s31, s1
	v_add_u32_e32 v82, s30, v94
	v_lshl_add_u32 v82, v82, 1, s31
	v_ashrrev_i32_e32 v83, 31, v82
	v_lshlrev_b64 v[82:83], 2, v[82:83]
	v_mov_b32_e32 v84, s11
	v_add_co_u32_e32 v82, vcc, s10, v82
	v_addc_co_u32_e32 v83, vcc, v84, v83, vcc
	global_load_dwordx2 v[82:83], v[82:83], off
.LBB108_9:                              ;   in Loop: Header=BB108_6 Depth=1
	s_andn2_b64 vcc, exec, s[36:37]
	v_mov_b32_e32 v84, 0
	v_mov_b32_e32 v86, 0
	;; [unrolled: 1-line block ×3, first 2 shown]
	s_cbranch_vccnz .LBB108_12
; %bb.10:                               ;   in Loop: Header=BB108_6 Depth=1
	s_load_dword vcc_lo, s[34:35], 0x4
	v_mov_b32_e32 v87, 0
	v_mov_b32_e32 v86, 0
	s_waitcnt lgkmcnt(0)
	s_mul_hi_u32 s30, vcc_lo, s16
	s_add_i32 s30, vcc_lo, s30
	s_lshr_b32 vcc_hi, s30, s17
	s_cmp_ge_i32 vcc_hi, s13
	s_cbranch_scc1 .LBB108_12
; %bb.11:                               ;   in Loop: Header=BB108_6 Depth=1
	s_mul_i32 s30, vcc_hi, s18
	s_sub_i32 s30, vcc_lo, s30
	s_mul_i32 vcc_hi, vcc_hi, s20
	s_mul_i32 s30, s30, s1
	v_add_u32_e32 v85, vcc_hi, v94
	v_lshl_add_u32 v86, v85, 1, s30
	v_ashrrev_i32_e32 v87, 31, v86
	v_lshlrev_b64 v[86:87], 2, v[86:87]
	v_mov_b32_e32 v85, s11
	v_add_co_u32_e32 v86, vcc, s10, v86
	v_addc_co_u32_e32 v87, vcc, v85, v87, vcc
	global_load_dwordx2 v[86:87], v[86:87], off
.LBB108_12:                             ;   in Loop: Header=BB108_6 Depth=1
	s_andn2_b64 vcc, exec, s[38:39]
	v_mov_b32_e32 v85, 0
	s_cbranch_vccnz .LBB108_15
; %bb.13:                               ;   in Loop: Header=BB108_6 Depth=1
	s_load_dword vcc_lo, s[34:35], 0x8
	v_mov_b32_e32 v85, 0
	v_mov_b32_e32 v84, 0
	s_waitcnt lgkmcnt(0)
	s_mul_hi_u32 s30, vcc_lo, s16
	s_add_i32 s30, vcc_lo, s30
	s_lshr_b32 vcc_hi, s30, s17
	s_cmp_ge_i32 vcc_hi, s13
	s_cbranch_scc1 .LBB108_15
; %bb.14:                               ;   in Loop: Header=BB108_6 Depth=1
	s_mul_i32 s30, vcc_hi, s18
	s_sub_i32 s30, vcc_lo, s30
	s_mul_i32 vcc_hi, vcc_hi, s20
	s_mul_i32 s30, s30, s1
	v_add_u32_e32 v84, vcc_hi, v94
	v_lshl_add_u32 v84, v84, 1, s30
	v_ashrrev_i32_e32 v85, 31, v84
	v_lshlrev_b64 v[84:85], 2, v[84:85]
	v_mov_b32_e32 v88, s11
	v_add_co_u32_e32 v84, vcc, s10, v84
	v_addc_co_u32_e32 v85, vcc, v88, v85, vcc
	global_load_dwordx2 v[84:85], v[84:85], off
.LBB108_15:                             ;   in Loop: Header=BB108_6 Depth=1
	s_andn2_b64 vcc, exec, s[40:41]
	v_mov_b32_e32 v88, 0
	v_mov_b32_e32 v89, 0
	s_cbranch_vccnz .LBB108_5
; %bb.16:                               ;   in Loop: Header=BB108_6 Depth=1
	s_load_dword vcc_lo, s[34:35], 0xc
	v_mov_b32_e32 v89, 0
	v_mov_b32_e32 v88, 0
	s_waitcnt lgkmcnt(0)
	s_mul_hi_u32 s30, vcc_lo, s16
	s_add_i32 s30, vcc_lo, s30
	s_lshr_b32 vcc_hi, s30, s17
	s_cmp_ge_i32 vcc_hi, s13
	s_cbranch_scc1 .LBB108_5
; %bb.17:                               ;   in Loop: Header=BB108_6 Depth=1
	s_mul_i32 s30, vcc_hi, s18
	s_sub_i32 s30, vcc_lo, s30
	s_mul_i32 vcc_hi, vcc_hi, s20
	s_mul_i32 s30, s30, s1
	v_add_u32_e32 v88, vcc_hi, v94
	v_lshl_add_u32 v88, v88, 1, s30
	v_ashrrev_i32_e32 v89, 31, v88
	v_lshlrev_b64 v[88:89], 2, v[88:89]
	v_mov_b32_e32 v100, s11
	v_add_co_u32_e32 v88, vcc, s10, v88
	v_addc_co_u32_e32 v89, vcc, v100, v89, vcc
	global_load_dwordx2 v[88:89], v[88:89], off
	s_branch .LBB108_5
.LBB108_18:
	s_or_b64 exec, exec, s[8:9]
	v_readlane_b32 s24, v101, 6
	v_readlane_b32 s25, v101, 7
	v_readlane_b32 s7, v101, 8
.LBB108_19:
	v_readlane_b32 s0, v101, 4
	v_readlane_b32 s1, v101, 5
	s_or_b64 exec, exec, s[0:1]
	v_mul_u32_u24_e32 v0, 0x408, v93
	v_lshlrev_b32_e32 v1, 2, v92
	v_or_b32_e32 v2, 12, v90
	v_add3_u32 v0, 0, v0, v1
	v_and_b32_e32 v1, 0x3f0, v90
	v_and_b32_e32 v2, 0x3fc, v2
	v_add_u32_e32 v1, v0, v1
	v_add_u32_e32 v0, v0, v2
	v_cmp_gt_u32_e32 vcc, 4, v91
	s_barrier
	ds_write2_b32 v1, a0, a1 offset1:1
	ds_write_b32 v1, a2 offset:8
	ds_write_b32 v0, a3
	ds_write2_b32 v1, a4, a5 offset0:16 offset1:17
	ds_write_b32 v1, a6 offset:72
	ds_write_b32 v0, a7 offset:64
	ds_write2_b32 v1, a8, a9 offset0:32 offset1:33
	ds_write_b32 v1, a10 offset:136
	ds_write_b32 v0, a11 offset:128
	;; [unrolled: 3-line block ×3, first 2 shown]
	s_waitcnt lgkmcnt(0)
	s_barrier
	s_and_saveexec_b64 s[0:1], vcc
	s_cbranch_execz .LBB108_23
; %bb.20:
	v_add_u32_e32 v0, s6, v91
	s_cmp_gt_i32 s14, 0
	v_cmp_gt_i32_e32 vcc, s33, v0
	s_cselect_b64 s[0:1], -1, 0
	s_and_b64 s[0:1], s[0:1], vcc
	s_and_b64 exec, exec, s[0:1]
	s_cbranch_execz .LBB108_23
; %bb.21:
	s_lshl_b64 s[0:1], s[26:27], 2
	v_readlane_b32 s4, v101, 0
	v_readlane_b32 s5, v101, 1
	s_add_u32 s0, s4, s0
	v_ashrrev_i32_e32 v1, 31, v0
	s_addc_u32 s1, s5, s1
	v_lshlrev_b64 v[0:1], 2, v[0:1]
	v_mov_b32_e32 v2, s1
	v_add_co_u32_e32 v0, vcc, s0, v0
	v_addc_co_u32_e32 v1, vcc, v2, v1, vcc
	global_load_dword v1, v[0:1], off
	s_waitcnt vmcnt(0)
	v_mul_hi_u32 v0, v1, s19
	v_add_u32_e32 v0, v1, v0
	v_lshrrev_b32_e32 v0, s24, v0
	v_cmp_gt_i32_e32 vcc, s13, v0
	s_and_b64 exec, exec, vcc
	s_cbranch_execz .LBB108_23
; %bb.22:
	v_mul_u32_u24_e32 v2, 0x408, v91
	v_lshlrev_b32_e32 v3, 2, v90
	v_add3_u32 v4, 0, v2, v3
	ds_read2st64_b32 v[2:3], v4 offset1:1
	ds_read2st64_b32 v[4:5], v4 offset0:2 offset1:3
	v_mul_lo_u32 v6, v0, s25
	v_sub_u32_e32 v1, v1, v6
	v_mul_lo_u32 v1, v1, s2
	s_waitcnt lgkmcnt(1)
	v_add_f32_e32 v2, 0, v2
	v_add_f32_e32 v2, v2, v3
	v_mul_lo_u32 v0, v0, s21
	v_add_u32_e32 v3, s7, v90
	v_add3_u32 v0, v3, v0, v1
	v_mov_b32_e32 v1, 0
	v_readlane_b32 s0, v101, 2
	v_lshlrev_b64 v[0:1], 2, v[0:1]
	v_readlane_b32 s1, v101, 3
	s_waitcnt lgkmcnt(0)
	v_add_f32_e32 v2, v2, v4
	v_mov_b32_e32 v3, s1
	v_add_co_u32_e32 v0, vcc, s0, v0
	v_add_f32_e32 v2, v2, v5
	v_addc_co_u32_e32 v1, vcc, v3, v1, vcc
	global_store_dword v[0:1], v2, off
.LBB108_23:
	s_endpgm
	.section	.rodata,"a",@progbits
	.p2align	6, 0x0
	.amdhsa_kernel _ZL13mul_mat_f_idsI7__half2Li64ELi4ELi4EEvPKT_PKfPKiS7_S7_Pfiiiiiiiiiiiiii15HIP_vector_typeIjLj3EESA_
		.amdhsa_group_segment_fixed_size 0
		.amdhsa_private_segment_fixed_size 0
		.amdhsa_kernarg_size 128
		.amdhsa_user_sgpr_count 6
		.amdhsa_user_sgpr_private_segment_buffer 1
		.amdhsa_user_sgpr_dispatch_ptr 0
		.amdhsa_user_sgpr_queue_ptr 0
		.amdhsa_user_sgpr_kernarg_segment_ptr 1
		.amdhsa_user_sgpr_dispatch_id 0
		.amdhsa_user_sgpr_flat_scratch_init 0
		.amdhsa_user_sgpr_kernarg_preload_length 0
		.amdhsa_user_sgpr_kernarg_preload_offset 0
		.amdhsa_user_sgpr_private_segment_size 0
		.amdhsa_uses_dynamic_stack 0
		.amdhsa_system_sgpr_private_segment_wavefront_offset 0
		.amdhsa_system_sgpr_workgroup_id_x 1
		.amdhsa_system_sgpr_workgroup_id_y 1
		.amdhsa_system_sgpr_workgroup_id_z 1
		.amdhsa_system_sgpr_workgroup_info 0
		.amdhsa_system_vgpr_workitem_id 1
		.amdhsa_next_free_vgpr 120
		.amdhsa_next_free_sgpr 96
		.amdhsa_accum_offset 104
		.amdhsa_reserve_vcc 1
		.amdhsa_reserve_flat_scratch 0
		.amdhsa_float_round_mode_32 0
		.amdhsa_float_round_mode_16_64 0
		.amdhsa_float_denorm_mode_32 3
		.amdhsa_float_denorm_mode_16_64 3
		.amdhsa_dx10_clamp 1
		.amdhsa_ieee_mode 1
		.amdhsa_fp16_overflow 0
		.amdhsa_tg_split 0
		.amdhsa_exception_fp_ieee_invalid_op 0
		.amdhsa_exception_fp_denorm_src 0
		.amdhsa_exception_fp_ieee_div_zero 0
		.amdhsa_exception_fp_ieee_overflow 0
		.amdhsa_exception_fp_ieee_underflow 0
		.amdhsa_exception_fp_ieee_inexact 0
		.amdhsa_exception_int_div_zero 0
	.end_amdhsa_kernel
	.section	.text._ZL13mul_mat_f_idsI7__half2Li64ELi4ELi4EEvPKT_PKfPKiS7_S7_Pfiiiiiiiiiiiiii15HIP_vector_typeIjLj3EESA_,"axG",@progbits,_ZL13mul_mat_f_idsI7__half2Li64ELi4ELi4EEvPKT_PKfPKiS7_S7_Pfiiiiiiiiiiiiii15HIP_vector_typeIjLj3EESA_,comdat
.Lfunc_end108:
	.size	_ZL13mul_mat_f_idsI7__half2Li64ELi4ELi4EEvPKT_PKfPKiS7_S7_Pfiiiiiiiiiiiiii15HIP_vector_typeIjLj3EESA_, .Lfunc_end108-_ZL13mul_mat_f_idsI7__half2Li64ELi4ELi4EEvPKT_PKfPKiS7_S7_Pfiiiiiiiiiiiiii15HIP_vector_typeIjLj3EESA_
                                        ; -- End function
	.section	.AMDGPU.csdata,"",@progbits
; Kernel info:
; codeLenInByte = 5820
; NumSgprs: 100
; NumVgprs: 102
; NumAgprs: 16
; TotalNumVgprs: 120
; ScratchSize: 0
; MemoryBound: 0
; FloatMode: 240
; IeeeMode: 1
; LDSByteSize: 0 bytes/workgroup (compile time only)
; SGPRBlocks: 12
; VGPRBlocks: 14
; NumSGPRsForWavesPerEU: 100
; NumVGPRsForWavesPerEU: 120
; AccumOffset: 104
; Occupancy: 4
; WaveLimiterHint : 1
; COMPUTE_PGM_RSRC2:SCRATCH_EN: 0
; COMPUTE_PGM_RSRC2:USER_SGPR: 6
; COMPUTE_PGM_RSRC2:TRAP_HANDLER: 0
; COMPUTE_PGM_RSRC2:TGID_X_EN: 1
; COMPUTE_PGM_RSRC2:TGID_Y_EN: 1
; COMPUTE_PGM_RSRC2:TGID_Z_EN: 1
; COMPUTE_PGM_RSRC2:TIDIG_COMP_CNT: 1
; COMPUTE_PGM_RSRC3_GFX90A:ACCUM_OFFSET: 25
; COMPUTE_PGM_RSRC3_GFX90A:TG_SPLIT: 0
	.section	.text._ZL9mul_mat_fI7__half2Li64ELi4ELi4ELb1EEvPKT_PKfPKiPfiiiiiiiiiiiiiiii,"axG",@progbits,_ZL9mul_mat_fI7__half2Li64ELi4ELi4ELb1EEvPKT_PKfPKiPfiiiiiiiiiiiiiiii,comdat
	.globl	_ZL9mul_mat_fI7__half2Li64ELi4ELi4ELb1EEvPKT_PKfPKiPfiiiiiiiiiiiiiiii ; -- Begin function _ZL9mul_mat_fI7__half2Li64ELi4ELi4ELb1EEvPKT_PKfPKiPfiiiiiiiiiiiiiiii
	.p2align	8
	.type	_ZL9mul_mat_fI7__half2Li64ELi4ELi4ELb1EEvPKT_PKfPKiPfiiiiiiiiiiiiiiii,@function
_ZL9mul_mat_fI7__half2Li64ELi4ELi4ELb1EEvPKT_PKfPKiPfiiiiiiiiiiiiiiii: ; @_ZL9mul_mat_fI7__half2Li64ELi4ELi4ELb1EEvPKT_PKfPKiPfiiiiiiiiiiiiiiii
; %bb.0:
	s_load_dwordx8 s[12:19], s[4:5], 0x20
	v_bfe_u32 v17, v0, 10, 10
	v_and_b32_e32 v16, 0x3ff, v0
	v_cmp_eq_u32_e32 vcc, 0, v16
	v_mul_i32_i24_e32 v89, 0xffffef84, v17
	s_waitcnt lgkmcnt(0)
	s_add_i32 s0, s13, 3
	s_ashr_i32 s1, s0, 31
	s_lshr_b32 s1, s1, 30
	s_add_i32 s0, s0, s1
	s_ashr_i32 s0, s0, 2
	v_cvt_f32_u32_e32 v1, s0
	s_load_dwordx8 s[20:27], s[4:5], 0x44
	s_load_dword s1, s[4:5], 0x64
	s_sub_i32 s2, 0, s0
	s_add_u32 s10, s4, 0x60
	v_rcp_iflag_f32_e32 v1, v1
	s_addc_u32 s11, s5, 0
	v_mul_f32_e32 v1, 0x4f7ffffe, v1
	v_cvt_u32_f32_e32 v1, v1
	v_readfirstlane_b32 s3, v1
	s_mul_i32 s2, s2, s3
	s_mul_hi_u32 s2, s3, s2
	s_add_i32 s3, s3, s2
	s_waitcnt lgkmcnt(0)
	s_mul_hi_u32 s2, s1, s3
	s_mul_i32 s3, s2, s0
	s_sub_i32 s1, s1, s3
	s_add_i32 s9, s2, 1
	s_sub_i32 s3, s1, s0
	s_cmp_ge_u32 s1, s0
	s_cselect_b32 s2, s9, s2
	s_cselect_b32 s1, s3, s1
	s_add_i32 s3, s2, 1
	s_cmp_ge_u32 s1, s0
	s_cselect_b32 s9, s3, s2
	s_abs_i32 s27, s23
	v_cvt_f32_u32_e32 v1, s9
	v_cvt_f32_u32_e32 v2, s27
	s_sub_i32 s0, 0, s9
	s_sub_i32 s1, 0, s27
	v_rcp_iflag_f32_e32 v1, v1
	v_rcp_iflag_f32_e32 v2, v2
	s_abs_i32 s33, s8
	v_mul_f32_e32 v1, 0x4f7ffffe, v1
	v_mul_f32_e32 v2, 0x4f7ffffe, v2
	v_cvt_u32_f32_e32 v1, v1
	v_cvt_u32_f32_e32 v2, v2
	v_readfirstlane_b32 s2, v1
	v_readfirstlane_b32 s35, v2
	s_mul_i32 s0, s0, s2
	s_mul_i32 s1, s1, s35
	s_mul_hi_u32 s0, s2, s0
	s_mul_hi_u32 s1, s35, s1
	s_add_i32 s2, s2, s0
	s_movk_i32 s0, 0x1080
	v_mov_b32_e32 v1, 0x100
	s_mul_hi_u32 s34, s7, s2
	s_add_i32 s35, s35, s1
	v_mad_u32_u24 v88, v17, s0, v1
	s_and_saveexec_b64 s[0:1], vcc
	s_cbranch_execz .LBB109_2
; %bb.1:
	v_add_u32_e32 v1, v88, v89
	v_mov_b32_e32 v2, -1
	ds_write_b32 v1, v2
.LBB109_2:
	s_or_b64 exec, exec, s[0:1]
	s_mul_i32 s0, s34, s9
	s_sub_i32 s0, s7, s0
	s_mul_hi_u32 s36, s33, s35
	s_add_i32 s1, s34, 1
	s_sub_i32 s35, s0, s9
	s_cmp_ge_u32 s0, s9
	s_cselect_b32 s1, s1, s34
	s_cselect_b32 s0, s35, s0
	s_add_i32 s34, s1, 1
	s_cmp_ge_u32 s0, s9
	s_load_dwordx4 s[28:31], s[4:5], 0x0
	s_load_dwordx2 s[2:3], s[4:5], 0x18
	s_cselect_b32 s0, s34, s1
	s_mul_i32 s1, s0, s9
	s_lshl_b32 s9, s0, 2
	v_add_u32_e32 v90, s9, v17
	s_sub_i32 s7, s7, s1
	v_cmp_gt_i32_e32 vcc, s13, v90
	v_cmp_gt_i32_e64 s[0:1], s14, v16
	s_and_b64 s[0:1], vcc, s[0:1]
	v_mov_b32_e32 v1, 0
	s_and_saveexec_b64 s[34:35], s[0:1]
	s_cbranch_execz .LBB109_8
; %bb.3:
	s_load_dwordx2 s[0:1], s[4:5], 0x10
	s_mul_hi_i32 s5, s9, s19
	s_mul_i32 s4, s9, s19
	v_mul_lo_u32 v2, v17, s19
	s_lshl_b64 s[4:5], s[4:5], 2
	s_waitcnt lgkmcnt(0)
	s_add_u32 s0, s0, s4
	v_ashrrev_i32_e32 v3, 31, v2
	s_addc_u32 s1, s1, s5
	v_lshlrev_b64 v[2:3], 2, v[2:3]
	v_mov_b32_e32 v4, s1
	v_add_co_u32_e32 v1, vcc, s0, v2
	v_addc_co_u32_e32 v4, vcc, v4, v3, vcc
	v_mul_lo_u32 v2, v16, s18
	s_lshl_b32 s37, s18, 6
	s_mov_b64 s[4:5], 0
	v_mov_b32_e32 v5, 0
	v_add_u32_e32 v6, v88, v89
	v_mov_b32_e32 v7, v16
	s_branch .LBB109_5
.LBB109_4:                              ;   in Loop: Header=BB109_5 Depth=1
	s_or_b64 exec, exec, s[18:19]
	v_add_u32_e32 v7, 64, v7
	v_cmp_le_i32_e64 s[0:1], s14, v7
	s_xor_b64 s[18:19], vcc, -1
	s_or_b64 s[0:1], s[18:19], s[0:1]
	s_and_b64 s[0:1], exec, s[0:1]
	s_or_b64 s[4:5], s[0:1], s[4:5]
	v_add_u32_e32 v2, s37, v2
	s_andn2_b64 exec, exec, s[4:5]
	s_cbranch_execz .LBB109_7
.LBB109_5:                              ; =>This Inner Loop Header: Depth=1
	v_ashrrev_i32_e32 v3, 31, v2
	v_lshlrev_b64 v[8:9], 2, v[2:3]
	v_add_co_u32_e32 v8, vcc, v1, v8
	v_addc_co_u32_e32 v9, vcc, v4, v9, vcc
	global_load_dword v3, v[8:9], off
	s_waitcnt vmcnt(0)
	v_cmp_ne_u32_e32 vcc, s7, v3
	v_cmp_eq_u32_e64 s[0:1], s7, v3
	s_and_saveexec_b64 s[18:19], s[0:1]
	s_cbranch_execz .LBB109_4
; %bb.6:                                ;   in Loop: Header=BB109_5 Depth=1
	v_mov_b32_e32 v5, 1
	ds_write_b32 v6, v7
	s_branch .LBB109_4
.LBB109_7:
	s_or_b64 exec, exec, s[4:5]
	v_cmp_ne_u32_e32 vcc, 0, v5
	v_cndmask_b32_e64 v1, 0, 1, vcc
.LBB109_8:
	s_or_b64 exec, exec, s[34:35]
	s_load_dwordx2 s[0:1], s[10:11], 0xc
	v_or_b32_dpp v1, v1, v1 row_shl:1 row_mask:0xf bank_mask:0xf bound_ctrl:1
	s_ashr_i32 s4, s8, 31
	s_ashr_i32 s5, s23, 31
	v_or_b32_dpp v1, v1, v1 row_shl:2 row_mask:0xf bank_mask:0xf bound_ctrl:1
	s_waitcnt lgkmcnt(0)
	s_and_b32 s10, s1, 0xffff
	s_lshr_b32 s1, s0, 16
	s_and_b32 s0, s0, 0xffff
	s_mul_i32 s11, s1, s0
	v_or_b32_dpp v1, v1, v1 row_shl:4 row_mask:0xf bank_mask:0xf bound_ctrl:1
	s_bfe_i32 s11, s11, 0x180000
	s_mul_i32 s10, s11, s10
	v_or_b32_dpp v1, v1, v1 row_shl:8 row_mask:0xf bank_mask:0xf bound_ctrl:1
	s_add_i32 s11, s10, 63
	s_bitcmp1_b32 exec_hi, 0
	v_mov_b32_dpp v2, v1 wave_shl:1 row_mask:0xf bank_mask:0xf bound_ctrl:1
	s_nop 1
	v_or_b32_dpp v1, v2, v1 row_mirror row_mask:0xf bank_mask:0xf bound_ctrl:1
	v_readlane_b32 s10, v1, 32
	s_cselect_b32 s10, s10, 0
	v_readlane_b32 s14, v1, 0
	s_or_b32 s10, s10, s14
	s_andn2_b32 s11, s11, 63
	s_cmp_lg_u32 s11, 64
	v_mov_b32_e32 v1, s10
	s_cbranch_scc0 .LBB109_15
; %bb.9:
	v_bfe_u32 v0, v0, 20, 10
	v_mbcnt_lo_u32_b32 v1, -1, 0
	v_mad_u32_u24 v0, v0, s1, v17
	v_mbcnt_hi_u32_b32 v2, -1, v1
	v_mad_u64_u32 v[0:1], s[0:1], v0, s0, v[16:17]
	v_lshrrev_b32_e32 v1, 6, v0
	v_or_b32_e32 v1, v2, v1
	v_cmp_eq_u32_e32 vcc, 0, v1
	s_and_saveexec_b64 s[0:1], vcc
	s_cbranch_execz .LBB109_11
; %bb.10:
	v_mov_b32_e32 v1, 0
	v_mov_b32_e32 v3, s10
	ds_write_b32 v1, v3
.LBB109_11:
	s_or_b64 exec, exec, s[0:1]
	v_cmp_eq_u32_e32 vcc, 0, v2
	v_cmp_lt_u32_e64 s[0:1], 63, v0
	s_and_b64 s[18:19], s[0:1], vcc
	s_waitcnt lgkmcnt(0)
	s_barrier
	s_and_saveexec_b64 s[0:1], s[18:19]
	s_cbranch_execz .LBB109_14
; %bb.12:
	v_mbcnt_lo_u32_b32 v0, exec_lo, 0
	v_mbcnt_hi_u32_b32 v0, exec_hi, v0
	v_cmp_eq_u32_e32 vcc, 0, v0
	s_and_b64 exec, exec, vcc
	s_cbranch_execz .LBB109_14
; %bb.13:
	v_mov_b32_e32 v0, 0
	v_mov_b32_e32 v1, s10
	ds_or_b32 v0, v1
.LBB109_14:
	s_or_b64 exec, exec, s[0:1]
	v_mov_b32_e32 v0, 0
	s_waitcnt lgkmcnt(0)
	s_barrier
	ds_read_b32 v1, v0
	s_waitcnt lgkmcnt(0)
	s_barrier
.LBB109_15:
	v_cmp_ne_u32_e32 vcc, 0, v1
	s_cbranch_vccz .LBB109_38
; %bb.16:
	v_lshlrev_b32_e32 v91, 6, v17
	v_add_u32_e32 v93, v91, v16
	v_cmp_le_i32_e32 vcc, s12, v93
	v_and_b32_e32 v92, 15, v16
                                        ; implicit-def: $sgpr10
	s_and_saveexec_b64 s[0:1], vcc
	s_xor_b64 s[0:1], exec, s[0:1]
; %bb.17:
	v_and_b32_e32 v92, 15, v16
	s_mov_b32 s10, 0
                                        ; implicit-def: $vgpr93
; %bb.18:
	s_or_saveexec_b64 s[0:1], s[0:1]
	s_lshl_b32 s23, s6, 6
	v_accvgpr_write_b32 a8, s10
	v_accvgpr_write_b32 a9, s10
	;; [unrolled: 1-line block ×16, first 2 shown]
	s_xor_b64 exec, exec, s[0:1]
	s_cbranch_execz .LBB109_34
; %bb.19:
	s_xor_b32 s4, s4, s5
	s_mul_i32 s5, s36, s27
	s_sub_i32 s5, s33, s5
	s_add_i32 s6, s36, 1
	s_sub_i32 s10, s5, s27
	s_cmp_ge_u32 s5, s27
	s_cselect_b32 s6, s6, s36
	s_cselect_b32 s5, s10, s5
	s_add_i32 s10, s6, 1
	s_cmp_ge_u32 s5, s27
	s_cselect_b32 s5, s10, s6
	s_xor_b32 s5, s5, s4
	s_sub_i32 s4, s5, s4
	s_mul_hi_i32 s5, s4, s24
	s_mul_i32 s4, s4, s24
	s_mul_i32 s6, s7, s20
	s_ashr_i32 s7, s6, 31
	s_lshl_b64 s[34:35], s[4:5], 2
	s_add_u32 s4, s28, s34
	s_addc_u32 s5, s29, s35
	s_lshl_b64 s[36:37], s[6:7], 2
	s_mul_i32 s10, s23, s15
	s_add_u32 s14, s4, s36
	s_addc_u32 s18, s5, s37
	s_mul_hi_i32 s7, s16, s9
	s_mul_i32 s6, s16, s9
	s_ashr_i32 s11, s10, 31
	s_lshl_b64 s[6:7], s[6:7], 3
	s_lshl_b64 s[38:39], s[10:11], 2
	s_mul_hi_i32 s5, s25, s8
	s_mul_i32 s4, s25, s8
	s_add_u32 s20, s14, s38
	s_addc_u32 s14, s18, s39
	s_lshl_b64 s[4:5], s[4:5], 2
	s_add_u32 s4, s30, s4
	s_addc_u32 s5, s31, s5
	s_add_u32 s27, s4, s6
	s_addc_u32 s30, s5, s7
	s_cmp_lt_i32 s9, s13
	s_cselect_b64 s[4:5], -1, 0
	s_or_b32 s6, s9, 1
	s_cmp_lt_i32 s6, s13
	s_cselect_b64 s[6:7], -1, 0
	s_or_b32 s10, s9, 2
	s_cmp_lt_i32 s10, s13
	s_cselect_b64 s[10:11], -1, 0
	s_lshl_b32 s31, s16, 2
	s_or_b32 s18, s9, 3
	s_cmp_lt_i32 s18, s13
	s_cselect_b64 s[18:19], -1, 0
	s_ashr_i32 s25, s15, 31
	s_mov_b32 s24, s15
	s_lshl_b64 s[24:25], s[24:25], 2
	s_add_u32 s33, s34, s38
	s_addc_u32 s34, s35, s39
	v_lshrrev_b32_e32 v1, 1, v16
	s_add_u32 s33, s33, s36
	v_mul_u32_u24_e32 v0, 0x108, v92
	v_and_b32_e32 v1, 0x1f8, v1
	s_addc_u32 s34, s34, s37
	v_add3_u32 v95, v88, v0, v1
	v_lshlrev_b32_e32 v0, 1, v16
	s_add_u32 s28, s28, s33
	v_lshl_add_u32 v96, v17, 7, v0
	v_lshlrev_b32_e32 v0, 2, v93
	s_addc_u32 s29, s29, s34
	v_mov_b32_e32 v1, s29
	v_add_co_u32_e32 v18, vcc, s28, v0
	v_lshl_add_u32 v94, v16, 2, v88
	v_addc_co_u32_e32 v19, vcc, 0, v1, vcc
	s_mul_i32 s28, s16, 6
	s_lshl_b32 s16, s16, 1
	s_lshl_b32 s29, s15, 1
	s_mul_i32 s33, s15, 3
	s_lshl_b32 s34, s15, 2
	s_mul_i32 s35, s15, 5
	s_mul_i32 s36, s15, 6
	;; [unrolled: 1-line block ×3, first 2 shown]
	s_lshl_b32 s38, s15, 3
	s_mul_i32 s39, s15, 9
	s_mul_i32 s40, s15, 10
	;; [unrolled: 1-line block ×7, first 2 shown]
	s_lshl_b32 s46, s15, 4
	s_mul_i32 s47, s15, 17
	s_mul_i32 s48, s15, 18
	;; [unrolled: 1-line block ×15, first 2 shown]
	s_lshl_b32 s62, s15, 5
	s_mul_i32 s63, s15, 33
	s_mul_i32 s64, s15, 34
	;; [unrolled: 1-line block ×11, first 2 shown]
	v_mov_b32_e32 v97, s14
	s_mul_i32 s74, s15, 44
	v_mov_b32_e32 v98, 0
	v_accvgpr_write_b32 a15, 0
	v_accvgpr_write_b32 a14, 0
	;; [unrolled: 1-line block ×16, first 2 shown]
	v_mov_b32_e32 v99, s25
	v_mov_b32_e32 v100, 0x100
	s_mul_i32 s25, s15, 45
	s_mul_i32 s75, s15, 46
	;; [unrolled: 1-line block ×19, first 2 shown]
	s_mov_b64 s[14:15], 0
	s_branch .LBB109_21
.LBB109_20:                             ;   in Loop: Header=BB109_21 Depth=1
	s_waitcnt vmcnt(0)
	v_cvt_f16_f32_e32 v84, v84
	v_cvt_f16_f32_e32 v85, v85
	v_add_u32_e32 v86, 0x200, v94
	v_add_u32_e32 v87, 0x400, v94
	v_accvgpr_write_b32 a0, v0
	v_pack_b32_f16 v84, v84, v85
	ds_write2_b32 v86, v84, v98 offset0:86 offset1:152
	ds_write2_b32 v87, v98, v98 offset0:90 offset1:156
	v_add_u32_e32 v84, 0x600, v94
	ds_write2_b32 v84, v98, v98 offset0:94 offset1:160
	v_add_u32_e32 v84, 0x800, v94
	;; [unrolled: 2-line block ×4, first 2 shown]
	ds_write2_b32 v84, v98, v98 offset0:106 offset1:172
	ds_write_b32 v94, v98 offset:4024
	ds_read2_b64 v[84:87], v95 offset0:8 offset1:12
	v_accvgpr_write_b32 a4, v4
	v_accvgpr_write_b32 a8, v8
	;; [unrolled: 1-line block ×15, first 2 shown]
	s_waitcnt lgkmcnt(0)
	v_mfma_f32_16x16x16f16 a[0:3], v[38:39], v[84:85], a[0:3]
	ds_read2_b64 v[0:3], v95 offset0:16 offset1:20
	v_add_co_u32_e32 v18, vcc, 0x400, v18
	v_add_u32_e32 v93, 0x100, v93
	v_addc_co_u32_e32 v19, vcc, 0, v19, vcc
	v_cmp_le_i32_e32 vcc, s12, v93
	v_mfma_f32_16x16x16f16 a[4:7], v[52:53], v[84:85], a[4:7]
	v_add_u32_e32 v96, 0x200, v96
	s_or_b64 s[14:15], vcc, s[14:15]
	v_mfma_f32_16x16x16f16 a[8:11], v[66:67], v[84:85], a[8:11]
	v_mfma_f32_16x16x16f16 a[12:15], v[82:83], v[84:85], a[12:15]
	;; [unrolled: 1-line block ×6, first 2 shown]
	s_waitcnt lgkmcnt(0)
	v_mfma_f32_16x16x16f16 a[0:3], v[30:31], v[0:1], a[0:3]
	v_mfma_f32_16x16x16f16 a[4:7], v[46:47], v[0:1], a[4:7]
	;; [unrolled: 1-line block ×8, first 2 shown]
	ds_read2_b64 v[0:3], v95 offset0:24 offset1:28
	s_waitcnt lgkmcnt(0)
	v_mfma_f32_16x16x16f16 a[0:3], v[26:27], v[0:1], a[0:3]
	v_mfma_f32_16x16x16f16 a[4:7], v[42:43], v[0:1], a[4:7]
	;; [unrolled: 1-line block ×8, first 2 shown]
	ds_read2_b64 v[0:3], v95 offset0:32 offset1:36
	s_waitcnt lgkmcnt(0)
	v_mfma_f32_16x16x16f16 a[0:3], v[22:23], v[0:1], a[0:3]
	v_mfma_f32_16x16x16f16 a[4:7], v[36:37], v[0:1], a[4:7]
	;; [unrolled: 1-line block ×8, first 2 shown]
	s_andn2_b64 exec, exec, s[14:15]
	s_cbranch_execz .LBB109_33
.LBB109_21:                             ; =>This Inner Loop Header: Depth=1
	v_add_co_u32_e32 v0, vcc, s24, v18
	v_addc_co_u32_e32 v1, vcc, v19, v99, vcc
	global_load_dword v24, v[18:19], off
	global_load_dword v25, v[0:1], off
	v_add_u32_e32 v0, s29, v93
	v_ashrrev_i32_e32 v1, 31, v0
	v_lshlrev_b64 v[0:1], 2, v[0:1]
	v_add_u32_e32 v2, s33, v93
	v_add_co_u32_e32 v0, vcc, s20, v0
	v_ashrrev_i32_e32 v3, 31, v2
	v_addc_co_u32_e32 v1, vcc, v97, v1, vcc
	v_lshlrev_b64 v[2:3], 2, v[2:3]
	v_add_u32_e32 v4, s34, v93
	v_add_co_u32_e32 v2, vcc, s20, v2
	v_ashrrev_i32_e32 v5, 31, v4
	v_addc_co_u32_e32 v3, vcc, v97, v3, vcc
	;; [unrolled: 5-line block ×5, first 2 shown]
	v_lshlrev_b64 v[10:11], 2, v[10:11]
	v_add_co_u32_e32 v10, vcc, s20, v10
	v_addc_co_u32_e32 v11, vcc, v97, v11, vcc
	global_load_dword v26, v[0:1], off
	global_load_dword v27, v[2:3], off
	;; [unrolled: 1-line block ×6, first 2 shown]
	v_add_u32_e32 v20, s38, v93
	v_ashrrev_i32_e32 v21, 31, v20
	v_add_u32_e32 v22, s39, v93
	v_lshlrev_b64 v[20:21], 2, v[20:21]
	v_ashrrev_i32_e32 v23, 31, v22
	v_add_co_u32_e32 v20, vcc, s20, v20
	v_lshlrev_b64 v[22:23], 2, v[22:23]
	v_addc_co_u32_e32 v21, vcc, v97, v21, vcc
	v_add_co_u32_e32 v22, vcc, s20, v22
	v_addc_co_u32_e32 v23, vcc, v97, v23, vcc
	v_add_u32_e32 v32, s45, v93
	v_ashrrev_i32_e32 v33, 31, v32
	v_lshlrev_b64 v[32:33], 2, v[32:33]
	v_add_u32_e32 v34, s46, v93
	v_ashrrev_i32_e32 v35, 31, v34
	v_lshlrev_b64 v[34:35], 2, v[34:35]
	;; [unrolled: 3-line block ×4, first 2 shown]
	v_accvgpr_read_b32 v3, a15
	v_accvgpr_read_b32 v2, a14
	;; [unrolled: 1-line block ×6, first 2 shown]
	s_waitcnt vmcnt(7)
	ds_write_b32 v94, v24 offset:64
	s_waitcnt vmcnt(6)
	ds_write_b32 v94, v25 offset:328
	global_load_dword v20, v[20:21], off
	s_nop 0
	global_load_dword v21, v[22:23], off
	v_add_u32_e32 v22, s40, v93
	v_ashrrev_i32_e32 v23, 31, v22
	v_lshlrev_b64 v[22:23], 2, v[22:23]
	v_add_u32_e32 v24, s41, v93
	v_add_co_u32_e32 v22, vcc, s20, v22
	v_ashrrev_i32_e32 v25, 31, v24
	v_addc_co_u32_e32 v23, vcc, v97, v23, vcc
	v_lshlrev_b64 v[24:25], 2, v[24:25]
	s_waitcnt vmcnt(7)
	ds_write_b32 v94, v26 offset:592
	s_waitcnt vmcnt(6)
	ds_write_b32 v94, v27 offset:856
	;; [unrolled: 2-line block ×6, first 2 shown]
	v_add_u32_e32 v26, s42, v93
	v_add_co_u32_e32 v24, vcc, s20, v24
	v_ashrrev_i32_e32 v27, 31, v26
	v_addc_co_u32_e32 v25, vcc, v97, v25, vcc
	v_lshlrev_b64 v[26:27], 2, v[26:27]
	v_add_u32_e32 v28, s43, v93
	v_add_co_u32_e32 v26, vcc, s20, v26
	v_ashrrev_i32_e32 v29, 31, v28
	v_addc_co_u32_e32 v27, vcc, v97, v27, vcc
	v_lshlrev_b64 v[28:29], 2, v[28:29]
	;; [unrolled: 5-line block ×3, first 2 shown]
	v_add_co_u32_e32 v30, vcc, s20, v30
	v_addc_co_u32_e32 v31, vcc, v97, v31, vcc
	v_add_co_u32_e32 v32, vcc, s20, v32
	v_addc_co_u32_e32 v33, vcc, v97, v33, vcc
	;; [unrolled: 2-line block ×4, first 2 shown]
	global_load_dword v22, v[22:23], off
	s_nop 0
	global_load_dword v23, v[24:25], off
	s_nop 0
	global_load_dword v24, v[26:27], off
	global_load_dword v25, v[28:29], off
	s_nop 0
	global_load_dword v26, v[30:31], off
	;; [unrolled: 3-line block ×3, first 2 shown]
	s_nop 0
	global_load_dword v35, v[36:37], off
	v_add_u32_e32 v28, s48, v93
	v_ashrrev_i32_e32 v29, 31, v28
	v_lshlrev_b64 v[28:29], 2, v[28:29]
	v_add_u32_e32 v30, s49, v93
	v_add_co_u32_e32 v28, vcc, s20, v28
	v_ashrrev_i32_e32 v31, 31, v30
	v_addc_co_u32_e32 v29, vcc, v97, v29, vcc
	v_lshlrev_b64 v[30:31], 2, v[30:31]
	v_add_u32_e32 v32, s50, v93
	v_add_co_u32_e32 v30, vcc, s20, v30
	v_ashrrev_i32_e32 v33, 31, v32
	v_addc_co_u32_e32 v31, vcc, v97, v31, vcc
	v_lshlrev_b64 v[32:33], 2, v[32:33]
	v_add_u32_e32 v36, s51, v93
	v_add_co_u32_e32 v32, vcc, s20, v32
	v_ashrrev_i32_e32 v37, 31, v36
	v_addc_co_u32_e32 v33, vcc, v97, v33, vcc
	v_lshlrev_b64 v[36:37], 2, v[36:37]
	v_add_co_u32_e32 v38, vcc, s20, v36
	v_add_u32_e32 v36, s52, v93
	v_addc_co_u32_e32 v39, vcc, v97, v37, vcc
	v_ashrrev_i32_e32 v37, 31, v36
	v_lshlrev_b64 v[36:37], 2, v[36:37]
	v_add_co_u32_e32 v42, vcc, s20, v36
	v_add_u32_e32 v36, s53, v93
	v_addc_co_u32_e32 v43, vcc, v97, v37, vcc
	v_ashrrev_i32_e32 v37, 31, v36
	;; [unrolled: 5-line block ×4, first 2 shown]
	v_lshlrev_b64 v[36:37], 2, v[36:37]
	v_add_co_u32_e32 v48, vcc, s20, v36
	v_addc_co_u32_e32 v49, vcc, v97, v37, vcc
	global_load_dword v36, v[28:29], off
	global_load_dword v37, v[30:31], off
	;; [unrolled: 1-line block ×4, first 2 shown]
	s_nop 0
	global_load_dword v42, v[42:43], off
	s_nop 0
	global_load_dword v43, v[44:45], off
	;; [unrolled: 2-line block ×3, first 2 shown]
	global_load_dword v45, v[48:49], off
	v_add_u32_e32 v28, s56, v93
	v_ashrrev_i32_e32 v29, 31, v28
	v_lshlrev_b64 v[28:29], 2, v[28:29]
	v_add_u32_e32 v30, s57, v93
	v_add_co_u32_e32 v28, vcc, s20, v28
	v_ashrrev_i32_e32 v31, 31, v30
	v_addc_co_u32_e32 v29, vcc, v97, v29, vcc
	v_lshlrev_b64 v[30:31], 2, v[30:31]
	v_add_u32_e32 v32, s58, v93
	v_add_co_u32_e32 v30, vcc, s20, v30
	v_ashrrev_i32_e32 v33, 31, v32
	v_addc_co_u32_e32 v31, vcc, v97, v31, vcc
	;; [unrolled: 5-line block ×4, first 2 shown]
	v_lshlrev_b64 v[46:47], 2, v[46:47]
	v_add_co_u32_e32 v48, vcc, s20, v46
	v_add_u32_e32 v46, s61, v93
	v_addc_co_u32_e32 v49, vcc, v97, v47, vcc
	v_ashrrev_i32_e32 v47, 31, v46
	v_lshlrev_b64 v[46:47], 2, v[46:47]
	v_add_co_u32_e32 v54, vcc, s20, v46
	v_add_u32_e32 v46, s62, v93
	v_addc_co_u32_e32 v55, vcc, v97, v47, vcc
	v_ashrrev_i32_e32 v47, 31, v46
	;; [unrolled: 5-line block ×3, first 2 shown]
	v_lshlrev_b64 v[46:47], 2, v[46:47]
	v_add_co_u32_e32 v58, vcc, s20, v46
	v_addc_co_u32_e32 v59, vcc, v97, v47, vcc
	global_load_dword v46, v[28:29], off
	global_load_dword v47, v[30:31], off
	;; [unrolled: 1-line block ×6, first 2 shown]
	s_nop 0
	global_load_dword v48, v[56:57], off
	global_load_dword v49, v[58:59], off
	v_add_u32_e32 v28, s64, v93
	v_ashrrev_i32_e32 v29, 31, v28
	v_lshlrev_b64 v[28:29], 2, v[28:29]
	v_add_u32_e32 v30, s65, v93
	v_add_co_u32_e32 v28, vcc, s20, v28
	v_ashrrev_i32_e32 v31, 31, v30
	v_addc_co_u32_e32 v29, vcc, v97, v29, vcc
	v_lshlrev_b64 v[30:31], 2, v[30:31]
	v_add_u32_e32 v32, s66, v93
	v_add_co_u32_e32 v30, vcc, s20, v30
	v_ashrrev_i32_e32 v33, 31, v32
	v_addc_co_u32_e32 v31, vcc, v97, v31, vcc
	;; [unrolled: 5-line block ×6, first 2 shown]
	v_lshlrev_b64 v[58:59], 2, v[58:59]
	v_add_co_u32_e32 v58, vcc, s20, v58
	v_addc_co_u32_e32 v59, vcc, v97, v59, vcc
	v_add_co_u32_e32 v60, vcc, s20, v60
	v_addc_co_u32_e32 v61, vcc, v97, v61, vcc
	global_load_dword v62, v[28:29], off
	global_load_dword v63, v[30:31], off
	;; [unrolled: 1-line block ×8, first 2 shown]
	v_add_u32_e32 v28, s72, v93
	v_ashrrev_i32_e32 v29, 31, v28
	v_lshlrev_b64 v[28:29], 2, v[28:29]
	v_add_u32_e32 v30, s73, v93
	v_add_co_u32_e32 v28, vcc, s20, v28
	v_ashrrev_i32_e32 v31, 31, v30
	v_addc_co_u32_e32 v29, vcc, v97, v29, vcc
	v_lshlrev_b64 v[30:31], 2, v[30:31]
	v_add_u32_e32 v32, s74, v93
	v_add_co_u32_e32 v30, vcc, s20, v30
	v_ashrrev_i32_e32 v33, 31, v32
	v_addc_co_u32_e32 v31, vcc, v97, v31, vcc
	;; [unrolled: 5-line block ×7, first 2 shown]
	v_lshlrev_b64 v[60:61], 2, v[60:61]
	v_add_co_u32_e32 v60, vcc, s20, v60
	v_addc_co_u32_e32 v61, vcc, v97, v61, vcc
	global_load_dword v70, v[28:29], off
	global_load_dword v71, v[30:31], off
	;; [unrolled: 1-line block ×8, first 2 shown]
	v_add_u32_e32 v28, s79, v93
	v_ashrrev_i32_e32 v29, 31, v28
	v_lshlrev_b64 v[28:29], 2, v[28:29]
	v_add_u32_e32 v30, s80, v93
	v_add_co_u32_e32 v28, vcc, s20, v28
	v_ashrrev_i32_e32 v31, 31, v30
	v_addc_co_u32_e32 v29, vcc, v97, v29, vcc
	v_lshlrev_b64 v[30:31], 2, v[30:31]
	v_add_u32_e32 v32, s81, v93
	v_add_co_u32_e32 v30, vcc, s20, v30
	v_ashrrev_i32_e32 v33, 31, v32
	v_addc_co_u32_e32 v31, vcc, v97, v31, vcc
	;; [unrolled: 5-line block ×7, first 2 shown]
	v_lshlrev_b64 v[60:61], 2, v[60:61]
	v_add_co_u32_e32 v60, vcc, s20, v60
	v_addc_co_u32_e32 v61, vcc, v97, v61, vcc
	global_load_dword v78, v[28:29], off
	global_load_dword v79, v[30:31], off
	;; [unrolled: 1-line block ×8, first 2 shown]
	v_add_u32_e32 v28, s87, v93
	v_ashrrev_i32_e32 v29, 31, v28
	v_lshlrev_b64 v[28:29], 2, v[28:29]
	v_add_u32_e32 v30, s88, v93
	v_add_co_u32_e32 v28, vcc, s20, v28
	v_ashrrev_i32_e32 v31, 31, v30
	v_addc_co_u32_e32 v29, vcc, v97, v29, vcc
	v_lshlrev_b64 v[30:31], 2, v[30:31]
	v_add_u32_e32 v32, s89, v93
	v_add_co_u32_e32 v30, vcc, s20, v30
	v_ashrrev_i32_e32 v33, 31, v32
	v_addc_co_u32_e32 v31, vcc, v97, v31, vcc
	;; [unrolled: 5-line block ×5, first 2 shown]
	v_lshlrev_b64 v[56:57], 2, v[56:57]
	v_add_co_u32_e32 v56, vcc, s20, v56
	v_addc_co_u32_e32 v57, vcc, v97, v57, vcc
	global_load_dword v86, v[28:29], off
	global_load_dword v87, v[30:31], off
	;; [unrolled: 1-line block ×6, first 2 shown]
	s_waitcnt vmcnt(55)
	ds_write_b32 v94, v20 offset:2176
	s_waitcnt vmcnt(54)
	ds_write_b32 v94, v21 offset:2440
	s_waitcnt vmcnt(53)
	ds_write_b32 v94, v22 offset:2704
	s_waitcnt vmcnt(52)
	ds_write_b32 v94, v23 offset:2968
	s_waitcnt vmcnt(51)
	ds_write_b32 v94, v24 offset:3232
	s_waitcnt vmcnt(50)
	ds_write_b32 v94, v25 offset:3496
	s_waitcnt vmcnt(49)
	ds_write_b32 v94, v26 offset:3760
	s_waitcnt vmcnt(48)
	ds_write_b32 v94, v27 offset:4024
	ds_read_b64 v[38:39], v95 offset:64
	ds_read_b64 v[32:33], v95 offset:96
	ds_read_b64 v[30:31], v95 offset:128
	ds_read_b64 v[28:29], v95 offset:160
	ds_read_b64 v[26:27], v95 offset:192
	ds_read_b64 v[24:25], v95 offset:224
	ds_read_b64 v[22:23], v95 offset:256
	ds_read_b64 v[20:21], v95 offset:288
	s_waitcnt vmcnt(47)
	ds_write_b32 v94, v34 offset:64
	s_waitcnt vmcnt(46)
	ds_write_b32 v94, v35 offset:328
	s_waitcnt vmcnt(45)
	ds_write_b32 v94, v36 offset:592
	s_waitcnt vmcnt(44)
	ds_write_b32 v94, v37 offset:856
	s_waitcnt vmcnt(43)
	ds_write_b32 v94, v40 offset:1120
	s_waitcnt vmcnt(42)
	ds_write_b32 v94, v41 offset:1384
	s_waitcnt vmcnt(41)
	ds_write_b32 v94, v42 offset:1648
	s_waitcnt vmcnt(40)
	ds_write_b32 v94, v43 offset:1912
	s_waitcnt vmcnt(39)
	ds_write_b32 v94, v44 offset:2176
	s_waitcnt vmcnt(38)
	ds_write_b32 v94, v45 offset:2440
	s_waitcnt vmcnt(37)
	ds_write_b32 v94, v46 offset:2704
	s_waitcnt vmcnt(36)
	ds_write_b32 v94, v47 offset:2968
	s_waitcnt vmcnt(35)
	ds_write_b32 v94, v50 offset:3232
	s_waitcnt vmcnt(34)
	ds_write_b32 v94, v51 offset:3496
	s_waitcnt vmcnt(33)
	ds_write_b32 v94, v52 offset:3760
	s_waitcnt vmcnt(32)
	ds_write_b32 v94, v53 offset:4024
	ds_read_b64 v[52:53], v95 offset:64
	ds_read_b64 v[50:51], v95 offset:96
	ds_read_b64 v[46:47], v95 offset:128
	ds_read_b64 v[44:45], v95 offset:160
	ds_read_b64 v[42:43], v95 offset:192
	ds_read_b64 v[40:41], v95 offset:224
	ds_read_b64 v[36:37], v95 offset:256
	ds_read_b64 v[34:35], v95 offset:288
	s_waitcnt vmcnt(31)
	ds_write_b32 v94, v48 offset:64
	s_waitcnt vmcnt(30)
	ds_write_b32 v94, v49 offset:328
	s_waitcnt vmcnt(29)
	ds_write_b32 v94, v62 offset:592
	s_waitcnt vmcnt(28)
	ds_write_b32 v94, v63 offset:856
	s_waitcnt vmcnt(27)
	ds_write_b32 v94, v64 offset:1120
	s_waitcnt vmcnt(26)
	ds_write_b32 v94, v65 offset:1384
	s_waitcnt vmcnt(25)
	ds_write_b32 v94, v66 offset:1648
	s_waitcnt vmcnt(24)
	ds_write_b32 v94, v67 offset:1912
	;; [unrolled: 40-line block ×3, first 2 shown]
	s_waitcnt vmcnt(7)
	ds_write_b32 v94, v84 offset:2176
	s_waitcnt vmcnt(6)
	ds_write_b32 v94, v85 offset:2440
	;; [unrolled: 2-line block ×8, first 2 shown]
	ds_read_b64 v[82:83], v95 offset:64
	ds_read_b64 v[80:81], v95 offset:96
	ds_read_b64 v[78:79], v95 offset:128
	ds_read_b64 v[76:77], v95 offset:160
	ds_read_b64 v[74:75], v95 offset:192
	ds_read_b64 v[72:73], v95 offset:224
	ds_read_b64 v[70:71], v95 offset:256
	ds_read_b64 v[68:69], v95 offset:288
	v_accvgpr_read_b32 v5, a5
	v_accvgpr_read_b32 v4, a4
	;; [unrolled: 1-line block ×10, first 2 shown]
	s_andn2_b64 vcc, exec, s[4:5]
	v_mov_b32_e32 v84, 0
	v_mov_b32_e32 v85, 0
	s_cbranch_vccnz .LBB109_24
; %bb.22:                               ;   in Loop: Header=BB109_21 Depth=1
	ds_read_b32 v86, v100
	v_mov_b32_e32 v85, 0
	v_mov_b32_e32 v84, 0
	s_waitcnt lgkmcnt(0)
	v_cmp_gt_i32_e32 vcc, 0, v86
	s_cbranch_vccnz .LBB109_24
; %bb.23:                               ;   in Loop: Header=BB109_21 Depth=1
	v_mul_lo_u32 v84, v86, s21
	v_add_u32_e32 v84, v96, v84
	v_ashrrev_i32_e32 v85, 31, v84
	v_lshlrev_b64 v[84:85], 2, v[84:85]
	v_mov_b32_e32 v86, s30
	v_add_co_u32_e32 v84, vcc, s27, v84
	v_addc_co_u32_e32 v85, vcc, v86, v85, vcc
	global_load_dwordx2 v[84:85], v[84:85], off
.LBB109_24:                             ;   in Loop: Header=BB109_21 Depth=1
	s_waitcnt vmcnt(0)
	v_cvt_f16_f32_e32 v84, v84
	v_cvt_f16_f32_e32 v85, v85
	s_andn2_b64 vcc, exec, s[6:7]
	v_mov_b32_e32 v86, 0
	v_mov_b32_e32 v87, 0
	v_pack_b32_f16 v84, v84, v85
	ds_write_b32 v94, v84 offset:64
	v_mov_b32_e32 v84, 0
	s_cbranch_vccnz .LBB109_27
; %bb.25:                               ;   in Loop: Header=BB109_21 Depth=1
	ds_read_b32 v85, v100 offset:4
	v_mov_b32_e32 v87, 0
	v_mov_b32_e32 v86, 0
	s_waitcnt lgkmcnt(0)
	v_cmp_gt_i32_e32 vcc, 0, v85
	s_cbranch_vccnz .LBB109_27
; %bb.26:                               ;   in Loop: Header=BB109_21 Depth=1
	v_mul_lo_u32 v85, v85, s21
	v_add_u32_e32 v85, s16, v85
	v_add_u32_e32 v86, v85, v96
	v_ashrrev_i32_e32 v87, 31, v86
	v_lshlrev_b64 v[86:87], 2, v[86:87]
	v_mov_b32_e32 v85, s30
	v_add_co_u32_e32 v86, vcc, s27, v86
	v_addc_co_u32_e32 v87, vcc, v85, v87, vcc
	global_load_dwordx2 v[86:87], v[86:87], off
.LBB109_27:                             ;   in Loop: Header=BB109_21 Depth=1
	s_waitcnt vmcnt(0)
	v_cvt_f16_f32_e32 v85, v86
	v_cvt_f16_f32_e32 v86, v87
	s_andn2_b64 vcc, exec, s[10:11]
	v_pack_b32_f16 v85, v85, v86
	ds_write_b32 v94, v85 offset:328
	v_mov_b32_e32 v85, 0
	s_cbranch_vccnz .LBB109_30
; %bb.28:                               ;   in Loop: Header=BB109_21 Depth=1
	ds_read_b32 v86, v100 offset:8
	v_mov_b32_e32 v85, 0
	v_mov_b32_e32 v84, 0
	s_waitcnt lgkmcnt(0)
	v_cmp_gt_i32_e32 vcc, 0, v86
	s_cbranch_vccnz .LBB109_30
; %bb.29:                               ;   in Loop: Header=BB109_21 Depth=1
	v_mul_lo_u32 v84, v86, s21
	v_add_u32_e32 v84, s31, v84
	v_add_u32_e32 v84, v84, v96
	v_ashrrev_i32_e32 v85, 31, v84
	v_lshlrev_b64 v[84:85], 2, v[84:85]
	v_mov_b32_e32 v86, s30
	v_add_co_u32_e32 v84, vcc, s27, v84
	v_addc_co_u32_e32 v85, vcc, v86, v85, vcc
	global_load_dwordx2 v[84:85], v[84:85], off
.LBB109_30:                             ;   in Loop: Header=BB109_21 Depth=1
	s_waitcnt vmcnt(0)
	v_cvt_f16_f32_e32 v84, v84
	v_cvt_f16_f32_e32 v85, v85
	s_andn2_b64 vcc, exec, s[18:19]
	v_pack_b32_f16 v84, v84, v85
	ds_write_b32 v94, v84 offset:592
	v_mov_b32_e32 v84, 0
	v_mov_b32_e32 v85, 0
	s_cbranch_vccnz .LBB109_20
; %bb.31:                               ;   in Loop: Header=BB109_21 Depth=1
	ds_read_b32 v86, v100 offset:12
	v_mov_b32_e32 v85, 0
	v_mov_b32_e32 v84, 0
	s_waitcnt lgkmcnt(0)
	v_cmp_gt_i32_e32 vcc, 0, v86
	s_cbranch_vccnz .LBB109_20
; %bb.32:                               ;   in Loop: Header=BB109_21 Depth=1
	v_mul_lo_u32 v84, v86, s21
	v_add_u32_e32 v84, s28, v84
	v_add_u32_e32 v84, v84, v96
	v_ashrrev_i32_e32 v85, 31, v84
	v_lshlrev_b64 v[84:85], 2, v[84:85]
	v_mov_b32_e32 v86, s30
	v_add_co_u32_e32 v84, vcc, s27, v84
	v_addc_co_u32_e32 v85, vcc, v86, v85, vcc
	global_load_dwordx2 v[84:85], v[84:85], off
	s_branch .LBB109_20
.LBB109_33:
	s_or_b64 exec, exec, s[14:15]
.LBB109_34:
	s_or_b64 exec, exec, s[0:1]
	v_mul_u32_u24_e32 v0, 0x408, v92
	s_movk_i32 s0, 0x100
	v_lshlrev_b32_e32 v1, 2, v91
	v_add3_u32 v0, s0, v0, v1
	v_and_b32_e32 v2, 0x3f0, v16
	v_add_u32_e32 v3, v0, v2
	s_barrier
	ds_write2_b32 v3, a12, a13 offset0:16 offset1:17
	v_or_b32_e32 v3, 12, v16
	v_add_u32_e32 v1, 64, v0
	v_and_b32_e32 v3, 0x3fc, v3
	v_add_u32_e32 v2, v1, v2
	v_add_u32_e32 v0, v0, v3
	ds_write_b32 v2, a14 offset:8
	ds_write_b32 v0, a15 offset:64
	ds_write2_b32 v2, a4, a5 offset0:16 offset1:17
	ds_write_b32 v2, a6 offset:72
	v_add_u32_e32 v0, v1, v3
	ds_write_b32 v0, a7 offset:64
	ds_write2_b32 v2, a0, a1 offset0:32 offset1:33
	ds_write_b32 v2, a2 offset:136
	ds_write_b32 v0, a3 offset:128
	ds_write2_b32 v2, a8, a9 offset0:48 offset1:49
	ds_write_b32 v2, a10 offset:200
	ds_write_b32 v0, a11 offset:192
	v_mul_u32_u24_e32 v0, 0x408, v17
	v_lshlrev_b32_e32 v1, 2, v16
	v_add3_u32 v0, s0, v0, v1
	s_waitcnt lgkmcnt(0)
	s_barrier
	ds_read2_b32 v[2:3], v0 offset0:16 offset1:80
	ds_read2_b32 v[0:1], v0 offset0:144 offset1:208
	v_cmp_gt_u32_e32 vcc, 4, v17
	v_mov_b32_e32 v4, -1
	s_and_saveexec_b64 s[0:1], vcc
	s_cbranch_execz .LBB109_36
; %bb.35:
	v_add_u32_e32 v4, v88, v89
	ds_read_b32 v4, v4
.LBB109_36:
	s_or_b64 exec, exec, s[0:1]
	s_waitcnt lgkmcnt(0)
	v_cmp_lt_i32_e32 vcc, -1, v4
	v_cmp_gt_i32_e64 s[0:1], s13, v90
	s_and_b64 s[0:1], vcc, s[0:1]
	s_and_saveexec_b64 s[4:5], s[0:1]
	s_cbranch_execz .LBB109_38
; %bb.37:
	v_add_f32_e32 v2, 0, v2
	s_mul_hi_i32 s1, s26, s8
	s_mul_i32 s0, s26, s8
	v_add_f32_e32 v2, v2, v3
	s_lshl_b64 s[0:1], s[0:1], 2
	v_add_f32_e32 v0, v2, v0
	s_mul_hi_i32 s5, s9, s17
	s_mul_i32 s4, s9, s17
	s_add_u32 s2, s2, s0
	v_add_f32_e32 v2, v0, v1
	s_addc_u32 s3, s3, s1
	s_lshl_b64 s[0:1], s[4:5], 2
	v_mul_lo_u32 v0, v4, s22
	v_mul_lo_u32 v1, v17, s17
	v_add_u32_e32 v3, s23, v16
	s_add_u32 s0, s2, s0
	v_add3_u32 v0, v3, v1, v0
	v_mov_b32_e32 v1, 0
	s_addc_u32 s1, s3, s1
	v_lshlrev_b64 v[0:1], 2, v[0:1]
	v_mov_b32_e32 v3, s1
	v_add_co_u32_e32 v0, vcc, s0, v0
	v_addc_co_u32_e32 v1, vcc, v3, v1, vcc
	global_store_dword v[0:1], v2, off
.LBB109_38:
	s_endpgm
	.section	.rodata,"a",@progbits
	.p2align	6, 0x0
	.amdhsa_kernel _ZL9mul_mat_fI7__half2Li64ELi4ELi4ELb1EEvPKT_PKfPKiPfiiiiiiiiiiiiiiii
		.amdhsa_group_segment_fixed_size 256
		.amdhsa_private_segment_fixed_size 0
		.amdhsa_kernarg_size 352
		.amdhsa_user_sgpr_count 6
		.amdhsa_user_sgpr_private_segment_buffer 1
		.amdhsa_user_sgpr_dispatch_ptr 0
		.amdhsa_user_sgpr_queue_ptr 0
		.amdhsa_user_sgpr_kernarg_segment_ptr 1
		.amdhsa_user_sgpr_dispatch_id 0
		.amdhsa_user_sgpr_flat_scratch_init 0
		.amdhsa_user_sgpr_kernarg_preload_length 0
		.amdhsa_user_sgpr_kernarg_preload_offset 0
		.amdhsa_user_sgpr_private_segment_size 0
		.amdhsa_uses_dynamic_stack 0
		.amdhsa_system_sgpr_private_segment_wavefront_offset 0
		.amdhsa_system_sgpr_workgroup_id_x 1
		.amdhsa_system_sgpr_workgroup_id_y 1
		.amdhsa_system_sgpr_workgroup_id_z 1
		.amdhsa_system_sgpr_workgroup_info 0
		.amdhsa_system_vgpr_workitem_id 2
		.amdhsa_next_free_vgpr 128
		.amdhsa_next_free_sgpr 93
		.amdhsa_accum_offset 108
		.amdhsa_reserve_vcc 1
		.amdhsa_reserve_flat_scratch 0
		.amdhsa_float_round_mode_32 0
		.amdhsa_float_round_mode_16_64 0
		.amdhsa_float_denorm_mode_32 3
		.amdhsa_float_denorm_mode_16_64 3
		.amdhsa_dx10_clamp 1
		.amdhsa_ieee_mode 1
		.amdhsa_fp16_overflow 0
		.amdhsa_tg_split 0
		.amdhsa_exception_fp_ieee_invalid_op 0
		.amdhsa_exception_fp_denorm_src 0
		.amdhsa_exception_fp_ieee_div_zero 0
		.amdhsa_exception_fp_ieee_overflow 0
		.amdhsa_exception_fp_ieee_underflow 0
		.amdhsa_exception_fp_ieee_inexact 0
		.amdhsa_exception_int_div_zero 0
	.end_amdhsa_kernel
	.section	.text._ZL9mul_mat_fI7__half2Li64ELi4ELi4ELb1EEvPKT_PKfPKiPfiiiiiiiiiiiiiiii,"axG",@progbits,_ZL9mul_mat_fI7__half2Li64ELi4ELi4ELb1EEvPKT_PKfPKiPfiiiiiiiiiiiiiiii,comdat
.Lfunc_end109:
	.size	_ZL9mul_mat_fI7__half2Li64ELi4ELi4ELb1EEvPKT_PKfPKiPfiiiiiiiiiiiiiiii, .Lfunc_end109-_ZL9mul_mat_fI7__half2Li64ELi4ELi4ELb1EEvPKT_PKfPKiPfiiiiiiiiiiiiiiii
                                        ; -- End function
	.section	.AMDGPU.csdata,"",@progbits
; Kernel info:
; codeLenInByte = 6536
; NumSgprs: 97
; NumVgprs: 105
; NumAgprs: 20
; TotalNumVgprs: 128
; ScratchSize: 0
; MemoryBound: 0
; FloatMode: 240
; IeeeMode: 1
; LDSByteSize: 256 bytes/workgroup (compile time only)
; SGPRBlocks: 12
; VGPRBlocks: 15
; NumSGPRsForWavesPerEU: 97
; NumVGPRsForWavesPerEU: 128
; AccumOffset: 108
; Occupancy: 4
; WaveLimiterHint : 0
; COMPUTE_PGM_RSRC2:SCRATCH_EN: 0
; COMPUTE_PGM_RSRC2:USER_SGPR: 6
; COMPUTE_PGM_RSRC2:TRAP_HANDLER: 0
; COMPUTE_PGM_RSRC2:TGID_X_EN: 1
; COMPUTE_PGM_RSRC2:TGID_Y_EN: 1
; COMPUTE_PGM_RSRC2:TGID_Z_EN: 1
; COMPUTE_PGM_RSRC2:TIDIG_COMP_CNT: 2
; COMPUTE_PGM_RSRC3_GFX90A:ACCUM_OFFSET: 26
; COMPUTE_PGM_RSRC3_GFX90A:TG_SPLIT: 0
	.section	.text._ZL9mul_mat_fI7__half2Li64ELi4ELi4ELb0EEvPKT_PKfPKiPfiiiiiiiiiiiiiiii,"axG",@progbits,_ZL9mul_mat_fI7__half2Li64ELi4ELi4ELb0EEvPKT_PKfPKiPfiiiiiiiiiiiiiiii,comdat
	.globl	_ZL9mul_mat_fI7__half2Li64ELi4ELi4ELb0EEvPKT_PKfPKiPfiiiiiiiiiiiiiiii ; -- Begin function _ZL9mul_mat_fI7__half2Li64ELi4ELi4ELb0EEvPKT_PKfPKiPfiiiiiiiiiiiiiiii
	.p2align	8
	.type	_ZL9mul_mat_fI7__half2Li64ELi4ELi4ELb0EEvPKT_PKfPKiPfiiiiiiiiiiiiiiii,@function
_ZL9mul_mat_fI7__half2Li64ELi4ELi4ELb0EEvPKT_PKfPKiPfiiiiiiiiiiiiiiii: ; @_ZL9mul_mat_fI7__half2Li64ELi4ELi4ELb0EEvPKT_PKfPKiPfiiiiiiiiiiiiiiii
; %bb.0:
	s_load_dwordx8 s[12:19], s[4:5], 0x40
	s_load_dword s9, s[4:5], 0x20
	s_load_dwordx4 s[0:3], s[4:5], 0x2c
	v_bfe_u32 v88, v0, 10, 10
	v_lshlrev_b32_e32 v90, 6, v88
	v_and_b32_e32 v89, 0x3ff, v0
	s_waitcnt lgkmcnt(0)
	s_abs_i32 s27, s12
	s_abs_i32 s26, s16
	v_cvt_f32_u32_e32 v1, s27
	v_cvt_f32_u32_e32 v2, s26
	v_add_u32_e32 v93, v90, v89
	s_mov_b32 s22, 0
	v_rcp_iflag_f32_e32 v1, v1
	v_rcp_iflag_f32_e32 v2, v2
	s_ashr_i32 s28, s8, 31
	v_cmp_le_i32_e32 vcc, s9, v93
	v_mul_f32_e32 v1, 0x4f7ffffe, v1
	v_mul_f32_e32 v2, 0x4f7ffffe, v2
	v_cvt_u32_f32_e32 v1, v1
	v_cvt_u32_f32_e32 v2, v2
	v_and_b32_e32 v91, 15, v89
	v_readfirstlane_b32 s21, v1
	v_readfirstlane_b32 s20, v2
	s_and_saveexec_b64 s[10:11], vcc
	s_xor_b64 s[10:11], exec, s[10:11]
; %bb.1:
	v_and_b32_e32 v91, 15, v89
                                        ; implicit-def: $vgpr93
; %bb.2:
	s_or_saveexec_b64 s[24:25], s[10:11]
	s_load_dwordx2 s[10:11], s[4:5], 0x18
	s_lshl_b32 s3, s6, 6
	v_accvgpr_write_b32 a0, s22
	v_accvgpr_write_b32 a1, s22
	v_accvgpr_write_b32 a2, s22
	v_accvgpr_write_b32 a3, s22
	v_accvgpr_write_b32 a4, s22
	v_accvgpr_write_b32 a5, s22
	v_accvgpr_write_b32 a6, s22
	v_accvgpr_write_b32 a7, s22
	v_accvgpr_write_b32 a8, s22
	v_accvgpr_write_b32 a9, s22
	v_accvgpr_write_b32 a10, s22
	v_accvgpr_write_b32 a11, s22
	v_accvgpr_write_b32 a12, s22
	v_accvgpr_write_b32 a13, s22
	v_accvgpr_write_b32 a14, s22
	v_accvgpr_write_b32 a15, s22
	v_lshlrev_b32_e32 v92, 2, v89
	s_xor_b64 exec, exec, s[24:25]
	s_cbranch_execz .LBB110_6
; %bb.3:
	s_sub_i32 s6, 0, s27
	s_sub_i32 s22, 0, s26
	s_mul_i32 s6, s6, s21
	s_mul_i32 s22, s22, s20
	s_mul_hi_u32 s6, s21, s6
	s_mul_hi_u32 s22, s20, s22
	s_abs_i32 s29, s7
	s_add_i32 s6, s21, s6
	s_add_i32 s31, s20, s22
	s_load_dwordx4 s[20:23], s[4:5], 0x0
	s_mul_hi_u32 s4, s29, s6
	s_ashr_i32 s6, s7, 31
	s_ashr_i32 s12, s12, 31
	s_xor_b32 s6, s6, s12
	s_mul_i32 s12, s4, s27
	s_abs_i32 s30, s8
	s_sub_i32 s12, s29, s12
	s_mul_hi_u32 s5, s30, s31
	s_ashr_i32 s16, s16, 31
	s_add_i32 s29, s4, 1
	s_sub_i32 s31, s12, s27
	s_cmp_ge_u32 s12, s27
	s_cselect_b32 s4, s29, s4
	s_cselect_b32 s12, s31, s12
	s_add_i32 s29, s4, 1
	s_cmp_ge_u32 s12, s27
	s_cselect_b32 s4, s29, s4
	s_mul_i32 s12, s5, s26
	s_xor_b32 s4, s4, s6
	s_sub_i32 s12, s30, s12
	s_sub_i32 s6, s4, s6
	s_xor_b32 s4, s28, s16
	s_add_i32 s16, s5, 1
	s_sub_i32 s27, s12, s26
	s_cmp_ge_u32 s12, s26
	s_cselect_b32 s5, s16, s5
	s_cselect_b32 s12, s27, s12
	s_add_i32 s16, s5, 1
	s_cmp_ge_u32 s12, s26
	s_cselect_b32 s5, s16, s5
	s_xor_b32 s5, s5, s4
	s_sub_i32 s4, s5, s4
	s_mul_hi_i32 s5, s4, s17
	s_mul_i32 s4, s4, s17
	s_mul_i32 s12, s6, s13
	s_ashr_i32 s13, s12, 31
	s_lshl_b64 s[26:27], s[4:5], 2
	s_mul_i32 s16, s3, s0
	s_waitcnt lgkmcnt(0)
	s_add_u32 s6, s20, s26
	s_addc_u32 s29, s21, s27
	s_ashr_i32 s17, s16, 31
	s_lshl_b64 s[16:17], s[16:17], 2
	s_lshl_b64 s[12:13], s[12:13], 2
	s_mul_hi_i32 s5, s18, s8
	s_mul_i32 s4, s18, s8
	s_add_u32 s18, s12, s16
	s_addc_u32 s30, s13, s17
	s_mul_i32 s28, s7, s14
	s_add_u32 s6, s18, s6
	s_addc_u32 s73, s30, s29
	s_ashr_i32 s29, s28, 31
	s_lshl_b64 s[16:17], s[4:5], 2
	s_lshl_b64 s[4:5], s[28:29], 2
	s_add_u32 s22, s22, s4
	s_addc_u32 s23, s23, s5
	s_add_u32 s14, s22, s16
	s_movk_i32 s4, 0x1080
	s_addc_u32 s74, s23, s17
	v_mad_u32_u24 v0, v88, s4, 0
	s_ashr_i32 s5, s0, 31
	s_mov_b32 s4, s0
	v_lshrrev_b32_e32 v2, 1, v89
	s_ashr_i32 s13, s1, 31
	s_lshl_b64 s[4:5], s[4:5], 2
	v_mul_u32_u24_e32 v1, 0x108, v91
	v_and_b32_e32 v2, 0x1f8, v2
	s_add_u32 s18, s18, s26
	v_add_u32_e32 v94, v0, v92
	v_add3_u32 v95, v0, v1, v2
	v_lshlrev_b32_e32 v0, 8, v88
	s_addc_u32 s26, s30, s27
	v_mov_b32_e32 v1, s26
	v_add_co_u32_e32 v0, vcc, s18, v0
	v_addc_co_u32_e32 v1, vcc, 0, v1, vcc
	v_add_co_u32_e32 v0, vcc, v0, v92
	v_addc_co_u32_e32 v1, vcc, 0, v1, vcc
	v_mov_b32_e32 v2, s21
	v_add_co_u32_e32 v16, vcc, s20, v0
	v_addc_co_u32_e32 v17, vcc, v2, v1, vcc
	v_lshlrev_b32_e32 v0, 9, v88
	v_mov_b32_e32 v1, s17
	v_add_co_u32_e32 v0, vcc, s16, v0
	v_addc_co_u32_e32 v1, vcc, 0, v1, vcc
	v_lshlrev_b32_e32 v2, 3, v89
	v_add_co_u32_e32 v0, vcc, v0, v2
	s_mov_b32 s12, s1
	v_addc_co_u32_e32 v1, vcc, 0, v1, vcc
	s_lshl_b64 s[12:13], s[12:13], 3
	v_mov_b32_e32 v2, s23
	v_add_co_u32_e32 v18, vcc, s22, v0
	v_addc_co_u32_e32 v19, vcc, v2, v1, vcc
	s_mul_i32 s16, s0, 63
	s_lshl_b32 s17, s1, 1
	s_mul_i32 s18, s1, 3
	s_lshl_b32 s20, s0, 1
	;; [unrolled: 2-line block ×3, first 2 shown]
	s_mul_i32 s23, s0, 5
	s_mul_i32 s26, s0, 6
	;; [unrolled: 1-line block ×3, first 2 shown]
	s_lshl_b32 s28, s0, 3
	s_mul_i32 s29, s0, 9
	s_mul_i32 s30, s0, 10
	;; [unrolled: 1-line block ×7, first 2 shown]
	s_lshl_b32 s37, s0, 4
	s_mul_i32 s38, s0, 17
	s_mul_i32 s39, s0, 18
	;; [unrolled: 1-line block ×15, first 2 shown]
	s_lshl_b32 s53, s0, 5
	s_mul_i32 s54, s0, 33
	s_mul_i32 s55, s0, 34
	;; [unrolled: 1-line block ×19, first 2 shown]
	v_mov_b32_e32 v96, s73
	s_mul_i32 s73, s0, 52
	v_mov_b32_e32 v97, s74
	s_mul_i32 s74, s0, 53
	v_mov_b32_e32 v98, 0
	v_accvgpr_write_b32 a15, 0
	v_accvgpr_write_b32 a14, 0
	;; [unrolled: 1-line block ×16, first 2 shown]
	v_mov_b32_e32 v99, s5
	v_mov_b32_e32 v100, s13
	s_mul_i32 s5, s0, 54
	s_mul_i32 s13, s0, 55
	;; [unrolled: 1-line block ×9, first 2 shown]
	s_mov_b64 s[0:1], 0
.LBB110_4:                              ; =>This Inner Loop Header: Depth=1
	global_load_dword v20, v[16:17], off
	v_add_u32_e32 v36, s37, v93
	v_ashrrev_i32_e32 v37, 31, v36
	v_lshlrev_b64 v[36:37], 2, v[36:37]
	v_add_u32_e32 v52, s53, v93
	v_ashrrev_i32_e32 v53, 31, v52
	v_lshlrev_b64 v[52:53], 2, v[52:53]
	v_add_u32_e32 v68, s69, v93
	v_ashrrev_i32_e32 v69, 31, v68
	v_lshlrev_b64 v[68:69], 2, v[68:69]
	v_accvgpr_read_b32 v0, a12
	v_accvgpr_read_b32 v4, a8
	;; [unrolled: 1-line block ×16, first 2 shown]
	v_accvgpr_write_b32 a0, v0
	v_accvgpr_write_b32 a4, v4
	;; [unrolled: 1-line block ×16, first 2 shown]
	s_waitcnt vmcnt(0)
	ds_write_b32 v94, v20
	v_add_co_u32_e32 v20, vcc, s4, v16
	v_addc_co_u32_e32 v21, vcc, v17, v99, vcc
	global_load_dword v20, v[20:21], off
	s_waitcnt vmcnt(0)
	ds_write_b32 v94, v20 offset:264
	v_add_u32_e32 v20, s20, v93
	v_ashrrev_i32_e32 v21, 31, v20
	v_lshlrev_b64 v[20:21], 2, v[20:21]
	v_add_co_u32_e32 v20, vcc, s6, v20
	v_addc_co_u32_e32 v21, vcc, v96, v21, vcc
	global_load_dword v20, v[20:21], off
	s_waitcnt vmcnt(0)
	ds_write_b32 v94, v20 offset:528
	v_add_u32_e32 v20, s21, v93
	v_ashrrev_i32_e32 v21, 31, v20
	v_lshlrev_b64 v[20:21], 2, v[20:21]
	;; [unrolled: 8-line block ×14, first 2 shown]
	v_add_co_u32_e32 v20, vcc, s6, v20
	v_addc_co_u32_e32 v21, vcc, v96, v21, vcc
	global_load_dword v20, v[20:21], off
	v_add_co_u32_e32 v36, vcc, s6, v36
	v_addc_co_u32_e32 v37, vcc, v96, v37, vcc
	s_waitcnt vmcnt(0)
	ds_write_b32 v94, v20 offset:3960
	ds_read_b64 v[34:35], v95
	ds_read_b64 v[32:33], v95 offset:32
	ds_read_b64 v[30:31], v95 offset:64
	ds_read_b64 v[28:29], v95 offset:96
	ds_read_b64 v[26:27], v95 offset:128
	ds_read_b64 v[24:25], v95 offset:160
	ds_read_b64 v[22:23], v95 offset:192
	ds_read_b64 v[20:21], v95 offset:224
	global_load_dword v36, v[36:37], off
	s_waitcnt vmcnt(0)
	ds_write_b32 v94, v36
	v_add_u32_e32 v36, s38, v93
	v_ashrrev_i32_e32 v37, 31, v36
	v_lshlrev_b64 v[36:37], 2, v[36:37]
	v_add_co_u32_e32 v36, vcc, s6, v36
	v_addc_co_u32_e32 v37, vcc, v96, v37, vcc
	global_load_dword v36, v[36:37], off
	s_waitcnt vmcnt(0)
	ds_write_b32 v94, v36 offset:264
	v_add_u32_e32 v36, s39, v93
	v_ashrrev_i32_e32 v37, 31, v36
	v_lshlrev_b64 v[36:37], 2, v[36:37]
	v_add_co_u32_e32 v36, vcc, s6, v36
	v_addc_co_u32_e32 v37, vcc, v96, v37, vcc
	global_load_dword v36, v[36:37], off
	s_waitcnt vmcnt(0)
	ds_write_b32 v94, v36 offset:528
	;; [unrolled: 8-line block ×14, first 2 shown]
	v_add_u32_e32 v36, s52, v93
	v_ashrrev_i32_e32 v37, 31, v36
	v_lshlrev_b64 v[36:37], 2, v[36:37]
	v_add_co_u32_e32 v36, vcc, s6, v36
	v_addc_co_u32_e32 v37, vcc, v96, v37, vcc
	global_load_dword v36, v[36:37], off
	v_add_co_u32_e32 v52, vcc, s6, v52
	v_addc_co_u32_e32 v53, vcc, v96, v53, vcc
	s_waitcnt vmcnt(0)
	ds_write_b32 v94, v36 offset:3960
	ds_read_b64 v[50:51], v95
	ds_read_b64 v[48:49], v95 offset:32
	ds_read_b64 v[46:47], v95 offset:64
	;; [unrolled: 1-line block ×7, first 2 shown]
	global_load_dword v52, v[52:53], off
	s_waitcnt vmcnt(0)
	ds_write_b32 v94, v52
	v_add_u32_e32 v52, s54, v93
	v_ashrrev_i32_e32 v53, 31, v52
	v_lshlrev_b64 v[52:53], 2, v[52:53]
	v_add_co_u32_e32 v52, vcc, s6, v52
	v_addc_co_u32_e32 v53, vcc, v96, v53, vcc
	global_load_dword v52, v[52:53], off
	s_waitcnt vmcnt(0)
	ds_write_b32 v94, v52 offset:264
	v_add_u32_e32 v52, s55, v93
	v_ashrrev_i32_e32 v53, 31, v52
	v_lshlrev_b64 v[52:53], 2, v[52:53]
	v_add_co_u32_e32 v52, vcc, s6, v52
	v_addc_co_u32_e32 v53, vcc, v96, v53, vcc
	global_load_dword v52, v[52:53], off
	s_waitcnt vmcnt(0)
	ds_write_b32 v94, v52 offset:528
	;; [unrolled: 8-line block ×14, first 2 shown]
	v_add_u32_e32 v52, s68, v93
	v_ashrrev_i32_e32 v53, 31, v52
	v_lshlrev_b64 v[52:53], 2, v[52:53]
	v_add_co_u32_e32 v52, vcc, s6, v52
	v_addc_co_u32_e32 v53, vcc, v96, v53, vcc
	global_load_dword v52, v[52:53], off
	v_add_co_u32_e32 v68, vcc, s6, v68
	v_addc_co_u32_e32 v69, vcc, v96, v69, vcc
	s_waitcnt vmcnt(0)
	ds_write_b32 v94, v52 offset:3960
	ds_read_b64 v[66:67], v95
	ds_read_b64 v[64:65], v95 offset:32
	ds_read_b64 v[62:63], v95 offset:64
	;; [unrolled: 1-line block ×7, first 2 shown]
	global_load_dword v68, v[68:69], off
	s_waitcnt vmcnt(0)
	ds_write_b32 v94, v68
	v_add_u32_e32 v68, s70, v93
	v_ashrrev_i32_e32 v69, 31, v68
	v_lshlrev_b64 v[68:69], 2, v[68:69]
	v_add_co_u32_e32 v68, vcc, s6, v68
	v_addc_co_u32_e32 v69, vcc, v96, v69, vcc
	global_load_dword v68, v[68:69], off
	s_waitcnt vmcnt(0)
	ds_write_b32 v94, v68 offset:264
	v_add_u32_e32 v68, s71, v93
	v_ashrrev_i32_e32 v69, 31, v68
	v_lshlrev_b64 v[68:69], 2, v[68:69]
	v_add_co_u32_e32 v68, vcc, s6, v68
	v_addc_co_u32_e32 v69, vcc, v96, v69, vcc
	global_load_dword v68, v[68:69], off
	s_waitcnt vmcnt(0)
	ds_write_b32 v94, v68 offset:528
	;; [unrolled: 8-line block ×15, first 2 shown]
	ds_read_b64 v[82:83], v95
	ds_read_b64 v[80:81], v95 offset:32
	ds_read_b64 v[78:79], v95 offset:64
	;; [unrolled: 1-line block ×7, first 2 shown]
	global_load_dwordx2 v[84:85], v[18:19], off
	s_waitcnt vmcnt(0)
	v_cvt_f16_f32_e32 v84, v84
	v_cvt_f16_f32_e32 v85, v85
	v_pack_b32_f16 v84, v84, v85
	ds_write_b32 v94, v84
	v_add_co_u32_e32 v84, vcc, s12, v18
	v_addc_co_u32_e32 v85, vcc, v19, v100, vcc
	global_load_dwordx2 v[84:85], v[84:85], off
	s_waitcnt vmcnt(0)
	v_cvt_f16_f32_e32 v84, v84
	v_cvt_f16_f32_e32 v85, v85
	v_pack_b32_f16 v84, v84, v85
	ds_write_b32 v94, v84 offset:264
	v_add_u32_e32 v84, s17, v93
	v_ashrrev_i32_e32 v85, 31, v84
	v_lshlrev_b64 v[84:85], 3, v[84:85]
	v_add_co_u32_e32 v84, vcc, s14, v84
	v_addc_co_u32_e32 v85, vcc, v97, v85, vcc
	global_load_dwordx2 v[84:85], v[84:85], off
	s_waitcnt vmcnt(0)
	v_cvt_f16_f32_e32 v84, v84
	v_cvt_f16_f32_e32 v85, v85
	v_pack_b32_f16 v84, v84, v85
	ds_write_b32 v94, v84 offset:528
	v_add_u32_e32 v84, s18, v93
	v_ashrrev_i32_e32 v85, 31, v84
	v_lshlrev_b64 v[84:85], 3, v[84:85]
	v_add_co_u32_e32 v84, vcc, s14, v84
	v_addc_co_u32_e32 v85, vcc, v97, v85, vcc
	global_load_dwordx2 v[84:85], v[84:85], off
	v_add_co_u32_e32 v16, vcc, 0x400, v16
	v_addc_co_u32_e32 v17, vcc, 0, v17, vcc
	v_add_co_u32_e32 v18, vcc, 0x800, v18
	v_add_u32_e32 v93, 0x100, v93
	v_addc_co_u32_e32 v19, vcc, 0, v19, vcc
	v_cmp_le_i32_e32 vcc, s9, v93
	s_or_b64 s[0:1], vcc, s[0:1]
	s_waitcnt vmcnt(0)
	v_cvt_f16_f32_e32 v84, v84
	v_cvt_f16_f32_e32 v85, v85
	v_pack_b32_f16 v84, v84, v85
	ds_write_b32 v94, v84 offset:792
	ds_write_b32 v94, v98 offset:1056
	;; [unrolled: 1-line block ×13, first 2 shown]
	ds_read_b64 v[86:87], v95
	ds_read_b64 v[84:85], v95 offset:32
	s_waitcnt lgkmcnt(1)
	v_mfma_f32_16x16x16f16 a[0:3], v[34:35], v[86:87], a[0:3]
	ds_read_b64 v[0:1], v95 offset:64
	v_mfma_f32_16x16x16f16 a[4:7], v[50:51], v[86:87], a[4:7]
	v_mfma_f32_16x16x16f16 a[8:11], v[66:67], v[86:87], a[8:11]
	;; [unrolled: 1-line block ×3, first 2 shown]
	s_waitcnt lgkmcnt(1)
	v_mfma_f32_16x16x16f16 a[0:3], v[32:33], v[84:85], a[0:3]
	v_mfma_f32_16x16x16f16 a[4:7], v[48:49], v[84:85], a[4:7]
	;; [unrolled: 1-line block ×4, first 2 shown]
	s_waitcnt lgkmcnt(0)
	v_mfma_f32_16x16x16f16 a[0:3], v[30:31], v[0:1], a[0:3]
	v_mfma_f32_16x16x16f16 a[4:7], v[46:47], v[0:1], a[4:7]
	v_mfma_f32_16x16x16f16 a[8:11], v[62:63], v[0:1], a[8:11]
	v_mfma_f32_16x16x16f16 a[12:15], v[78:79], v[0:1], a[12:15]
	ds_read_b64 v[0:1], v95 offset:96
	s_waitcnt lgkmcnt(0)
	v_mfma_f32_16x16x16f16 a[0:3], v[28:29], v[0:1], a[0:3]
	v_mfma_f32_16x16x16f16 a[4:7], v[44:45], v[0:1], a[4:7]
	v_mfma_f32_16x16x16f16 a[8:11], v[60:61], v[0:1], a[8:11]
	v_mfma_f32_16x16x16f16 a[12:15], v[76:77], v[0:1], a[12:15]
	ds_read_b64 v[0:1], v95 offset:128
	;; [unrolled: 6-line block ×5, first 2 shown]
	s_waitcnt lgkmcnt(0)
	v_mfma_f32_16x16x16f16 a[12:15], v[20:21], v[0:1], a[0:3]
	v_mfma_f32_16x16x16f16 a[8:11], v[36:37], v[0:1], a[4:7]
	;; [unrolled: 1-line block ×4, first 2 shown]
	s_andn2_b64 exec, exec, s[0:1]
	s_cbranch_execnz .LBB110_4
; %bb.5:
	s_or_b64 exec, exec, s[0:1]
.LBB110_6:
	s_or_b64 exec, exec, s[24:25]
	v_mul_u32_u24_e32 v0, 0x408, v91
	v_lshlrev_b32_e32 v1, 2, v90
	v_or_b32_e32 v2, 12, v89
	v_add3_u32 v0, 0, v0, v1
	v_and_b32_e32 v1, 0x3f0, v89
	v_and_b32_e32 v2, 0x3fc, v2
	v_add_u32_e32 v1, v0, v1
	v_add_u32_e32 v0, v0, v2
	s_waitcnt lgkmcnt(0)
	s_barrier
	ds_write2_b32 v1, a12, a13 offset1:1
	ds_write_b32 v1, a14 offset:8
	ds_write_b32 v0, a15
	ds_write2_b32 v1, a8, a9 offset0:16 offset1:17
	ds_write_b32 v1, a10 offset:72
	ds_write_b32 v0, a11 offset:64
	ds_write2_b32 v1, a4, a5 offset0:32 offset1:33
	ds_write_b32 v1, a6 offset:136
	ds_write_b32 v0, a7 offset:128
	;; [unrolled: 3-line block ×3, first 2 shown]
	v_mul_u32_u24_e32 v0, 0x408, v88
	v_add3_u32 v2, 0, v0, v92
	s_waitcnt lgkmcnt(0)
	s_barrier
	ds_read2st64_b32 v[0:1], v2 offset1:1
	ds_read2st64_b32 v[2:3], v2 offset0:2 offset1:3
	s_mul_hi_i32 s1, s19, s8
	s_mul_i32 s0, s19, s8
	s_lshl_b64 s[0:1], s[0:1], 2
	s_waitcnt lgkmcnt(1)
	v_add_f32_e32 v0, 0, v0
	v_add_f32_e32 v0, v0, v1
	s_add_u32 s4, s10, s0
	s_mul_i32 s0, s7, s15
	s_waitcnt lgkmcnt(0)
	v_add_f32_e32 v0, v0, v2
	s_addc_u32 s5, s11, s1
	s_ashr_i32 s1, s0, 31
	v_add_f32_e32 v2, v0, v3
	s_lshl_b64 s[0:1], s[0:1], 2
	v_mul_lo_u32 v0, v88, s2
	s_add_u32 s0, s4, s0
	v_add3_u32 v0, s3, v89, v0
	v_mov_b32_e32 v1, 0
	s_addc_u32 s1, s5, s1
	v_lshlrev_b64 v[0:1], 2, v[0:1]
	v_mov_b32_e32 v3, s1
	v_add_co_u32_e32 v0, vcc, s0, v0
	v_addc_co_u32_e32 v1, vcc, v3, v1, vcc
	global_store_dword v[0:1], v2, off
	s_endpgm
	.section	.rodata,"a",@progbits
	.p2align	6, 0x0
	.amdhsa_kernel _ZL9mul_mat_fI7__half2Li64ELi4ELi4ELb0EEvPKT_PKfPKiPfiiiiiiiiiiiiiiii
		.amdhsa_group_segment_fixed_size 0
		.amdhsa_private_segment_fixed_size 0
		.amdhsa_kernarg_size 96
		.amdhsa_user_sgpr_count 6
		.amdhsa_user_sgpr_private_segment_buffer 1
		.amdhsa_user_sgpr_dispatch_ptr 0
		.amdhsa_user_sgpr_queue_ptr 0
		.amdhsa_user_sgpr_kernarg_segment_ptr 1
		.amdhsa_user_sgpr_dispatch_id 0
		.amdhsa_user_sgpr_flat_scratch_init 0
		.amdhsa_user_sgpr_kernarg_preload_length 0
		.amdhsa_user_sgpr_kernarg_preload_offset 0
		.amdhsa_user_sgpr_private_segment_size 0
		.amdhsa_uses_dynamic_stack 0
		.amdhsa_system_sgpr_private_segment_wavefront_offset 0
		.amdhsa_system_sgpr_workgroup_id_x 1
		.amdhsa_system_sgpr_workgroup_id_y 1
		.amdhsa_system_sgpr_workgroup_id_z 1
		.amdhsa_system_sgpr_workgroup_info 0
		.amdhsa_system_vgpr_workitem_id 1
		.amdhsa_next_free_vgpr 128
		.amdhsa_next_free_sgpr 82
		.amdhsa_accum_offset 104
		.amdhsa_reserve_vcc 1
		.amdhsa_reserve_flat_scratch 0
		.amdhsa_float_round_mode_32 0
		.amdhsa_float_round_mode_16_64 0
		.amdhsa_float_denorm_mode_32 3
		.amdhsa_float_denorm_mode_16_64 3
		.amdhsa_dx10_clamp 1
		.amdhsa_ieee_mode 1
		.amdhsa_fp16_overflow 0
		.amdhsa_tg_split 0
		.amdhsa_exception_fp_ieee_invalid_op 0
		.amdhsa_exception_fp_denorm_src 0
		.amdhsa_exception_fp_ieee_div_zero 0
		.amdhsa_exception_fp_ieee_overflow 0
		.amdhsa_exception_fp_ieee_underflow 0
		.amdhsa_exception_fp_ieee_inexact 0
		.amdhsa_exception_int_div_zero 0
	.end_amdhsa_kernel
	.section	.text._ZL9mul_mat_fI7__half2Li64ELi4ELi4ELb0EEvPKT_PKfPKiPfiiiiiiiiiiiiiiii,"axG",@progbits,_ZL9mul_mat_fI7__half2Li64ELi4ELi4ELb0EEvPKT_PKfPKiPfiiiiiiiiiiiiiiii,comdat
.Lfunc_end110:
	.size	_ZL9mul_mat_fI7__half2Li64ELi4ELi4ELb0EEvPKT_PKfPKiPfiiiiiiiiiiiiiiii, .Lfunc_end110-_ZL9mul_mat_fI7__half2Li64ELi4ELi4ELb0EEvPKT_PKfPKiPfiiiiiiiiiiiiiiii
                                        ; -- End function
	.section	.AMDGPU.csdata,"",@progbits
; Kernel info:
; codeLenInByte = 5428
; NumSgprs: 86
; NumVgprs: 101
; NumAgprs: 24
; TotalNumVgprs: 128
; ScratchSize: 0
; MemoryBound: 0
; FloatMode: 240
; IeeeMode: 1
; LDSByteSize: 0 bytes/workgroup (compile time only)
; SGPRBlocks: 10
; VGPRBlocks: 15
; NumSGPRsForWavesPerEU: 86
; NumVGPRsForWavesPerEU: 128
; AccumOffset: 104
; Occupancy: 4
; WaveLimiterHint : 0
; COMPUTE_PGM_RSRC2:SCRATCH_EN: 0
; COMPUTE_PGM_RSRC2:USER_SGPR: 6
; COMPUTE_PGM_RSRC2:TRAP_HANDLER: 0
; COMPUTE_PGM_RSRC2:TGID_X_EN: 1
; COMPUTE_PGM_RSRC2:TGID_Y_EN: 1
; COMPUTE_PGM_RSRC2:TGID_Z_EN: 1
; COMPUTE_PGM_RSRC2:TIDIG_COMP_CNT: 1
; COMPUTE_PGM_RSRC3_GFX90A:ACCUM_OFFSET: 25
; COMPUTE_PGM_RSRC3_GFX90A:TG_SPLIT: 0
	.section	.text._ZL13mul_mat_f_idsI7__half2Li64ELi4ELi5EEvPKT_PKfPKiS7_S7_Pfiiiiiiiiiiiiii15HIP_vector_typeIjLj3EESA_,"axG",@progbits,_ZL13mul_mat_f_idsI7__half2Li64ELi4ELi5EEvPKT_PKfPKiS7_S7_Pfiiiiiiiiiiiiii15HIP_vector_typeIjLj3EESA_,comdat
	.globl	_ZL13mul_mat_f_idsI7__half2Li64ELi4ELi5EEvPKT_PKfPKiS7_S7_Pfiiiiiiiiiiiiii15HIP_vector_typeIjLj3EESA_ ; -- Begin function _ZL13mul_mat_f_idsI7__half2Li64ELi4ELi5EEvPKT_PKfPKiS7_S7_Pfiiiiiiiiiiiiii15HIP_vector_typeIjLj3EESA_
	.p2align	8
	.type	_ZL13mul_mat_f_idsI7__half2Li64ELi4ELi5EEvPKT_PKfPKiS7_S7_Pfiiiiiiiiiiiiii15HIP_vector_typeIjLj3EESA_,@function
_ZL13mul_mat_f_idsI7__half2Li64ELi4ELi5EEvPKT_PKfPKiS7_S7_Pfiiiiiiiiiiiiii15HIP_vector_typeIjLj3EESA_: ; @_ZL13mul_mat_f_idsI7__half2Li64ELi4ELi5EEvPKT_PKfPKiS7_S7_Pfiiiiiiiiiiiiii15HIP_vector_typeIjLj3EESA_
; %bb.0:
	s_load_dwordx2 s[0:1], s[4:5], 0x20
	s_mov_b32 s34, s7
	s_ashr_i32 s35, s7, 31
	s_lshl_b64 s[2:3], s[34:35], 2
	s_waitcnt lgkmcnt(0)
	s_add_u32 s0, s0, s2
	s_addc_u32 s1, s1, s3
	s_load_dwordx2 s[26:27], s[0:1], 0x0
	s_waitcnt lgkmcnt(0)
	s_sub_i32 s33, s27, s26
	s_add_i32 s0, s33, 3
	s_ashr_i32 s1, s0, 31
	s_lshr_b32 s1, s1, 30
	s_add_i32 s0, s0, s1
	s_ashr_i32 s0, s0, 2
	s_cmp_ge_i32 s8, s0
	s_cbranch_scc1 .LBB111_23
; %bb.1:
	v_bfe_u32 v91, v0, 10, 10
	v_lshlrev_b32_e32 v92, 6, v91
	v_and_b32_e32 v90, 0x3ff, v0
	s_load_dwordx4 s[12:15], s[4:5], 0x30
	s_load_dwordx2 s[20:21], s[4:5], 0x40
	s_load_dwordx4 s[0:3], s[4:5], 0x4c
	s_load_dwordx4 s[16:19], s[4:5], 0x68
	s_load_dwordx2 s[24:25], s[4:5], 0x78
	v_add_u32_e32 v94, v92, v90
	s_ashr_i32 s27, s26, 31
	s_waitcnt lgkmcnt(0)
	v_cmp_le_i32_e32 vcc, s12, v94
	v_and_b32_e32 v93, 15, v90
                                        ; implicit-def: $sgpr3
	s_and_saveexec_b64 s[10:11], vcc
	s_xor_b64 s[10:11], exec, s[10:11]
; %bb.2:
	v_and_b32_e32 v93, 15, v90
	s_mov_b32 s3, 0
                                        ; implicit-def: $vgpr94
; %bb.3:
	s_or_saveexec_b64 s[22:23], s[10:11]
	s_load_dwordx2 s[10:11], s[4:5], 0x18
                                        ; implicit-def: $vgpr101 : SGPR spill to VGPR lane
	s_lshl_b32 s7, s6, 6
	s_lshl_b32 s6, s8, 2
	v_mov_b32_e32 v15, s3
	v_mov_b32_e32 v14, s3
	s_waitcnt lgkmcnt(0)
	v_writelane_b32 v101, s10, 0
	v_writelane_b32 v101, s11, 1
	s_load_dwordx2 s[10:11], s[4:5], 0x28
	v_mov_b32_e32 v13, s3
	v_mov_b32_e32 v12, s3
	;; [unrolled: 1-line block ×4, first 2 shown]
	s_waitcnt lgkmcnt(0)
	v_writelane_b32 v101, s10, 2
	v_writelane_b32 v101, s11, 3
	v_mov_b32_e32 v1, s3
	v_mov_b32_e32 v0, s3
	;; [unrolled: 1-line block ×10, first 2 shown]
	v_writelane_b32 v101, s22, 4
	v_writelane_b32 v101, s23, 5
	s_xor_b64 exec, exec, s[22:23]
	s_cbranch_execz .LBB111_19
; %bb.4:
	v_writelane_b32 v101, s24, 6
	v_writelane_b32 v101, s25, 7
	s_load_dwordx4 s[8:11], s[4:5], 0x0
	s_load_dwordx2 s[22:23], s[4:5], 0x10
	s_mul_i32 s4, s34, s0
	s_mul_i32 s24, s7, s15
	s_ashr_i32 s5, s4, 31
	s_ashr_i32 s25, s24, 31
	s_lshl_b64 s[24:25], s[24:25], 2
	s_lshl_b64 s[4:5], s[4:5], 2
	s_add_u32 s3, s4, s24
	s_addc_u32 s24, s5, s25
	s_waitcnt lgkmcnt(0)
	s_add_u32 s0, s3, s8
	s_addc_u32 s25, s24, s9
	s_lshl_b64 s[4:5], s[26:27], 2
	s_add_u32 s28, s22, s4
	s_addc_u32 s29, s23, s5
	s_movk_i32 s4, 0x1080
	s_cmp_lt_i32 s6, s33
	v_writelane_b32 v101, s7, 8
	v_mad_u32_u24 v0, v91, s4, 0
	s_cselect_b64 s[4:5], -1, 0
	s_ashr_i32 s7, s6, 31
	s_lshl_b64 s[22:23], s[6:7], 2
	s_add_u32 s34, s28, s22
	v_lshrrev_b32_e32 v3, 1, v90
	s_addc_u32 s35, s29, s23
	s_or_b32 s7, s6, 1
	v_lshlrev_b32_e32 v1, 2, v90
	v_mul_u32_u24_e32 v2, 0x108, v93
	v_and_b32_e32 v3, 0x1f8, v3
	s_cmp_lt_i32 s7, s33
	v_add_u32_e32 v95, v0, v1
	v_add3_u32 v96, v0, v2, v3
	s_cselect_b64 s[36:37], -1, 0
	s_or_b32 s7, s6, 2
	v_lshlrev_b32_e32 v0, 8, v91
	s_cmp_lt_i32 s7, s33
	v_mov_b32_e32 v2, s24
	v_add_co_u32_e32 v0, vcc, s3, v0
	s_cselect_b64 s[38:39], -1, 0
	s_or_b32 s7, s6, 3
	v_addc_co_u32_e32 v2, vcc, 0, v2, vcc
	s_cmp_lt_i32 s7, s33
	v_add_co_u32_e32 v0, vcc, v0, v1
	s_cselect_b64 s[40:41], -1, 0
	s_ashr_i32 s23, s15, 31
	s_mov_b32 s22, s15
	v_addc_co_u32_e32 v1, vcc, 0, v2, vcc
	s_lshl_b64 s[42:43], s[22:23], 2
	v_mov_b32_e32 v2, s9
	v_add_co_u32_e32 v16, vcc, s8, v0
	v_mov_b32_e32 v98, 0
	v_addc_co_u32_e32 v17, vcc, v2, v1, vcc
	s_lshl_b32 s7, s15, 1
	s_mul_i32 s44, s15, 3
	s_lshl_b32 s45, s15, 2
	s_mul_i32 s46, s15, 5
	s_mul_i32 s47, s15, 6
	;; [unrolled: 1-line block ×3, first 2 shown]
	s_lshl_b32 s49, s15, 3
	s_mul_i32 s50, s15, 9
	s_mul_i32 s51, s15, 10
	;; [unrolled: 1-line block ×7, first 2 shown]
	s_lshl_b32 s57, s15, 4
	s_mul_i32 s58, s15, 17
	s_mul_i32 s59, s15, 18
	;; [unrolled: 1-line block ×15, first 2 shown]
	s_lshl_b32 s73, s15, 5
	s_mul_i32 s74, s15, 33
	s_mul_i32 s75, s15, 34
	;; [unrolled: 1-line block ×15, first 2 shown]
	v_mov_b32_e32 v97, s25
	s_mul_i32 s89, s15, 48
	v_mov_b32_e32 v99, s43
	v_mov_b32_e32 v8, 0
	;; [unrolled: 1-line block ×17, first 2 shown]
	s_mul_i32 s43, s15, 49
	s_mul_i32 s90, s15, 50
	;; [unrolled: 1-line block ×15, first 2 shown]
	s_mov_b64 s[8:9], 0
	s_branch .LBB111_6
.LBB111_5:                              ;   in Loop: Header=BB111_6 Depth=1
	s_waitcnt vmcnt(0)
	v_cvt_f16_f32_e32 v82, v82
	v_cvt_f16_f32_e32 v83, v83
	;; [unrolled: 1-line block ×4, first 2 shown]
	v_add_co_u32_e32 v16, vcc, 0x500, v16
	v_pack_b32_f16 v82, v82, v83
	v_cvt_f16_f32_e32 v83, v84
	v_cvt_f16_f32_e32 v84, v85
	;; [unrolled: 1-line block ×4, first 2 shown]
	v_pack_b32_f16 v86, v86, v87
	ds_write2_b32 v95, v82, v86 offset1:66
	v_pack_b32_f16 v82, v83, v84
	v_pack_b32_f16 v83, v85, v88
	ds_write2_b32 v95, v82, v83 offset0:132 offset1:198
	v_add_u32_e32 v82, 0x400, v95
	ds_write2_b32 v82, v98, v98 offset0:8 offset1:74
	ds_write2_b32 v82, v98, v98 offset0:140 offset1:206
	v_add_u32_e32 v82, 0x800, v95
	ds_write2_b32 v82, v98, v98 offset0:16 offset1:82
	;; [unrolled: 3-line block ×3, first 2 shown]
	ds_write2_b32 v82, v98, v98 offset0:156 offset1:222
	ds_read2_b64 v[82:85], v96 offset1:4
	s_waitcnt lgkmcnt(0)
	v_mfma_f32_16x16x16f16 v[8:11], v[34:35], v[82:83], v[8:11]
	v_add_u32_e32 v94, 0x140, v94
	v_addc_co_u32_e32 v17, vcc, 0, v17, vcc
	v_cmp_le_i32_e32 vcc, s12, v94
	s_or_b64 s[8:9], vcc, s[8:9]
	v_mfma_f32_16x16x16f16 v[4:7], v[50:51], v[82:83], v[4:7]
	v_mfma_f32_16x16x16f16 v[0:3], v[64:65], v[82:83], v[0:3]
	;; [unrolled: 1-line block ×6, first 2 shown]
	ds_read2_b64 v[62:65], v96 offset0:8 offset1:12
	v_mfma_f32_16x16x16f16 v[12:15], v[78:79], v[84:85], v[12:15]
	s_waitcnt lgkmcnt(0)
	v_mfma_f32_16x16x16f16 v[8:11], v[28:29], v[62:63], v[8:11]
	v_mfma_f32_16x16x16f16 v[4:7], v[44:45], v[62:63], v[4:7]
	;; [unrolled: 1-line block ×5, first 2 shown]
	ds_read2_b64 v[26:29], v96 offset0:16 offset1:20
	v_mfma_f32_16x16x16f16 v[4:7], v[42:43], v[64:65], v[4:7]
	v_mfma_f32_16x16x16f16 v[0:3], v[58:59], v[64:65], v[0:3]
	;; [unrolled: 1-line block ×3, first 2 shown]
	s_waitcnt lgkmcnt(0)
	v_mfma_f32_16x16x16f16 v[8:11], v[24:25], v[26:27], v[8:11]
	v_mfma_f32_16x16x16f16 v[4:7], v[40:41], v[26:27], v[4:7]
	;; [unrolled: 1-line block ×5, first 2 shown]
	ds_read2_b64 v[22:25], v96 offset0:24 offset1:28
	v_mfma_f32_16x16x16f16 v[4:7], v[38:39], v[28:29], v[4:7]
	v_mfma_f32_16x16x16f16 v[0:3], v[54:55], v[28:29], v[0:3]
	;; [unrolled: 1-line block ×3, first 2 shown]
	s_waitcnt lgkmcnt(0)
	v_mfma_f32_16x16x16f16 v[8:11], v[20:21], v[22:23], v[8:11]
	v_mfma_f32_16x16x16f16 v[4:7], v[36:37], v[22:23], v[4:7]
	;; [unrolled: 1-line block ×8, first 2 shown]
	s_andn2_b64 exec, exec, s[8:9]
	s_cbranch_execz .LBB111_18
.LBB111_6:                              ; =>This Inner Loop Header: Depth=1
	v_add_co_u32_e32 v18, vcc, s42, v16
	v_addc_co_u32_e32 v19, vcc, v17, v99, vcc
	global_load_dword v30, v[16:17], off
	global_load_dword v31, v[18:19], off
	v_add_u32_e32 v18, s7, v94
	v_ashrrev_i32_e32 v19, 31, v18
	v_lshlrev_b64 v[18:19], 2, v[18:19]
	v_add_u32_e32 v20, s44, v94
	v_add_co_u32_e32 v18, vcc, s0, v18
	v_ashrrev_i32_e32 v21, 31, v20
	v_addc_co_u32_e32 v19, vcc, v97, v19, vcc
	v_lshlrev_b64 v[20:21], 2, v[20:21]
	v_add_u32_e32 v22, s45, v94
	v_add_co_u32_e32 v20, vcc, s0, v20
	v_ashrrev_i32_e32 v23, 31, v22
	v_addc_co_u32_e32 v21, vcc, v97, v21, vcc
	;; [unrolled: 5-line block ×5, first 2 shown]
	v_lshlrev_b64 v[28:29], 2, v[28:29]
	v_add_co_u32_e32 v28, vcc, s0, v28
	v_addc_co_u32_e32 v29, vcc, v97, v29, vcc
	global_load_dword v32, v[18:19], off
	global_load_dword v33, v[20:21], off
	;; [unrolled: 1-line block ×3, first 2 shown]
	s_nop 0
	global_load_dword v24, v[24:25], off
	s_nop 0
	global_load_dword v25, v[26:27], off
	;; [unrolled: 2-line block ×3, first 2 shown]
	v_add_u32_e32 v18, s49, v94
	v_ashrrev_i32_e32 v19, 31, v18
	v_add_u32_e32 v20, s50, v94
	v_lshlrev_b64 v[18:19], 2, v[18:19]
	v_ashrrev_i32_e32 v21, 31, v20
	v_add_co_u32_e32 v18, vcc, s0, v18
	v_add_u32_e32 v22, s51, v94
	v_lshlrev_b64 v[20:21], 2, v[20:21]
	v_addc_co_u32_e32 v19, vcc, v97, v19, vcc
	v_ashrrev_i32_e32 v23, 31, v22
	v_add_co_u32_e32 v20, vcc, s0, v20
	v_lshlrev_b64 v[22:23], 2, v[22:23]
	v_addc_co_u32_e32 v21, vcc, v97, v21, vcc
	global_load_dword v18, v[18:19], off
	s_nop 0
	global_load_dword v19, v[20:21], off
	v_add_u32_e32 v20, s52, v94
	v_add_co_u32_e32 v22, vcc, s0, v22
	v_ashrrev_i32_e32 v21, 31, v20
	v_addc_co_u32_e32 v23, vcc, v97, v23, vcc
	v_lshlrev_b64 v[20:21], 2, v[20:21]
	v_add_u32_e32 v58, s82, v94
	v_ashrrev_i32_e32 v59, 31, v58
	v_lshlrev_b64 v[58:59], 2, v[58:59]
	s_waitcnt vmcnt(9)
	ds_write_b32 v95, v30
	s_waitcnt vmcnt(8)
	ds_write_b32 v95, v31 offset:264
	s_waitcnt vmcnt(7)
	ds_write_b32 v95, v32 offset:528
	;; [unrolled: 2-line block ×7, first 2 shown]
	v_add_co_u32_e32 v24, vcc, s0, v20
	v_add_u32_e32 v20, s53, v94
	v_addc_co_u32_e32 v25, vcc, v97, v21, vcc
	v_ashrrev_i32_e32 v21, 31, v20
	v_lshlrev_b64 v[20:21], 2, v[20:21]
	v_add_co_u32_e32 v26, vcc, s0, v20
	v_add_u32_e32 v20, s54, v94
	v_addc_co_u32_e32 v27, vcc, v97, v21, vcc
	v_ashrrev_i32_e32 v21, 31, v20
	v_lshlrev_b64 v[20:21], 2, v[20:21]
	;; [unrolled: 5-line block ×6, first 2 shown]
	v_add_co_u32_e32 v36, vcc, s0, v20
	v_addc_co_u32_e32 v37, vcc, v97, v21, vcc
	global_load_dword v20, v[22:23], off
	global_load_dword v21, v[24:25], off
	s_nop 0
	global_load_dword v22, v[26:27], off
	global_load_dword v23, v[28:29], off
	;; [unrolled: 1-line block ×4, first 2 shown]
	s_nop 0
	global_load_dword v32, v[34:35], off
	global_load_dword v33, v[36:37], off
	v_add_u32_e32 v26, s59, v94
	v_ashrrev_i32_e32 v27, 31, v26
	v_lshlrev_b64 v[26:27], 2, v[26:27]
	v_add_u32_e32 v28, s60, v94
	v_add_co_u32_e32 v26, vcc, s0, v26
	v_ashrrev_i32_e32 v29, 31, v28
	v_addc_co_u32_e32 v27, vcc, v97, v27, vcc
	v_lshlrev_b64 v[28:29], 2, v[28:29]
	v_add_u32_e32 v30, s61, v94
	v_add_co_u32_e32 v28, vcc, s0, v28
	v_ashrrev_i32_e32 v31, 31, v30
	v_addc_co_u32_e32 v29, vcc, v97, v29, vcc
	;; [unrolled: 5-line block ×4, first 2 shown]
	v_lshlrev_b64 v[36:37], 2, v[36:37]
	v_add_co_u32_e32 v40, vcc, s0, v36
	v_add_u32_e32 v36, s64, v94
	v_addc_co_u32_e32 v41, vcc, v97, v37, vcc
	v_ashrrev_i32_e32 v37, 31, v36
	v_lshlrev_b64 v[36:37], 2, v[36:37]
	v_add_co_u32_e32 v42, vcc, s0, v36
	v_add_u32_e32 v36, s65, v94
	v_addc_co_u32_e32 v43, vcc, v97, v37, vcc
	v_ashrrev_i32_e32 v37, 31, v36
	;; [unrolled: 5-line block ×3, first 2 shown]
	v_lshlrev_b64 v[36:37], 2, v[36:37]
	v_add_co_u32_e32 v46, vcc, s0, v36
	v_addc_co_u32_e32 v47, vcc, v97, v37, vcc
	global_load_dword v36, v[26:27], off
	global_load_dword v37, v[28:29], off
	global_load_dword v38, v[30:31], off
	global_load_dword v39, v[34:35], off
	s_nop 0
	global_load_dword v40, v[40:41], off
	s_nop 0
	global_load_dword v41, v[42:43], off
	;; [unrolled: 2-line block ×3, first 2 shown]
	global_load_dword v43, v[46:47], off
	v_add_u32_e32 v26, s67, v94
	v_ashrrev_i32_e32 v27, 31, v26
	v_lshlrev_b64 v[26:27], 2, v[26:27]
	v_add_u32_e32 v28, s68, v94
	v_add_co_u32_e32 v26, vcc, s0, v26
	v_ashrrev_i32_e32 v29, 31, v28
	v_addc_co_u32_e32 v27, vcc, v97, v27, vcc
	v_lshlrev_b64 v[28:29], 2, v[28:29]
	v_add_u32_e32 v30, s69, v94
	v_add_co_u32_e32 v28, vcc, s0, v28
	v_ashrrev_i32_e32 v31, 31, v30
	v_addc_co_u32_e32 v29, vcc, v97, v29, vcc
	;; [unrolled: 5-line block ×4, first 2 shown]
	v_lshlrev_b64 v[44:45], 2, v[44:45]
	v_add_co_u32_e32 v48, vcc, s0, v44
	v_add_u32_e32 v44, s72, v94
	v_addc_co_u32_e32 v49, vcc, v97, v45, vcc
	v_ashrrev_i32_e32 v45, 31, v44
	v_lshlrev_b64 v[44:45], 2, v[44:45]
	v_add_co_u32_e32 v52, vcc, s0, v44
	v_add_u32_e32 v44, s73, v94
	v_addc_co_u32_e32 v53, vcc, v97, v45, vcc
	v_ashrrev_i32_e32 v45, 31, v44
	;; [unrolled: 5-line block ×3, first 2 shown]
	v_lshlrev_b64 v[44:45], 2, v[44:45]
	v_add_co_u32_e32 v56, vcc, s0, v44
	v_addc_co_u32_e32 v57, vcc, v97, v45, vcc
	global_load_dword v44, v[26:27], off
	global_load_dword v45, v[28:29], off
	;; [unrolled: 1-line block ×6, first 2 shown]
	s_nop 0
	global_load_dword v48, v[54:55], off
	global_load_dword v49, v[56:57], off
	v_add_u32_e32 v26, s75, v94
	v_ashrrev_i32_e32 v27, 31, v26
	v_lshlrev_b64 v[26:27], 2, v[26:27]
	v_add_u32_e32 v28, s76, v94
	v_add_co_u32_e32 v26, vcc, s0, v26
	v_ashrrev_i32_e32 v29, 31, v28
	v_addc_co_u32_e32 v27, vcc, v97, v27, vcc
	v_lshlrev_b64 v[28:29], 2, v[28:29]
	v_add_u32_e32 v30, s77, v94
	v_add_co_u32_e32 v28, vcc, s0, v28
	v_ashrrev_i32_e32 v31, 31, v30
	v_addc_co_u32_e32 v29, vcc, v97, v29, vcc
	;; [unrolled: 5-line block ×6, first 2 shown]
	v_lshlrev_b64 v[56:57], 2, v[56:57]
	v_add_co_u32_e32 v56, vcc, s0, v56
	v_addc_co_u32_e32 v57, vcc, v97, v57, vcc
	v_add_co_u32_e32 v58, vcc, s0, v58
	v_addc_co_u32_e32 v59, vcc, v97, v59, vcc
	global_load_dword v60, v[26:27], off
	global_load_dword v61, v[28:29], off
	;; [unrolled: 1-line block ×8, first 2 shown]
	v_add_u32_e32 v26, s83, v94
	v_ashrrev_i32_e32 v27, 31, v26
	v_lshlrev_b64 v[26:27], 2, v[26:27]
	v_add_u32_e32 v28, s84, v94
	v_add_co_u32_e32 v26, vcc, s0, v26
	v_ashrrev_i32_e32 v29, 31, v28
	v_addc_co_u32_e32 v27, vcc, v97, v27, vcc
	v_lshlrev_b64 v[28:29], 2, v[28:29]
	v_add_u32_e32 v30, s85, v94
	v_add_co_u32_e32 v28, vcc, s0, v28
	v_ashrrev_i32_e32 v31, 31, v30
	v_addc_co_u32_e32 v29, vcc, v97, v29, vcc
	;; [unrolled: 5-line block ×7, first 2 shown]
	v_lshlrev_b64 v[58:59], 2, v[58:59]
	v_add_co_u32_e32 v58, vcc, s0, v58
	v_addc_co_u32_e32 v59, vcc, v97, v59, vcc
	global_load_dword v68, v[26:27], off
	global_load_dword v69, v[28:29], off
	global_load_dword v70, v[30:31], off
	global_load_dword v71, v[34:35], off
	global_load_dword v72, v[52:53], off
	global_load_dword v73, v[54:55], off
	global_load_dword v74, v[56:57], off
	global_load_dword v75, v[58:59], off
	v_add_u32_e32 v26, s90, v94
	v_ashrrev_i32_e32 v27, 31, v26
	v_lshlrev_b64 v[26:27], 2, v[26:27]
	v_add_u32_e32 v28, s91, v94
	v_add_co_u32_e32 v26, vcc, s0, v26
	v_ashrrev_i32_e32 v29, 31, v28
	v_addc_co_u32_e32 v27, vcc, v97, v27, vcc
	v_lshlrev_b64 v[28:29], 2, v[28:29]
	v_add_u32_e32 v30, s92, v94
	v_add_co_u32_e32 v28, vcc, s0, v28
	v_ashrrev_i32_e32 v31, 31, v30
	v_addc_co_u32_e32 v29, vcc, v97, v29, vcc
	;; [unrolled: 5-line block ×7, first 2 shown]
	v_lshlrev_b64 v[58:59], 2, v[58:59]
	v_add_co_u32_e32 v58, vcc, s0, v58
	v_addc_co_u32_e32 v59, vcc, v97, v59, vcc
	global_load_dword v76, v[26:27], off
	global_load_dword v77, v[28:29], off
	;; [unrolled: 1-line block ×8, first 2 shown]
	v_add_u32_e32 v26, s22, v94
	v_ashrrev_i32_e32 v27, 31, v26
	v_lshlrev_b64 v[26:27], 2, v[26:27]
	v_add_u32_e32 v28, s23, v94
	v_add_co_u32_e32 v26, vcc, s0, v26
	v_ashrrev_i32_e32 v29, 31, v28
	v_addc_co_u32_e32 v27, vcc, v97, v27, vcc
	v_lshlrev_b64 v[28:29], 2, v[28:29]
	v_add_u32_e32 v30, s28, v94
	v_add_co_u32_e32 v28, vcc, s0, v28
	v_ashrrev_i32_e32 v31, 31, v30
	v_addc_co_u32_e32 v29, vcc, v97, v29, vcc
	;; [unrolled: 5-line block ×5, first 2 shown]
	v_lshlrev_b64 v[54:55], 2, v[54:55]
	v_add_co_u32_e32 v54, vcc, s0, v54
	v_addc_co_u32_e32 v55, vcc, v97, v55, vcc
	global_load_dword v84, v[26:27], off
	global_load_dword v85, v[28:29], off
	;; [unrolled: 1-line block ×6, first 2 shown]
	s_waitcnt vmcnt(55)
	ds_write_b32 v95, v18 offset:2112
	s_waitcnt vmcnt(54)
	ds_write_b32 v95, v19 offset:2376
	s_waitcnt vmcnt(53)
	ds_write_b32 v95, v20 offset:2640
	s_waitcnt vmcnt(52)
	ds_write_b32 v95, v21 offset:2904
	s_waitcnt vmcnt(51)
	ds_write_b32 v95, v22 offset:3168
	s_waitcnt vmcnt(50)
	ds_write_b32 v95, v23 offset:3432
	s_waitcnt vmcnt(49)
	ds_write_b32 v95, v24 offset:3696
	s_waitcnt vmcnt(48)
	ds_write_b32 v95, v25 offset:3960
	ds_read_b64 v[34:35], v96
	ds_read_b64 v[30:31], v96 offset:32
	ds_read_b64 v[28:29], v96 offset:64
	ds_read_b64 v[26:27], v96 offset:96
	ds_read_b64 v[24:25], v96 offset:128
	ds_read_b64 v[22:23], v96 offset:160
	ds_read_b64 v[20:21], v96 offset:192
	ds_read_b64 v[18:19], v96 offset:224
	s_waitcnt vmcnt(47)
	ds_write_b32 v95, v32
	s_waitcnt vmcnt(46)
	ds_write_b32 v95, v33 offset:264
	s_waitcnt vmcnt(45)
	ds_write_b32 v95, v36 offset:528
	s_waitcnt vmcnt(44)
	ds_write_b32 v95, v37 offset:792
	s_waitcnt vmcnt(43)
	ds_write_b32 v95, v38 offset:1056
	s_waitcnt vmcnt(42)
	ds_write_b32 v95, v39 offset:1320
	s_waitcnt vmcnt(41)
	ds_write_b32 v95, v40 offset:1584
	s_waitcnt vmcnt(40)
	ds_write_b32 v95, v41 offset:1848
	s_waitcnt vmcnt(39)
	ds_write_b32 v95, v42 offset:2112
	s_waitcnt vmcnt(38)
	ds_write_b32 v95, v43 offset:2376
	s_waitcnt vmcnt(37)
	ds_write_b32 v95, v44 offset:2640
	s_waitcnt vmcnt(36)
	ds_write_b32 v95, v45 offset:2904
	s_waitcnt vmcnt(35)
	ds_write_b32 v95, v46 offset:3168
	s_waitcnt vmcnt(34)
	ds_write_b32 v95, v47 offset:3432
	s_waitcnt vmcnt(33)
	ds_write_b32 v95, v50 offset:3696
	s_waitcnt vmcnt(32)
	ds_write_b32 v95, v51 offset:3960
	ds_read_b64 v[50:51], v96
	ds_read_b64 v[46:47], v96 offset:32
	ds_read_b64 v[44:45], v96 offset:64
	ds_read_b64 v[42:43], v96 offset:96
	ds_read_b64 v[40:41], v96 offset:128
	ds_read_b64 v[38:39], v96 offset:160
	ds_read_b64 v[36:37], v96 offset:192
	ds_read_b64 v[32:33], v96 offset:224
	s_waitcnt vmcnt(31)
	ds_write_b32 v95, v48
	s_waitcnt vmcnt(30)
	ds_write_b32 v95, v49 offset:264
	s_waitcnt vmcnt(29)
	ds_write_b32 v95, v60 offset:528
	s_waitcnt vmcnt(28)
	ds_write_b32 v95, v61 offset:792
	s_waitcnt vmcnt(27)
	ds_write_b32 v95, v62 offset:1056
	s_waitcnt vmcnt(26)
	ds_write_b32 v95, v63 offset:1320
	s_waitcnt vmcnt(25)
	ds_write_b32 v95, v64 offset:1584
	s_waitcnt vmcnt(24)
	ds_write_b32 v95, v65 offset:1848
	;; [unrolled: 40-line block ×3, first 2 shown]
	s_waitcnt vmcnt(7)
	ds_write_b32 v95, v82 offset:2112
	s_waitcnt vmcnt(6)
	ds_write_b32 v95, v83 offset:2376
	;; [unrolled: 2-line block ×8, first 2 shown]
	ds_read_b64 v[80:81], v96
	ds_read_b64 v[78:79], v96 offset:32
	ds_read_b64 v[76:77], v96 offset:64
	;; [unrolled: 1-line block ×7, first 2 shown]
	s_andn2_b64 vcc, exec, s[4:5]
	v_mov_b32_e32 v82, 0
	v_mov_b32_e32 v83, 0
	s_cbranch_vccnz .LBB111_9
; %bb.7:                                ;   in Loop: Header=BB111_6 Depth=1
	s_load_dword vcc_lo, s[34:35], 0x0
	v_mov_b32_e32 v83, 0
	v_mov_b32_e32 v82, 0
	s_waitcnt lgkmcnt(0)
	s_mul_hi_u32 vcc_hi, vcc_lo, s16
	s_add_i32 vcc_hi, vcc_lo, vcc_hi
	s_lshr_b32 s30, vcc_hi, s17
	s_cmp_ge_i32 s30, s13
	s_cbranch_scc1 .LBB111_9
; %bb.8:                                ;   in Loop: Header=BB111_6 Depth=1
	s_mul_i32 vcc_hi, s30, s18
	s_sub_i32 s31, vcc_lo, vcc_hi
	s_mul_i32 s30, s30, s20
	s_mul_i32 s31, s31, s1
	v_add_u32_e32 v82, s30, v94
	v_lshl_add_u32 v82, v82, 1, s31
	v_ashrrev_i32_e32 v83, 31, v82
	v_lshlrev_b64 v[82:83], 2, v[82:83]
	v_mov_b32_e32 v84, s11
	v_add_co_u32_e32 v82, vcc, s10, v82
	v_addc_co_u32_e32 v83, vcc, v84, v83, vcc
	global_load_dwordx2 v[82:83], v[82:83], off
.LBB111_9:                              ;   in Loop: Header=BB111_6 Depth=1
	s_andn2_b64 vcc, exec, s[36:37]
	v_mov_b32_e32 v84, 0
	v_mov_b32_e32 v86, 0
	;; [unrolled: 1-line block ×3, first 2 shown]
	s_cbranch_vccnz .LBB111_12
; %bb.10:                               ;   in Loop: Header=BB111_6 Depth=1
	s_load_dword vcc_lo, s[34:35], 0x4
	v_mov_b32_e32 v87, 0
	v_mov_b32_e32 v86, 0
	s_waitcnt lgkmcnt(0)
	s_mul_hi_u32 s30, vcc_lo, s16
	s_add_i32 s30, vcc_lo, s30
	s_lshr_b32 vcc_hi, s30, s17
	s_cmp_ge_i32 vcc_hi, s13
	s_cbranch_scc1 .LBB111_12
; %bb.11:                               ;   in Loop: Header=BB111_6 Depth=1
	s_mul_i32 s30, vcc_hi, s18
	s_sub_i32 s30, vcc_lo, s30
	s_mul_i32 vcc_hi, vcc_hi, s20
	s_mul_i32 s30, s30, s1
	v_add_u32_e32 v85, vcc_hi, v94
	v_lshl_add_u32 v86, v85, 1, s30
	v_ashrrev_i32_e32 v87, 31, v86
	v_lshlrev_b64 v[86:87], 2, v[86:87]
	v_mov_b32_e32 v85, s11
	v_add_co_u32_e32 v86, vcc, s10, v86
	v_addc_co_u32_e32 v87, vcc, v85, v87, vcc
	global_load_dwordx2 v[86:87], v[86:87], off
.LBB111_12:                             ;   in Loop: Header=BB111_6 Depth=1
	s_andn2_b64 vcc, exec, s[38:39]
	v_mov_b32_e32 v85, 0
	s_cbranch_vccnz .LBB111_15
; %bb.13:                               ;   in Loop: Header=BB111_6 Depth=1
	s_load_dword vcc_lo, s[34:35], 0x8
	v_mov_b32_e32 v85, 0
	v_mov_b32_e32 v84, 0
	s_waitcnt lgkmcnt(0)
	s_mul_hi_u32 s30, vcc_lo, s16
	s_add_i32 s30, vcc_lo, s30
	s_lshr_b32 vcc_hi, s30, s17
	s_cmp_ge_i32 vcc_hi, s13
	s_cbranch_scc1 .LBB111_15
; %bb.14:                               ;   in Loop: Header=BB111_6 Depth=1
	s_mul_i32 s30, vcc_hi, s18
	s_sub_i32 s30, vcc_lo, s30
	s_mul_i32 vcc_hi, vcc_hi, s20
	s_mul_i32 s30, s30, s1
	v_add_u32_e32 v84, vcc_hi, v94
	v_lshl_add_u32 v84, v84, 1, s30
	v_ashrrev_i32_e32 v85, 31, v84
	v_lshlrev_b64 v[84:85], 2, v[84:85]
	v_mov_b32_e32 v88, s11
	v_add_co_u32_e32 v84, vcc, s10, v84
	v_addc_co_u32_e32 v85, vcc, v88, v85, vcc
	global_load_dwordx2 v[84:85], v[84:85], off
.LBB111_15:                             ;   in Loop: Header=BB111_6 Depth=1
	s_andn2_b64 vcc, exec, s[40:41]
	v_mov_b32_e32 v88, 0
	v_mov_b32_e32 v89, 0
	s_cbranch_vccnz .LBB111_5
; %bb.16:                               ;   in Loop: Header=BB111_6 Depth=1
	s_load_dword vcc_lo, s[34:35], 0xc
	v_mov_b32_e32 v89, 0
	v_mov_b32_e32 v88, 0
	s_waitcnt lgkmcnt(0)
	s_mul_hi_u32 s30, vcc_lo, s16
	s_add_i32 s30, vcc_lo, s30
	s_lshr_b32 vcc_hi, s30, s17
	s_cmp_ge_i32 vcc_hi, s13
	s_cbranch_scc1 .LBB111_5
; %bb.17:                               ;   in Loop: Header=BB111_6 Depth=1
	s_mul_i32 s30, vcc_hi, s18
	s_sub_i32 s30, vcc_lo, s30
	s_mul_i32 vcc_hi, vcc_hi, s20
	s_mul_i32 s30, s30, s1
	v_add_u32_e32 v88, vcc_hi, v94
	v_lshl_add_u32 v88, v88, 1, s30
	v_ashrrev_i32_e32 v89, 31, v88
	v_lshlrev_b64 v[88:89], 2, v[88:89]
	v_mov_b32_e32 v100, s11
	v_add_co_u32_e32 v88, vcc, s10, v88
	v_addc_co_u32_e32 v89, vcc, v100, v89, vcc
	global_load_dwordx2 v[88:89], v[88:89], off
	s_branch .LBB111_5
.LBB111_18:
	s_or_b64 exec, exec, s[8:9]
	v_readlane_b32 s24, v101, 6
	v_readlane_b32 s25, v101, 7
	v_readlane_b32 s7, v101, 8
.LBB111_19:
	v_readlane_b32 s0, v101, 4
	v_readlane_b32 s1, v101, 5
	s_or_b64 exec, exec, s[0:1]
	v_mul_u32_u24_e32 v16, 0x508, v93
	v_lshlrev_b32_e32 v17, 2, v92
	v_add3_u32 v16, 0, v16, v17
	v_and_b32_e32 v17, 0x3f0, v90
	v_add_u32_e32 v17, v16, v17
	s_barrier
	ds_write2_b32 v17, v8, v9 offset1:1
	ds_write_b32 v17, v10 offset:8
	v_or_b32_e32 v8, 12, v90
	v_and_b32_e32 v8, 0x3fc, v8
	v_add_u32_e32 v8, v16, v8
	v_cmp_gt_u32_e32 vcc, 4, v91
	ds_write_b32 v8, v11
	ds_write2_b32 v17, v4, v5 offset0:16 offset1:17
	ds_write_b32 v17, v6 offset:72
	ds_write_b32 v8, v7 offset:64
	ds_write2_b32 v17, v0, v1 offset0:32 offset1:33
	ds_write_b32 v17, v2 offset:136
	ds_write_b32 v8, v3 offset:128
	;; [unrolled: 3-line block ×3, first 2 shown]
	s_waitcnt lgkmcnt(0)
	s_barrier
	s_and_saveexec_b64 s[0:1], vcc
	s_cbranch_execz .LBB111_23
; %bb.20:
	s_cmp_gt_i32 s14, 0
	v_or_b32_e32 v0, s6, v91
	s_cselect_b64 s[0:1], -1, 0
	v_cmp_gt_i32_e32 vcc, s33, v0
	s_and_b64 s[0:1], s[0:1], vcc
	s_and_b64 exec, exec, s[0:1]
	s_cbranch_execz .LBB111_23
; %bb.21:
	s_lshl_b64 s[0:1], s[26:27], 2
	v_readlane_b32 s4, v101, 0
	v_readlane_b32 s5, v101, 1
	s_add_u32 s0, s4, s0
	v_ashrrev_i32_e32 v1, 31, v0
	s_addc_u32 s1, s5, s1
	v_lshlrev_b64 v[0:1], 2, v[0:1]
	v_mov_b32_e32 v2, s1
	v_add_co_u32_e32 v0, vcc, s0, v0
	v_addc_co_u32_e32 v1, vcc, v2, v1, vcc
	global_load_dword v0, v[0:1], off
	s_waitcnt vmcnt(0)
	v_mul_hi_u32 v1, v0, s19
	v_add_u32_e32 v1, v0, v1
	v_lshrrev_b32_e32 v1, s24, v1
	v_cmp_gt_i32_e32 vcc, s13, v1
	s_and_b64 exec, exec, vcc
	s_cbranch_execz .LBB111_23
; %bb.22:
	v_lshlrev_b32_e32 v2, 2, v90
	v_mul_u32_u24_e32 v3, 0x508, v91
	v_add3_u32 v6, 0, v2, v3
	ds_read2st64_b32 v[2:3], v6 offset1:1
	ds_read2st64_b32 v[4:5], v6 offset0:2 offset1:3
	ds_read_b32 v6, v6 offset:1024
	v_add_u32_e32 v7, s7, v90
	v_readlane_b32 s0, v101, 2
	s_waitcnt lgkmcnt(2)
	v_add_f32_e32 v2, 0, v2
	v_add_f32_e32 v2, v2, v3
	v_mul_lo_u32 v3, v1, s25
	v_sub_u32_e32 v0, v0, v3
	v_mul_lo_u32 v0, v0, s2
	v_mul_lo_u32 v1, v1, s21
	v_add3_u32 v0, v7, v1, v0
	v_mov_b32_e32 v1, 0
	s_waitcnt lgkmcnt(1)
	v_add_f32_e32 v2, v2, v4
	v_lshlrev_b64 v[0:1], 2, v[0:1]
	v_readlane_b32 s1, v101, 3
	v_add_f32_e32 v2, v2, v5
	v_mov_b32_e32 v3, s1
	v_add_co_u32_e32 v0, vcc, s0, v0
	s_waitcnt lgkmcnt(0)
	v_add_f32_e32 v2, v2, v6
	v_addc_co_u32_e32 v1, vcc, v3, v1, vcc
	global_store_dword v[0:1], v2, off
.LBB111_23:
	s_endpgm
	.section	.rodata,"a",@progbits
	.p2align	6, 0x0
	.amdhsa_kernel _ZL13mul_mat_f_idsI7__half2Li64ELi4ELi5EEvPKT_PKfPKiS7_S7_Pfiiiiiiiiiiiiii15HIP_vector_typeIjLj3EESA_
		.amdhsa_group_segment_fixed_size 0
		.amdhsa_private_segment_fixed_size 0
		.amdhsa_kernarg_size 128
		.amdhsa_user_sgpr_count 6
		.amdhsa_user_sgpr_private_segment_buffer 1
		.amdhsa_user_sgpr_dispatch_ptr 0
		.amdhsa_user_sgpr_queue_ptr 0
		.amdhsa_user_sgpr_kernarg_segment_ptr 1
		.amdhsa_user_sgpr_dispatch_id 0
		.amdhsa_user_sgpr_flat_scratch_init 0
		.amdhsa_user_sgpr_kernarg_preload_length 0
		.amdhsa_user_sgpr_kernarg_preload_offset 0
		.amdhsa_user_sgpr_private_segment_size 0
		.amdhsa_uses_dynamic_stack 0
		.amdhsa_system_sgpr_private_segment_wavefront_offset 0
		.amdhsa_system_sgpr_workgroup_id_x 1
		.amdhsa_system_sgpr_workgroup_id_y 1
		.amdhsa_system_sgpr_workgroup_id_z 1
		.amdhsa_system_sgpr_workgroup_info 0
		.amdhsa_system_vgpr_workitem_id 1
		.amdhsa_next_free_vgpr 102
		.amdhsa_next_free_sgpr 96
		.amdhsa_accum_offset 104
		.amdhsa_reserve_vcc 1
		.amdhsa_reserve_flat_scratch 0
		.amdhsa_float_round_mode_32 0
		.amdhsa_float_round_mode_16_64 0
		.amdhsa_float_denorm_mode_32 3
		.amdhsa_float_denorm_mode_16_64 3
		.amdhsa_dx10_clamp 1
		.amdhsa_ieee_mode 1
		.amdhsa_fp16_overflow 0
		.amdhsa_tg_split 0
		.amdhsa_exception_fp_ieee_invalid_op 0
		.amdhsa_exception_fp_denorm_src 0
		.amdhsa_exception_fp_ieee_div_zero 0
		.amdhsa_exception_fp_ieee_overflow 0
		.amdhsa_exception_fp_ieee_underflow 0
		.amdhsa_exception_fp_ieee_inexact 0
		.amdhsa_exception_int_div_zero 0
	.end_amdhsa_kernel
	.section	.text._ZL13mul_mat_f_idsI7__half2Li64ELi4ELi5EEvPKT_PKfPKiS7_S7_Pfiiiiiiiiiiiiii15HIP_vector_typeIjLj3EESA_,"axG",@progbits,_ZL13mul_mat_f_idsI7__half2Li64ELi4ELi5EEvPKT_PKfPKiS7_S7_Pfiiiiiiiiiiiiii15HIP_vector_typeIjLj3EESA_,comdat
.Lfunc_end111:
	.size	_ZL13mul_mat_f_idsI7__half2Li64ELi4ELi5EEvPKT_PKfPKiS7_S7_Pfiiiiiiiiiiiiii15HIP_vector_typeIjLj3EESA_, .Lfunc_end111-_ZL13mul_mat_f_idsI7__half2Li64ELi4ELi5EEvPKT_PKfPKiS7_S7_Pfiiiiiiiiiiiiii15HIP_vector_typeIjLj3EESA_
                                        ; -- End function
	.section	.AMDGPU.csdata,"",@progbits
; Kernel info:
; codeLenInByte = 5452
; NumSgprs: 100
; NumVgprs: 102
; NumAgprs: 0
; TotalNumVgprs: 102
; ScratchSize: 0
; MemoryBound: 0
; FloatMode: 240
; IeeeMode: 1
; LDSByteSize: 0 bytes/workgroup (compile time only)
; SGPRBlocks: 12
; VGPRBlocks: 12
; NumSGPRsForWavesPerEU: 100
; NumVGPRsForWavesPerEU: 102
; AccumOffset: 104
; Occupancy: 4
; WaveLimiterHint : 1
; COMPUTE_PGM_RSRC2:SCRATCH_EN: 0
; COMPUTE_PGM_RSRC2:USER_SGPR: 6
; COMPUTE_PGM_RSRC2:TRAP_HANDLER: 0
; COMPUTE_PGM_RSRC2:TGID_X_EN: 1
; COMPUTE_PGM_RSRC2:TGID_Y_EN: 1
; COMPUTE_PGM_RSRC2:TGID_Z_EN: 1
; COMPUTE_PGM_RSRC2:TIDIG_COMP_CNT: 1
; COMPUTE_PGM_RSRC3_GFX90A:ACCUM_OFFSET: 25
; COMPUTE_PGM_RSRC3_GFX90A:TG_SPLIT: 0
	.section	.text._ZL9mul_mat_fI7__half2Li64ELi4ELi5ELb1EEvPKT_PKfPKiPfiiiiiiiiiiiiiiii,"axG",@progbits,_ZL9mul_mat_fI7__half2Li64ELi4ELi5ELb1EEvPKT_PKfPKiPfiiiiiiiiiiiiiiii,comdat
	.globl	_ZL9mul_mat_fI7__half2Li64ELi4ELi5ELb1EEvPKT_PKfPKiPfiiiiiiiiiiiiiiii ; -- Begin function _ZL9mul_mat_fI7__half2Li64ELi4ELi5ELb1EEvPKT_PKfPKiPfiiiiiiiiiiiiiiii
	.p2align	8
	.type	_ZL9mul_mat_fI7__half2Li64ELi4ELi5ELb1EEvPKT_PKfPKiPfiiiiiiiiiiiiiiii,@function
_ZL9mul_mat_fI7__half2Li64ELi4ELi5ELb1EEvPKT_PKfPKiPfiiiiiiiiiiiiiiii: ; @_ZL9mul_mat_fI7__half2Li64ELi4ELi5ELb1EEvPKT_PKfPKiPfiiiiiiiiiiiiiiii
; %bb.0:
	s_load_dwordx8 s[12:19], s[4:5], 0x20
	v_and_b32_e32 v16, 0x3ff, v0
	v_bfe_u32 v17, v0, 10, 10
	v_cmp_eq_u32_e32 vcc, 0, v16
	s_waitcnt lgkmcnt(0)
	s_add_i32 s0, s13, 3
	s_ashr_i32 s1, s0, 31
	s_lshr_b32 s1, s1, 30
	s_add_i32 s0, s0, s1
	s_ashr_i32 s0, s0, 2
	v_cvt_f32_u32_e32 v1, s0
	s_load_dwordx4 s[20:23], s[4:5], 0x44
	s_load_dword s1, s[4:5], 0x64
	s_sub_i32 s2, 0, s0
	s_add_u32 s10, s4, 0x60
	v_rcp_iflag_f32_e32 v1, v1
	s_addc_u32 s11, s5, 0
	v_mul_f32_e32 v1, 0x4f7ffffe, v1
	v_cvt_u32_f32_e32 v1, v1
	v_readfirstlane_b32 s3, v1
	s_mul_i32 s2, s2, s3
	s_mul_hi_u32 s2, s3, s2
	s_add_i32 s3, s3, s2
	s_waitcnt lgkmcnt(0)
	s_mul_hi_u32 s2, s1, s3
	s_mul_i32 s3, s2, s0
	s_sub_i32 s1, s1, s3
	s_add_i32 s9, s2, 1
	s_sub_i32 s3, s1, s0
	s_cmp_ge_u32 s1, s0
	s_cselect_b32 s2, s9, s2
	s_cselect_b32 s1, s3, s1
	s_add_i32 s3, s2, 1
	s_cmp_ge_u32 s1, s0
	s_cselect_b32 s2, s3, s2
	v_cvt_f32_u32_e32 v1, s2
	s_abs_i32 s33, s23
	v_cvt_f32_u32_e32 v2, s33
	s_sub_i32 s0, 0, s2
	v_rcp_iflag_f32_e32 v1, v1
	s_sub_i32 s1, 0, s33
	v_rcp_iflag_f32_e32 v2, v2
	v_mul_f32_e32 v1, 0x4f7ffffe, v1
	v_cvt_u32_f32_e32 v1, v1
	v_mul_f32_e32 v2, 0x4f7ffffe, v2
	v_cvt_u32_f32_e32 v2, v2
	v_readfirstlane_b32 s3, v1
	s_mul_i32 s0, s0, s3
	v_readfirstlane_b32 s34, v2
	s_mul_hi_u32 s0, s3, s0
	s_mul_i32 s1, s1, s34
	s_add_i32 s3, s3, s0
	s_mul_hi_u32 s9, s34, s1
	s_mul_hi_u32 s3, s7, s3
	s_and_saveexec_b64 s[0:1], vcc
	s_cbranch_execz .LBB112_2
; %bb.1:
	v_mov_b32_e32 v1, 0x100
	v_lshl_add_u32 v1, v17, 2, v1
	v_mov_b32_e32 v2, -1
	ds_write_b32 v1, v2
.LBB112_2:
	s_or_b64 exec, exec, s[0:1]
	s_mul_i32 s0, s3, s2
	s_load_dwordx4 s[24:27], s[4:5], 0x54
	s_sub_i32 s0, s7, s0
	s_waitcnt lgkmcnt(0)
	s_abs_i32 s27, s8
	s_add_i32 s34, s34, s9
	s_add_i32 s1, s3, 1
	s_sub_i32 s9, s0, s2
	s_cmp_ge_u32 s0, s2
	s_cselect_b32 s1, s1, s3
	s_cselect_b32 s0, s9, s0
	s_add_i32 s3, s1, 1
	s_cmp_ge_u32 s0, s2
	s_cselect_b32 s0, s3, s1
	s_lshl_b32 s9, s0, 2
	s_mul_i32 s1, s0, s2
	v_add_u32_e32 v1, s9, v17
	s_sub_i32 s7, s7, s1
	v_cmp_gt_i32_e32 vcc, s13, v1
	v_mov_b32_e32 v1, 0
	s_and_saveexec_b64 s[2:3], vcc
	s_cbranch_execz .LBB112_10
; %bb.3:
	v_cmp_gt_i32_e32 vcc, s14, v16
	v_mov_b32_e32 v1, 0
	s_and_saveexec_b64 s[28:29], vcc
	s_cbranch_execz .LBB112_9
; %bb.4:
	s_load_dwordx2 s[0:1], s[4:5], 0x10
	s_mul_hi_i32 s31, s9, s19
	s_mul_i32 s30, s9, s19
	v_mul_lo_u32 v2, v17, s19
	s_lshl_b64 s[30:31], s[30:31], 2
	s_waitcnt lgkmcnt(0)
	s_add_u32 s0, s0, s30
	v_ashrrev_i32_e32 v3, 31, v2
	s_addc_u32 s1, s1, s31
	v_lshlrev_b64 v[2:3], 2, v[2:3]
	v_mov_b32_e32 v4, s1
	v_add_co_u32_e32 v1, vcc, s0, v2
	v_mov_b32_e32 v2, 0x100
	v_addc_co_u32_e32 v4, vcc, v4, v3, vcc
	v_lshl_add_u32 v5, v17, 2, v2
	v_mul_lo_u32 v2, v16, s18
	s_lshl_b32 s35, s18, 6
	s_mov_b64 s[18:19], 0
	v_mov_b32_e32 v6, 0
	v_mov_b32_e32 v7, v16
	s_branch .LBB112_6
.LBB112_5:                              ;   in Loop: Header=BB112_6 Depth=1
	s_or_b64 exec, exec, s[30:31]
	v_add_u32_e32 v7, 64, v7
	v_cmp_le_i32_e64 s[0:1], s14, v7
	s_xor_b64 s[30:31], vcc, -1
	s_or_b64 s[0:1], s[30:31], s[0:1]
	s_and_b64 s[0:1], exec, s[0:1]
	s_or_b64 s[18:19], s[0:1], s[18:19]
	v_add_u32_e32 v2, s35, v2
	s_andn2_b64 exec, exec, s[18:19]
	s_cbranch_execz .LBB112_8
.LBB112_6:                              ; =>This Inner Loop Header: Depth=1
	v_ashrrev_i32_e32 v3, 31, v2
	v_lshlrev_b64 v[8:9], 2, v[2:3]
	v_add_co_u32_e32 v8, vcc, v1, v8
	v_addc_co_u32_e32 v9, vcc, v4, v9, vcc
	global_load_dword v3, v[8:9], off
	s_waitcnt vmcnt(0)
	v_cmp_ne_u32_e32 vcc, s7, v3
	v_cmp_eq_u32_e64 s[0:1], s7, v3
	s_and_saveexec_b64 s[30:31], s[0:1]
	s_cbranch_execz .LBB112_5
; %bb.7:                                ;   in Loop: Header=BB112_6 Depth=1
	v_mov_b32_e32 v6, 1
	ds_write_b32 v5, v7
	s_branch .LBB112_5
.LBB112_8:
	s_or_b64 exec, exec, s[18:19]
	v_cmp_ne_u32_e32 vcc, 0, v6
	v_cndmask_b32_e64 v1, 0, 1, vcc
.LBB112_9:
	s_or_b64 exec, exec, s[28:29]
.LBB112_10:
	s_or_b64 exec, exec, s[2:3]
	s_load_dwordx2 s[0:1], s[10:11], 0xc
	s_load_dwordx4 s[28:31], s[4:5], 0x0
	s_load_dwordx2 s[2:3], s[4:5], 0x18
	v_or_b32_dpp v1, v1, v1 row_shl:1 row_mask:0xf bank_mask:0xf bound_ctrl:1
	s_mul_hi_u32 s4, s27, s34
	s_waitcnt lgkmcnt(0)
	s_and_b32 s5, s1, 0xffff
	s_lshr_b32 s1, s0, 16
	s_and_b32 s0, s0, 0xffff
	v_or_b32_dpp v1, v1, v1 row_shl:2 row_mask:0xf bank_mask:0xf bound_ctrl:1
	s_mul_i32 s10, s1, s0
	s_bfe_i32 s10, s10, 0x180000
	v_or_b32_dpp v1, v1, v1 row_shl:4 row_mask:0xf bank_mask:0xf bound_ctrl:1
	s_mul_i32 s5, s10, s5
	s_add_i32 s10, s5, 63
	v_or_b32_dpp v1, v1, v1 row_shl:8 row_mask:0xf bank_mask:0xf bound_ctrl:1
	s_bitcmp1_b32 exec_hi, 0
	s_nop 0
	v_mov_b32_dpp v2, v1 wave_shl:1 row_mask:0xf bank_mask:0xf bound_ctrl:1
	s_nop 1
	v_or_b32_dpp v1, v2, v1 row_mirror row_mask:0xf bank_mask:0xf bound_ctrl:1
	v_readlane_b32 s5, v1, 32
	s_cselect_b32 s5, s5, 0
	v_readlane_b32 s11, v1, 0
	s_or_b32 s5, s5, s11
	s_andn2_b32 s10, s10, 63
	s_cmp_lg_u32 s10, 64
	v_mov_b32_e32 v1, s5
	s_cbranch_scc0 .LBB112_17
; %bb.11:
	v_bfe_u32 v0, v0, 20, 10
	v_mbcnt_lo_u32_b32 v1, -1, 0
	v_mad_u32_u24 v0, v0, s1, v17
	v_mbcnt_hi_u32_b32 v2, -1, v1
	v_mad_u64_u32 v[0:1], s[0:1], v0, s0, v[16:17]
	v_lshrrev_b32_e32 v1, 6, v0
	v_or_b32_e32 v1, v2, v1
	v_cmp_eq_u32_e32 vcc, 0, v1
	s_and_saveexec_b64 s[0:1], vcc
	s_cbranch_execz .LBB112_13
; %bb.12:
	v_mov_b32_e32 v1, 0
	v_mov_b32_e32 v3, s5
	ds_write_b32 v1, v3
.LBB112_13:
	s_or_b64 exec, exec, s[0:1]
	v_cmp_eq_u32_e32 vcc, 0, v2
	v_cmp_lt_u32_e64 s[0:1], 63, v0
	s_and_b64 s[10:11], s[0:1], vcc
	s_waitcnt lgkmcnt(0)
	s_barrier
	s_and_saveexec_b64 s[0:1], s[10:11]
	s_cbranch_execz .LBB112_16
; %bb.14:
	v_mbcnt_lo_u32_b32 v0, exec_lo, 0
	v_mbcnt_hi_u32_b32 v0, exec_hi, v0
	v_cmp_eq_u32_e32 vcc, 0, v0
	s_and_b64 exec, exec, vcc
	s_cbranch_execz .LBB112_16
; %bb.15:
	v_mov_b32_e32 v0, 0
	v_mov_b32_e32 v1, s5
	ds_or_b32 v0, v1
.LBB112_16:
	s_or_b64 exec, exec, s[0:1]
	v_mov_b32_e32 v0, 0
	s_waitcnt lgkmcnt(0)
	s_barrier
	ds_read_b32 v1, v0
	s_waitcnt lgkmcnt(0)
	s_barrier
.LBB112_17:
	v_cmp_ne_u32_e32 vcc, 0, v1
	s_ashr_i32 s5, s8, 31
	s_ashr_i32 s10, s23, 31
	s_cbranch_vccz .LBB112_39
; %bb.18:
	v_lshlrev_b32_e32 v88, 6, v17
	v_add_u32_e32 v90, v88, v16
	v_cmp_le_i32_e32 vcc, s12, v90
	v_and_b32_e32 v89, 15, v16
                                        ; implicit-def: $sgpr11
	s_and_saveexec_b64 s[0:1], vcc
	s_xor_b64 s[0:1], exec, s[0:1]
; %bb.19:
	v_and_b32_e32 v89, 15, v16
	s_mov_b32 s11, 0
                                        ; implicit-def: $vgpr90
; %bb.20:
	s_or_saveexec_b64 s[0:1], s[0:1]
	s_lshl_b32 s23, s6, 6
	v_mov_b32_e32 v11, s11
	v_mov_b32_e32 v10, s11
	;; [unrolled: 1-line block ×16, first 2 shown]
	s_xor_b64 exec, exec, s[0:1]
	s_cbranch_execz .LBB112_36
; %bb.21:
	s_mul_i32 s6, s4, s33
	s_sub_i32 s6, s27, s6
	s_xor_b32 s5, s5, s10
	s_add_i32 s10, s4, 1
	s_sub_i32 s11, s6, s33
	s_cmp_ge_u32 s6, s33
	s_cselect_b32 s4, s10, s4
	s_cselect_b32 s6, s11, s6
	s_add_i32 s10, s4, 1
	s_cmp_ge_u32 s6, s33
	s_cselect_b32 s4, s10, s4
	s_xor_b32 s4, s4, s5
	s_sub_i32 s4, s4, s5
	s_mul_hi_i32 s5, s4, s24
	s_mul_i32 s4, s4, s24
	s_mul_i32 s6, s7, s20
	s_ashr_i32 s7, s6, 31
	s_lshl_b64 s[34:35], s[4:5], 2
	s_add_u32 s4, s28, s34
	s_addc_u32 s5, s29, s35
	s_lshl_b64 s[36:37], s[6:7], 2
	s_mul_i32 s10, s23, s15
	s_add_u32 s4, s4, s36
	s_addc_u32 s5, s5, s37
	s_ashr_i32 s11, s10, 31
	s_lshl_b64 s[38:39], s[10:11], 2
	s_add_u32 s20, s4, s38
	s_movk_i32 s4, 0x1080
	v_mov_b32_e32 v91, 0x100
	s_addc_u32 s14, s5, s39
	v_mad_u32_u24 v0, v17, s4, v91
	s_mul_hi_i32 s5, s25, s8
	s_mul_i32 s4, s25, s8
	s_mul_hi_i32 s7, s16, s9
	s_mul_i32 s6, s16, s9
	s_lshl_b64 s[6:7], s[6:7], 3
	s_lshl_b64 s[4:5], s[4:5], 2
	s_add_u32 s4, s30, s4
	s_addc_u32 s5, s31, s5
	s_add_u32 s27, s4, s6
	s_addc_u32 s30, s5, s7
	s_cmp_lt_i32 s9, s13
	s_cselect_b64 s[4:5], -1, 0
	s_or_b32 s6, s9, 1
	s_cmp_lt_i32 s6, s13
	s_cselect_b64 s[6:7], -1, 0
	s_or_b32 s10, s9, 2
	s_cmp_lt_i32 s10, s13
	s_cselect_b64 s[10:11], -1, 0
	s_lshl_b32 s31, s16, 2
	s_or_b32 s18, s9, 3
	s_cmp_lt_i32 s18, s13
	s_cselect_b64 s[18:19], -1, 0
	s_ashr_i32 s25, s15, 31
	s_mov_b32 s24, s15
	s_lshl_b64 s[24:25], s[24:25], 2
	s_add_u32 s33, s34, s38
	s_addc_u32 s34, s35, s39
	v_lshrrev_b32_e32 v2, 1, v16
	s_add_u32 s33, s33, s36
	v_mul_u32_u24_e32 v1, 0x108, v89
	v_and_b32_e32 v2, 0x1f8, v2
	s_addc_u32 s34, s34, s37
	v_lshl_add_u32 v92, v16, 2, v0
	v_add3_u32 v93, v0, v1, v2
	v_lshlrev_b32_e32 v0, 1, v16
	s_add_u32 s28, s28, s33
	v_lshl_add_u32 v94, v17, 7, v0
	v_lshlrev_b32_e32 v0, 2, v90
	s_addc_u32 s29, s29, s34
	v_mov_b32_e32 v1, s29
	v_add_co_u32_e32 v18, vcc, s28, v0
	v_mov_b32_e32 v96, 0
	v_addc_co_u32_e32 v19, vcc, 0, v1, vcc
	s_mul_i32 s28, s16, 6
	s_lshl_b32 s16, s16, 1
	s_lshl_b32 s29, s15, 1
	s_mul_i32 s33, s15, 3
	s_lshl_b32 s34, s15, 2
	s_mul_i32 s35, s15, 5
	s_mul_i32 s36, s15, 6
	;; [unrolled: 1-line block ×3, first 2 shown]
	s_lshl_b32 s38, s15, 3
	s_mul_i32 s39, s15, 9
	s_mul_i32 s40, s15, 10
	;; [unrolled: 1-line block ×7, first 2 shown]
	s_lshl_b32 s46, s15, 4
	s_mul_i32 s47, s15, 17
	s_mul_i32 s48, s15, 18
	;; [unrolled: 1-line block ×15, first 2 shown]
	s_lshl_b32 s62, s15, 5
	s_mul_i32 s63, s15, 33
	s_mul_i32 s64, s15, 34
	;; [unrolled: 1-line block ×11, first 2 shown]
	v_mov_b32_e32 v95, s14
	s_mul_i32 s74, s15, 44
	v_mov_b32_e32 v97, s25
	v_mov_b32_e32 v12, 0
	;; [unrolled: 1-line block ×17, first 2 shown]
	s_mul_i32 s25, s15, 45
	s_mul_i32 s75, s15, 46
	;; [unrolled: 1-line block ×19, first 2 shown]
	s_mov_b64 s[14:15], 0
	s_branch .LBB112_23
.LBB112_22:                             ;   in Loop: Header=BB112_23 Depth=1
	s_waitcnt vmcnt(0)
	v_cvt_f16_f32_e32 v84, v84
	v_cvt_f16_f32_e32 v85, v85
	v_add_u32_e32 v86, 0x200, v92
	v_add_u32_e32 v87, 0x400, v92
	v_add_co_u32_e32 v18, vcc, 0x500, v18
	v_pack_b32_f16 v84, v84, v85
	ds_write2_b32 v86, v84, v96 offset0:86 offset1:152
	ds_write2_b32 v87, v96, v96 offset0:90 offset1:156
	v_add_u32_e32 v84, 0x600, v92
	ds_write2_b32 v84, v96, v96 offset0:94 offset1:160
	v_add_u32_e32 v84, 0x800, v92
	;; [unrolled: 2-line block ×4, first 2 shown]
	ds_write2_b32 v84, v96, v96 offset0:106 offset1:172
	ds_write_b32 v92, v96 offset:4024
	ds_read2_b64 v[84:87], v93 offset0:8 offset1:12
	s_waitcnt lgkmcnt(0)
	v_mfma_f32_16x16x16f16 v[8:11], v[36:37], v[84:85], v[8:11]
	v_add_u32_e32 v90, 0x140, v90
	v_addc_co_u32_e32 v19, vcc, 0, v19, vcc
	v_cmp_le_i32_e32 vcc, s12, v90
	v_add_u32_e32 v94, 0x280, v94
	s_or_b64 s[14:15], vcc, s[14:15]
	v_mfma_f32_16x16x16f16 v[4:7], v[52:53], v[84:85], v[4:7]
	v_mfma_f32_16x16x16f16 v[0:3], v[66:67], v[84:85], v[0:3]
	;; [unrolled: 1-line block ×5, first 2 shown]
	ds_read2_b64 v[50:53], v93 offset0:16 offset1:20
	v_mfma_f32_16x16x16f16 v[0:3], v[64:65], v[86:87], v[0:3]
	v_mfma_f32_16x16x16f16 v[12:15], v[80:81], v[86:87], v[12:15]
	s_waitcnt lgkmcnt(0)
	v_mfma_f32_16x16x16f16 v[8:11], v[30:31], v[50:51], v[8:11]
	v_mfma_f32_16x16x16f16 v[4:7], v[46:47], v[50:51], v[4:7]
	;; [unrolled: 1-line block ×5, first 2 shown]
	ds_read2_b64 v[28:31], v93 offset0:24 offset1:28
	v_mfma_f32_16x16x16f16 v[4:7], v[44:45], v[52:53], v[4:7]
	v_mfma_f32_16x16x16f16 v[0:3], v[60:61], v[52:53], v[0:3]
	;; [unrolled: 1-line block ×3, first 2 shown]
	s_waitcnt lgkmcnt(0)
	v_mfma_f32_16x16x16f16 v[8:11], v[26:27], v[28:29], v[8:11]
	v_mfma_f32_16x16x16f16 v[4:7], v[42:43], v[28:29], v[4:7]
	;; [unrolled: 1-line block ×5, first 2 shown]
	ds_read2_b64 v[24:27], v93 offset0:32 offset1:36
	v_mfma_f32_16x16x16f16 v[4:7], v[40:41], v[30:31], v[4:7]
	v_mfma_f32_16x16x16f16 v[0:3], v[56:57], v[30:31], v[0:3]
	;; [unrolled: 1-line block ×3, first 2 shown]
	s_waitcnt lgkmcnt(0)
	v_mfma_f32_16x16x16f16 v[8:11], v[22:23], v[24:25], v[8:11]
	v_mfma_f32_16x16x16f16 v[4:7], v[38:39], v[24:25], v[4:7]
	;; [unrolled: 1-line block ×8, first 2 shown]
	s_andn2_b64 exec, exec, s[14:15]
	s_cbranch_execz .LBB112_35
.LBB112_23:                             ; =>This Inner Loop Header: Depth=1
	v_add_co_u32_e32 v20, vcc, s24, v18
	v_addc_co_u32_e32 v21, vcc, v19, v97, vcc
	global_load_dword v32, v[18:19], off
	global_load_dword v33, v[20:21], off
	v_add_u32_e32 v20, s29, v90
	v_ashrrev_i32_e32 v21, 31, v20
	v_lshlrev_b64 v[20:21], 2, v[20:21]
	v_add_u32_e32 v22, s33, v90
	v_add_co_u32_e32 v20, vcc, s20, v20
	v_ashrrev_i32_e32 v23, 31, v22
	v_addc_co_u32_e32 v21, vcc, v95, v21, vcc
	v_lshlrev_b64 v[22:23], 2, v[22:23]
	v_add_u32_e32 v24, s34, v90
	v_add_co_u32_e32 v22, vcc, s20, v22
	v_ashrrev_i32_e32 v25, 31, v24
	v_addc_co_u32_e32 v23, vcc, v95, v23, vcc
	;; [unrolled: 5-line block ×5, first 2 shown]
	v_lshlrev_b64 v[30:31], 2, v[30:31]
	v_add_co_u32_e32 v30, vcc, s20, v30
	v_addc_co_u32_e32 v31, vcc, v95, v31, vcc
	global_load_dword v34, v[20:21], off
	global_load_dword v35, v[22:23], off
	global_load_dword v36, v[24:25], off
	s_nop 0
	global_load_dword v26, v[26:27], off
	s_nop 0
	global_load_dword v27, v[28:29], off
	;; [unrolled: 2-line block ×3, first 2 shown]
	v_add_u32_e32 v20, s38, v90
	v_ashrrev_i32_e32 v21, 31, v20
	v_add_u32_e32 v22, s39, v90
	v_lshlrev_b64 v[20:21], 2, v[20:21]
	v_ashrrev_i32_e32 v23, 31, v22
	v_add_co_u32_e32 v20, vcc, s20, v20
	v_add_u32_e32 v24, s40, v90
	v_lshlrev_b64 v[22:23], 2, v[22:23]
	v_addc_co_u32_e32 v21, vcc, v95, v21, vcc
	v_ashrrev_i32_e32 v25, 31, v24
	v_add_co_u32_e32 v22, vcc, s20, v22
	v_lshlrev_b64 v[24:25], 2, v[24:25]
	v_addc_co_u32_e32 v23, vcc, v95, v23, vcc
	global_load_dword v20, v[20:21], off
	s_nop 0
	global_load_dword v21, v[22:23], off
	v_add_u32_e32 v22, s41, v90
	v_add_co_u32_e32 v24, vcc, s20, v24
	v_ashrrev_i32_e32 v23, 31, v22
	v_addc_co_u32_e32 v25, vcc, v95, v25, vcc
	v_lshlrev_b64 v[22:23], 2, v[22:23]
	v_add_u32_e32 v60, s71, v90
	v_ashrrev_i32_e32 v61, 31, v60
	v_lshlrev_b64 v[60:61], 2, v[60:61]
	s_waitcnt vmcnt(9)
	ds_write_b32 v92, v32 offset:64
	s_waitcnt vmcnt(8)
	ds_write_b32 v92, v33 offset:328
	;; [unrolled: 2-line block ×8, first 2 shown]
	v_add_co_u32_e32 v26, vcc, s20, v22
	v_add_u32_e32 v22, s42, v90
	v_addc_co_u32_e32 v27, vcc, v95, v23, vcc
	v_ashrrev_i32_e32 v23, 31, v22
	v_lshlrev_b64 v[22:23], 2, v[22:23]
	v_add_co_u32_e32 v28, vcc, s20, v22
	v_add_u32_e32 v22, s43, v90
	v_addc_co_u32_e32 v29, vcc, v95, v23, vcc
	v_ashrrev_i32_e32 v23, 31, v22
	v_lshlrev_b64 v[22:23], 2, v[22:23]
	;; [unrolled: 5-line block ×6, first 2 shown]
	v_add_co_u32_e32 v38, vcc, s20, v22
	v_addc_co_u32_e32 v39, vcc, v95, v23, vcc
	global_load_dword v22, v[24:25], off
	global_load_dword v23, v[26:27], off
	s_nop 0
	global_load_dword v24, v[28:29], off
	global_load_dword v25, v[30:31], off
	;; [unrolled: 1-line block ×4, first 2 shown]
	s_nop 0
	global_load_dword v34, v[36:37], off
	global_load_dword v35, v[38:39], off
	v_add_u32_e32 v28, s48, v90
	v_ashrrev_i32_e32 v29, 31, v28
	v_lshlrev_b64 v[28:29], 2, v[28:29]
	v_add_u32_e32 v30, s49, v90
	v_add_co_u32_e32 v28, vcc, s20, v28
	v_ashrrev_i32_e32 v31, 31, v30
	v_addc_co_u32_e32 v29, vcc, v95, v29, vcc
	v_lshlrev_b64 v[30:31], 2, v[30:31]
	v_add_u32_e32 v32, s50, v90
	v_add_co_u32_e32 v30, vcc, s20, v30
	v_ashrrev_i32_e32 v33, 31, v32
	v_addc_co_u32_e32 v31, vcc, v95, v31, vcc
	;; [unrolled: 5-line block ×4, first 2 shown]
	v_lshlrev_b64 v[38:39], 2, v[38:39]
	v_add_co_u32_e32 v42, vcc, s20, v38
	v_add_u32_e32 v38, s53, v90
	v_addc_co_u32_e32 v43, vcc, v95, v39, vcc
	v_ashrrev_i32_e32 v39, 31, v38
	v_lshlrev_b64 v[38:39], 2, v[38:39]
	v_add_co_u32_e32 v44, vcc, s20, v38
	v_add_u32_e32 v38, s54, v90
	v_addc_co_u32_e32 v45, vcc, v95, v39, vcc
	v_ashrrev_i32_e32 v39, 31, v38
	;; [unrolled: 5-line block ×3, first 2 shown]
	v_lshlrev_b64 v[38:39], 2, v[38:39]
	v_add_co_u32_e32 v48, vcc, s20, v38
	v_addc_co_u32_e32 v49, vcc, v95, v39, vcc
	global_load_dword v38, v[28:29], off
	global_load_dword v39, v[30:31], off
	;; [unrolled: 1-line block ×4, first 2 shown]
	s_nop 0
	global_load_dword v42, v[42:43], off
	s_nop 0
	global_load_dword v43, v[44:45], off
	;; [unrolled: 2-line block ×3, first 2 shown]
	global_load_dword v45, v[48:49], off
	v_add_u32_e32 v28, s56, v90
	v_ashrrev_i32_e32 v29, 31, v28
	v_lshlrev_b64 v[28:29], 2, v[28:29]
	v_add_u32_e32 v30, s57, v90
	v_add_co_u32_e32 v28, vcc, s20, v28
	v_ashrrev_i32_e32 v31, 31, v30
	v_addc_co_u32_e32 v29, vcc, v95, v29, vcc
	v_lshlrev_b64 v[30:31], 2, v[30:31]
	v_add_u32_e32 v32, s58, v90
	v_add_co_u32_e32 v30, vcc, s20, v30
	v_ashrrev_i32_e32 v33, 31, v32
	v_addc_co_u32_e32 v31, vcc, v95, v31, vcc
	;; [unrolled: 5-line block ×4, first 2 shown]
	v_lshlrev_b64 v[46:47], 2, v[46:47]
	v_add_co_u32_e32 v48, vcc, s20, v46
	v_add_u32_e32 v46, s61, v90
	v_addc_co_u32_e32 v49, vcc, v95, v47, vcc
	v_ashrrev_i32_e32 v47, 31, v46
	v_lshlrev_b64 v[46:47], 2, v[46:47]
	v_add_co_u32_e32 v54, vcc, s20, v46
	v_add_u32_e32 v46, s62, v90
	v_addc_co_u32_e32 v55, vcc, v95, v47, vcc
	v_ashrrev_i32_e32 v47, 31, v46
	v_lshlrev_b64 v[46:47], 2, v[46:47]
	v_add_co_u32_e32 v56, vcc, s20, v46
	v_add_u32_e32 v46, s63, v90
	v_addc_co_u32_e32 v57, vcc, v95, v47, vcc
	v_ashrrev_i32_e32 v47, 31, v46
	v_lshlrev_b64 v[46:47], 2, v[46:47]
	v_add_co_u32_e32 v58, vcc, s20, v46
	v_addc_co_u32_e32 v59, vcc, v95, v47, vcc
	global_load_dword v46, v[28:29], off
	global_load_dword v47, v[30:31], off
	;; [unrolled: 1-line block ×6, first 2 shown]
	s_nop 0
	global_load_dword v48, v[56:57], off
	global_load_dword v49, v[58:59], off
	v_add_u32_e32 v28, s64, v90
	v_ashrrev_i32_e32 v29, 31, v28
	v_lshlrev_b64 v[28:29], 2, v[28:29]
	v_add_u32_e32 v30, s65, v90
	v_add_co_u32_e32 v28, vcc, s20, v28
	v_ashrrev_i32_e32 v31, 31, v30
	v_addc_co_u32_e32 v29, vcc, v95, v29, vcc
	v_lshlrev_b64 v[30:31], 2, v[30:31]
	v_add_u32_e32 v32, s66, v90
	v_add_co_u32_e32 v30, vcc, s20, v30
	v_ashrrev_i32_e32 v33, 31, v32
	v_addc_co_u32_e32 v31, vcc, v95, v31, vcc
	;; [unrolled: 5-line block ×6, first 2 shown]
	v_lshlrev_b64 v[58:59], 2, v[58:59]
	v_add_co_u32_e32 v58, vcc, s20, v58
	v_addc_co_u32_e32 v59, vcc, v95, v59, vcc
	v_add_co_u32_e32 v60, vcc, s20, v60
	v_addc_co_u32_e32 v61, vcc, v95, v61, vcc
	global_load_dword v62, v[28:29], off
	global_load_dword v63, v[30:31], off
	global_load_dword v64, v[32:33], off
	global_load_dword v65, v[36:37], off
	global_load_dword v66, v[54:55], off
	global_load_dword v67, v[56:57], off
	global_load_dword v68, v[58:59], off
	global_load_dword v69, v[60:61], off
	v_add_u32_e32 v28, s72, v90
	v_ashrrev_i32_e32 v29, 31, v28
	v_lshlrev_b64 v[28:29], 2, v[28:29]
	v_add_u32_e32 v30, s73, v90
	v_add_co_u32_e32 v28, vcc, s20, v28
	v_ashrrev_i32_e32 v31, 31, v30
	v_addc_co_u32_e32 v29, vcc, v95, v29, vcc
	v_lshlrev_b64 v[30:31], 2, v[30:31]
	v_add_u32_e32 v32, s74, v90
	v_add_co_u32_e32 v30, vcc, s20, v30
	v_ashrrev_i32_e32 v33, 31, v32
	v_addc_co_u32_e32 v31, vcc, v95, v31, vcc
	;; [unrolled: 5-line block ×7, first 2 shown]
	v_lshlrev_b64 v[60:61], 2, v[60:61]
	v_add_co_u32_e32 v60, vcc, s20, v60
	v_addc_co_u32_e32 v61, vcc, v95, v61, vcc
	global_load_dword v70, v[28:29], off
	global_load_dword v71, v[30:31], off
	;; [unrolled: 1-line block ×8, first 2 shown]
	v_add_u32_e32 v28, s79, v90
	v_ashrrev_i32_e32 v29, 31, v28
	v_lshlrev_b64 v[28:29], 2, v[28:29]
	v_add_u32_e32 v30, s80, v90
	v_add_co_u32_e32 v28, vcc, s20, v28
	v_ashrrev_i32_e32 v31, 31, v30
	v_addc_co_u32_e32 v29, vcc, v95, v29, vcc
	v_lshlrev_b64 v[30:31], 2, v[30:31]
	v_add_u32_e32 v32, s81, v90
	v_add_co_u32_e32 v30, vcc, s20, v30
	v_ashrrev_i32_e32 v33, 31, v32
	v_addc_co_u32_e32 v31, vcc, v95, v31, vcc
	;; [unrolled: 5-line block ×7, first 2 shown]
	v_lshlrev_b64 v[60:61], 2, v[60:61]
	v_add_co_u32_e32 v60, vcc, s20, v60
	v_addc_co_u32_e32 v61, vcc, v95, v61, vcc
	global_load_dword v78, v[28:29], off
	global_load_dword v79, v[30:31], off
	global_load_dword v80, v[32:33], off
	global_load_dword v81, v[36:37], off
	global_load_dword v82, v[54:55], off
	global_load_dword v83, v[56:57], off
	global_load_dword v84, v[58:59], off
	global_load_dword v85, v[60:61], off
	v_add_u32_e32 v28, s87, v90
	v_ashrrev_i32_e32 v29, 31, v28
	v_lshlrev_b64 v[28:29], 2, v[28:29]
	v_add_u32_e32 v30, s88, v90
	v_add_co_u32_e32 v28, vcc, s20, v28
	v_ashrrev_i32_e32 v31, 31, v30
	v_addc_co_u32_e32 v29, vcc, v95, v29, vcc
	v_lshlrev_b64 v[30:31], 2, v[30:31]
	v_add_u32_e32 v32, s89, v90
	v_add_co_u32_e32 v30, vcc, s20, v30
	v_ashrrev_i32_e32 v33, 31, v32
	v_addc_co_u32_e32 v31, vcc, v95, v31, vcc
	;; [unrolled: 5-line block ×5, first 2 shown]
	v_lshlrev_b64 v[56:57], 2, v[56:57]
	v_add_co_u32_e32 v56, vcc, s20, v56
	v_addc_co_u32_e32 v57, vcc, v95, v57, vcc
	global_load_dword v86, v[28:29], off
	global_load_dword v87, v[30:31], off
	;; [unrolled: 1-line block ×6, first 2 shown]
	s_waitcnt vmcnt(55)
	ds_write_b32 v92, v20 offset:2176
	s_waitcnt vmcnt(54)
	ds_write_b32 v92, v21 offset:2440
	s_waitcnt vmcnt(53)
	ds_write_b32 v92, v22 offset:2704
	s_waitcnt vmcnt(52)
	ds_write_b32 v92, v23 offset:2968
	s_waitcnt vmcnt(51)
	ds_write_b32 v92, v24 offset:3232
	s_waitcnt vmcnt(50)
	ds_write_b32 v92, v25 offset:3496
	s_waitcnt vmcnt(49)
	ds_write_b32 v92, v26 offset:3760
	s_waitcnt vmcnt(48)
	ds_write_b32 v92, v27 offset:4024
	ds_read_b64 v[36:37], v93 offset:64
	ds_read_b64 v[32:33], v93 offset:96
	ds_read_b64 v[30:31], v93 offset:128
	ds_read_b64 v[28:29], v93 offset:160
	ds_read_b64 v[26:27], v93 offset:192
	ds_read_b64 v[24:25], v93 offset:224
	ds_read_b64 v[22:23], v93 offset:256
	ds_read_b64 v[20:21], v93 offset:288
	s_waitcnt vmcnt(47)
	ds_write_b32 v92, v34 offset:64
	s_waitcnt vmcnt(46)
	ds_write_b32 v92, v35 offset:328
	s_waitcnt vmcnt(45)
	ds_write_b32 v92, v38 offset:592
	s_waitcnt vmcnt(44)
	ds_write_b32 v92, v39 offset:856
	s_waitcnt vmcnt(43)
	ds_write_b32 v92, v40 offset:1120
	s_waitcnt vmcnt(42)
	ds_write_b32 v92, v41 offset:1384
	s_waitcnt vmcnt(41)
	ds_write_b32 v92, v42 offset:1648
	s_waitcnt vmcnt(40)
	ds_write_b32 v92, v43 offset:1912
	s_waitcnt vmcnt(39)
	ds_write_b32 v92, v44 offset:2176
	s_waitcnt vmcnt(38)
	ds_write_b32 v92, v45 offset:2440
	s_waitcnt vmcnt(37)
	ds_write_b32 v92, v46 offset:2704
	s_waitcnt vmcnt(36)
	ds_write_b32 v92, v47 offset:2968
	s_waitcnt vmcnt(35)
	ds_write_b32 v92, v50 offset:3232
	s_waitcnt vmcnt(34)
	ds_write_b32 v92, v51 offset:3496
	s_waitcnt vmcnt(33)
	ds_write_b32 v92, v52 offset:3760
	s_waitcnt vmcnt(32)
	ds_write_b32 v92, v53 offset:4024
	ds_read_b64 v[52:53], v93 offset:64
	ds_read_b64 v[50:51], v93 offset:96
	ds_read_b64 v[46:47], v93 offset:128
	ds_read_b64 v[44:45], v93 offset:160
	ds_read_b64 v[42:43], v93 offset:192
	ds_read_b64 v[40:41], v93 offset:224
	ds_read_b64 v[38:39], v93 offset:256
	ds_read_b64 v[34:35], v93 offset:288
	s_waitcnt vmcnt(31)
	ds_write_b32 v92, v48 offset:64
	s_waitcnt vmcnt(30)
	ds_write_b32 v92, v49 offset:328
	s_waitcnt vmcnt(29)
	ds_write_b32 v92, v62 offset:592
	s_waitcnt vmcnt(28)
	ds_write_b32 v92, v63 offset:856
	s_waitcnt vmcnt(27)
	ds_write_b32 v92, v64 offset:1120
	s_waitcnt vmcnt(26)
	ds_write_b32 v92, v65 offset:1384
	s_waitcnt vmcnt(25)
	ds_write_b32 v92, v66 offset:1648
	s_waitcnt vmcnt(24)
	ds_write_b32 v92, v67 offset:1912
	;; [unrolled: 40-line block ×3, first 2 shown]
	s_waitcnt vmcnt(7)
	ds_write_b32 v92, v84 offset:2176
	s_waitcnt vmcnt(6)
	ds_write_b32 v92, v85 offset:2440
	;; [unrolled: 2-line block ×8, first 2 shown]
	ds_read_b64 v[82:83], v93 offset:64
	ds_read_b64 v[80:81], v93 offset:96
	;; [unrolled: 1-line block ×8, first 2 shown]
	s_andn2_b64 vcc, exec, s[4:5]
	v_mov_b32_e32 v84, 0
	v_mov_b32_e32 v85, 0
	s_cbranch_vccnz .LBB112_26
; %bb.24:                               ;   in Loop: Header=BB112_23 Depth=1
	ds_read_b32 v86, v91
	v_mov_b32_e32 v85, 0
	v_mov_b32_e32 v84, 0
	s_waitcnt lgkmcnt(0)
	v_cmp_gt_i32_e32 vcc, 0, v86
	s_cbranch_vccnz .LBB112_26
; %bb.25:                               ;   in Loop: Header=BB112_23 Depth=1
	v_mul_lo_u32 v84, v86, s21
	v_add_u32_e32 v84, v94, v84
	v_ashrrev_i32_e32 v85, 31, v84
	v_lshlrev_b64 v[84:85], 2, v[84:85]
	v_mov_b32_e32 v86, s30
	v_add_co_u32_e32 v84, vcc, s27, v84
	v_addc_co_u32_e32 v85, vcc, v86, v85, vcc
	global_load_dwordx2 v[84:85], v[84:85], off
.LBB112_26:                             ;   in Loop: Header=BB112_23 Depth=1
	s_waitcnt vmcnt(0)
	v_cvt_f16_f32_e32 v84, v84
	v_cvt_f16_f32_e32 v85, v85
	s_andn2_b64 vcc, exec, s[6:7]
	v_mov_b32_e32 v86, 0
	v_mov_b32_e32 v87, 0
	v_pack_b32_f16 v84, v84, v85
	ds_write_b32 v92, v84 offset:64
	v_mov_b32_e32 v84, 0
	s_cbranch_vccnz .LBB112_29
; %bb.27:                               ;   in Loop: Header=BB112_23 Depth=1
	ds_read_b32 v85, v91 offset:4
	v_mov_b32_e32 v87, 0
	v_mov_b32_e32 v86, 0
	s_waitcnt lgkmcnt(0)
	v_cmp_gt_i32_e32 vcc, 0, v85
	s_cbranch_vccnz .LBB112_29
; %bb.28:                               ;   in Loop: Header=BB112_23 Depth=1
	v_mul_lo_u32 v85, v85, s21
	v_add_u32_e32 v85, s16, v85
	v_add_u32_e32 v86, v85, v94
	v_ashrrev_i32_e32 v87, 31, v86
	v_lshlrev_b64 v[86:87], 2, v[86:87]
	v_mov_b32_e32 v85, s30
	v_add_co_u32_e32 v86, vcc, s27, v86
	v_addc_co_u32_e32 v87, vcc, v85, v87, vcc
	global_load_dwordx2 v[86:87], v[86:87], off
.LBB112_29:                             ;   in Loop: Header=BB112_23 Depth=1
	s_waitcnt vmcnt(0)
	v_cvt_f16_f32_e32 v85, v86
	v_cvt_f16_f32_e32 v86, v87
	s_andn2_b64 vcc, exec, s[10:11]
	v_pack_b32_f16 v85, v85, v86
	ds_write_b32 v92, v85 offset:328
	v_mov_b32_e32 v85, 0
	s_cbranch_vccnz .LBB112_32
; %bb.30:                               ;   in Loop: Header=BB112_23 Depth=1
	ds_read_b32 v86, v91 offset:8
	v_mov_b32_e32 v85, 0
	v_mov_b32_e32 v84, 0
	s_waitcnt lgkmcnt(0)
	v_cmp_gt_i32_e32 vcc, 0, v86
	s_cbranch_vccnz .LBB112_32
; %bb.31:                               ;   in Loop: Header=BB112_23 Depth=1
	v_mul_lo_u32 v84, v86, s21
	v_add_u32_e32 v84, s31, v84
	v_add_u32_e32 v84, v84, v94
	v_ashrrev_i32_e32 v85, 31, v84
	v_lshlrev_b64 v[84:85], 2, v[84:85]
	v_mov_b32_e32 v86, s30
	v_add_co_u32_e32 v84, vcc, s27, v84
	v_addc_co_u32_e32 v85, vcc, v86, v85, vcc
	global_load_dwordx2 v[84:85], v[84:85], off
.LBB112_32:                             ;   in Loop: Header=BB112_23 Depth=1
	s_waitcnt vmcnt(0)
	v_cvt_f16_f32_e32 v84, v84
	v_cvt_f16_f32_e32 v85, v85
	s_andn2_b64 vcc, exec, s[18:19]
	v_pack_b32_f16 v84, v84, v85
	ds_write_b32 v92, v84 offset:592
	v_mov_b32_e32 v84, 0
	v_mov_b32_e32 v85, 0
	s_cbranch_vccnz .LBB112_22
; %bb.33:                               ;   in Loop: Header=BB112_23 Depth=1
	ds_read_b32 v86, v91 offset:12
	v_mov_b32_e32 v85, 0
	v_mov_b32_e32 v84, 0
	s_waitcnt lgkmcnt(0)
	v_cmp_gt_i32_e32 vcc, 0, v86
	s_cbranch_vccnz .LBB112_22
; %bb.34:                               ;   in Loop: Header=BB112_23 Depth=1
	v_mul_lo_u32 v84, v86, s21
	v_add_u32_e32 v84, s28, v84
	v_add_u32_e32 v84, v84, v94
	v_ashrrev_i32_e32 v85, 31, v84
	v_lshlrev_b64 v[84:85], 2, v[84:85]
	v_mov_b32_e32 v86, s30
	v_add_co_u32_e32 v84, vcc, s27, v84
	v_addc_co_u32_e32 v85, vcc, v86, v85, vcc
	global_load_dwordx2 v[84:85], v[84:85], off
	s_branch .LBB112_22
.LBB112_35:
	s_or_b64 exec, exec, s[14:15]
.LBB112_36:
	s_or_b64 exec, exec, s[0:1]
	v_mul_u32_u24_e32 v18, 0x508, v89
	s_movk_i32 s4, 0x100
	v_lshlrev_b32_e32 v19, 2, v88
	v_add3_u32 v18, s4, v18, v19
	v_and_b32_e32 v20, 0x3f0, v16
	v_add_u32_e32 v21, v18, v20
	s_barrier
	v_add_u32_e32 v19, 64, v18
	ds_write2_b32 v21, v8, v9 offset0:16 offset1:17
	v_or_b32_e32 v9, 12, v16
	v_add_u32_e32 v8, v19, v20
	v_and_b32_e32 v9, 0x3fc, v9
	ds_write_b32 v8, v10 offset:8
	v_add_u32_e32 v10, v18, v9
	ds_write_b32 v10, v11 offset:64
	ds_write2_b32 v8, v4, v5 offset0:16 offset1:17
	ds_write_b32 v8, v6 offset:72
	v_add_u32_e32 v4, v19, v9
	v_cmp_gt_u32_e32 vcc, 4, v17
	ds_write_b32 v4, v7 offset:64
	ds_write2_b32 v8, v0, v1 offset0:32 offset1:33
	ds_write_b32 v8, v2 offset:136
	ds_write_b32 v4, v3 offset:128
	ds_write2_b32 v8, v12, v13 offset0:48 offset1:49
	ds_write_b32 v8, v14 offset:200
	ds_write_b32 v4, v15 offset:192
	s_waitcnt lgkmcnt(0)
	s_barrier
	s_and_saveexec_b64 s[0:1], vcc
	s_cbranch_execz .LBB112_39
; %bb.37:
	v_mov_b32_e32 v0, 0x100
	v_lshl_add_u32 v0, v17, 2, v0
	ds_read_b32 v0, v0
	v_or_b32_e32 v1, s9, v17
	v_cmp_gt_i32_e64 s[0:1], s13, v1
	s_waitcnt lgkmcnt(0)
	v_cmp_lt_i32_e32 vcc, -1, v0
	s_and_b64 s[0:1], vcc, s[0:1]
	s_and_b64 exec, exec, s[0:1]
	s_cbranch_execz .LBB112_39
; %bb.38:
	v_lshlrev_b32_e32 v2, 2, v16
	v_mul_u32_u24_e32 v3, 0x508, v17
	v_add3_u32 v6, s4, v2, v3
	ds_read2_b32 v[2:3], v6 offset0:16 offset1:80
	s_mul_hi_i32 s1, s26, s8
	s_mul_i32 s0, s26, s8
	ds_read2_b32 v[4:5], v6 offset0:144 offset1:208
	s_lshl_b64 s[0:1], s[0:1], 2
	s_mul_hi_i32 s7, s9, s17
	s_mul_i32 s6, s9, s17
	s_add_u32 s2, s2, s0
	ds_read_b32 v6, v6 offset:1088
	s_waitcnt lgkmcnt(2)
	v_add_f32_e32 v2, 0, v2
	v_add_u32_e32 v1, s23, v16
	s_addc_u32 s3, s3, s1
	s_lshl_b64 s[0:1], s[6:7], 2
	v_add_f32_e32 v2, v2, v3
	v_mul_lo_u32 v0, v0, s22
	v_mul_lo_u32 v3, v17, s17
	s_add_u32 s0, s2, s0
	v_add3_u32 v0, v1, v3, v0
	v_mov_b32_e32 v1, 0
	s_addc_u32 s1, s3, s1
	s_waitcnt lgkmcnt(1)
	v_add_f32_e32 v2, v2, v4
	v_lshlrev_b64 v[0:1], 2, v[0:1]
	v_add_f32_e32 v2, v2, v5
	v_mov_b32_e32 v3, s1
	v_add_co_u32_e32 v0, vcc, s0, v0
	s_waitcnt lgkmcnt(0)
	v_add_f32_e32 v2, v2, v6
	v_addc_co_u32_e32 v1, vcc, v3, v1, vcc
	global_store_dword v[0:1], v2, off
.LBB112_39:
	s_endpgm
	.section	.rodata,"a",@progbits
	.p2align	6, 0x0
	.amdhsa_kernel _ZL9mul_mat_fI7__half2Li64ELi4ELi5ELb1EEvPKT_PKfPKiPfiiiiiiiiiiiiiiii
		.amdhsa_group_segment_fixed_size 256
		.amdhsa_private_segment_fixed_size 0
		.amdhsa_kernarg_size 352
		.amdhsa_user_sgpr_count 6
		.amdhsa_user_sgpr_private_segment_buffer 1
		.amdhsa_user_sgpr_dispatch_ptr 0
		.amdhsa_user_sgpr_queue_ptr 0
		.amdhsa_user_sgpr_kernarg_segment_ptr 1
		.amdhsa_user_sgpr_dispatch_id 0
		.amdhsa_user_sgpr_flat_scratch_init 0
		.amdhsa_user_sgpr_kernarg_preload_length 0
		.amdhsa_user_sgpr_kernarg_preload_offset 0
		.amdhsa_user_sgpr_private_segment_size 0
		.amdhsa_uses_dynamic_stack 0
		.amdhsa_system_sgpr_private_segment_wavefront_offset 0
		.amdhsa_system_sgpr_workgroup_id_x 1
		.amdhsa_system_sgpr_workgroup_id_y 1
		.amdhsa_system_sgpr_workgroup_id_z 1
		.amdhsa_system_sgpr_workgroup_info 0
		.amdhsa_system_vgpr_workitem_id 2
		.amdhsa_next_free_vgpr 102
		.amdhsa_next_free_sgpr 93
		.amdhsa_accum_offset 104
		.amdhsa_reserve_vcc 1
		.amdhsa_reserve_flat_scratch 0
		.amdhsa_float_round_mode_32 0
		.amdhsa_float_round_mode_16_64 0
		.amdhsa_float_denorm_mode_32 3
		.amdhsa_float_denorm_mode_16_64 3
		.amdhsa_dx10_clamp 1
		.amdhsa_ieee_mode 1
		.amdhsa_fp16_overflow 0
		.amdhsa_tg_split 0
		.amdhsa_exception_fp_ieee_invalid_op 0
		.amdhsa_exception_fp_denorm_src 0
		.amdhsa_exception_fp_ieee_div_zero 0
		.amdhsa_exception_fp_ieee_overflow 0
		.amdhsa_exception_fp_ieee_underflow 0
		.amdhsa_exception_fp_ieee_inexact 0
		.amdhsa_exception_int_div_zero 0
	.end_amdhsa_kernel
	.section	.text._ZL9mul_mat_fI7__half2Li64ELi4ELi5ELb1EEvPKT_PKfPKiPfiiiiiiiiiiiiiiii,"axG",@progbits,_ZL9mul_mat_fI7__half2Li64ELi4ELi5ELb1EEvPKT_PKfPKiPfiiiiiiiiiiiiiiii,comdat
.Lfunc_end112:
	.size	_ZL9mul_mat_fI7__half2Li64ELi4ELi5ELb1EEvPKT_PKfPKiPfiiiiiiiiiiiiiiii, .Lfunc_end112-_ZL9mul_mat_fI7__half2Li64ELi4ELi5ELb1EEvPKT_PKfPKiPfiiiiiiiiiiiiiiii
                                        ; -- End function
	.section	.AMDGPU.csdata,"",@progbits
; Kernel info:
; codeLenInByte = 6216
; NumSgprs: 97
; NumVgprs: 102
; NumAgprs: 0
; TotalNumVgprs: 102
; ScratchSize: 0
; MemoryBound: 0
; FloatMode: 240
; IeeeMode: 1
; LDSByteSize: 256 bytes/workgroup (compile time only)
; SGPRBlocks: 12
; VGPRBlocks: 12
; NumSGPRsForWavesPerEU: 97
; NumVGPRsForWavesPerEU: 102
; AccumOffset: 104
; Occupancy: 4
; WaveLimiterHint : 0
; COMPUTE_PGM_RSRC2:SCRATCH_EN: 0
; COMPUTE_PGM_RSRC2:USER_SGPR: 6
; COMPUTE_PGM_RSRC2:TRAP_HANDLER: 0
; COMPUTE_PGM_RSRC2:TGID_X_EN: 1
; COMPUTE_PGM_RSRC2:TGID_Y_EN: 1
; COMPUTE_PGM_RSRC2:TGID_Z_EN: 1
; COMPUTE_PGM_RSRC2:TIDIG_COMP_CNT: 2
; COMPUTE_PGM_RSRC3_GFX90A:ACCUM_OFFSET: 25
; COMPUTE_PGM_RSRC3_GFX90A:TG_SPLIT: 0
	.section	.text._ZL9mul_mat_fI7__half2Li64ELi4ELi5ELb0EEvPKT_PKfPKiPfiiiiiiiiiiiiiiii,"axG",@progbits,_ZL9mul_mat_fI7__half2Li64ELi4ELi5ELb0EEvPKT_PKfPKiPfiiiiiiiiiiiiiiii,comdat
	.globl	_ZL9mul_mat_fI7__half2Li64ELi4ELi5ELb0EEvPKT_PKfPKiPfiiiiiiiiiiiiiiii ; -- Begin function _ZL9mul_mat_fI7__half2Li64ELi4ELi5ELb0EEvPKT_PKfPKiPfiiiiiiiiiiiiiiii
	.p2align	8
	.type	_ZL9mul_mat_fI7__half2Li64ELi4ELi5ELb0EEvPKT_PKfPKiPfiiiiiiiiiiiiiiii,@function
_ZL9mul_mat_fI7__half2Li64ELi4ELi5ELb0EEvPKT_PKfPKiPfiiiiiiiiiiiiiiii: ; @_ZL9mul_mat_fI7__half2Li64ELi4ELi5ELb0EEvPKT_PKfPKiPfiiiiiiiiiiiiiiii
; %bb.0:
	s_load_dwordx8 s[12:19], s[4:5], 0x40
	s_load_dword s9, s[4:5], 0x20
	s_load_dwordx4 s[0:3], s[4:5], 0x2c
	v_bfe_u32 v84, v0, 10, 10
	v_lshlrev_b32_e32 v87, 6, v84
	v_and_b32_e32 v85, 0x3ff, v0
	s_waitcnt lgkmcnt(0)
	s_abs_i32 s27, s12
	s_abs_i32 s26, s16
	v_cvt_f32_u32_e32 v1, s27
	v_cvt_f32_u32_e32 v2, s26
	v_add_u32_e32 v89, v87, v85
	s_mov_b32 s22, 0
	v_rcp_iflag_f32_e32 v1, v1
	v_rcp_iflag_f32_e32 v2, v2
	s_ashr_i32 s28, s8, 31
	v_cmp_le_i32_e32 vcc, s9, v89
	v_mul_f32_e32 v1, 0x4f7ffffe, v1
	v_mul_f32_e32 v2, 0x4f7ffffe, v2
	v_cvt_u32_f32_e32 v1, v1
	v_cvt_u32_f32_e32 v2, v2
	v_and_b32_e32 v88, 15, v85
	v_readfirstlane_b32 s21, v1
	v_readfirstlane_b32 s20, v2
	s_and_saveexec_b64 s[10:11], vcc
	s_xor_b64 s[10:11], exec, s[10:11]
; %bb.1:
	v_and_b32_e32 v88, 15, v85
                                        ; implicit-def: $vgpr89
; %bb.2:
	s_or_saveexec_b64 s[24:25], s[10:11]
	s_load_dwordx2 s[10:11], s[4:5], 0x18
	s_lshl_b32 s3, s6, 6
	v_mov_b32_e32 v15, s22
	v_lshlrev_b32_e32 v86, 2, v85
	v_mov_b32_e32 v14, s22
	v_mov_b32_e32 v13, s22
	;; [unrolled: 1-line block ×15, first 2 shown]
	s_xor_b64 exec, exec, s[24:25]
	s_cbranch_execz .LBB113_6
; %bb.3:
	s_sub_i32 s6, 0, s27
	s_sub_i32 s22, 0, s26
	s_mul_i32 s6, s6, s21
	s_mul_i32 s22, s22, s20
	s_mul_hi_u32 s6, s21, s6
	s_mul_hi_u32 s22, s20, s22
	s_abs_i32 s29, s7
	s_add_i32 s6, s21, s6
	s_add_i32 s31, s20, s22
	s_load_dwordx4 s[20:23], s[4:5], 0x0
	s_mul_hi_u32 s4, s29, s6
	s_ashr_i32 s6, s7, 31
	s_ashr_i32 s12, s12, 31
	s_xor_b32 s6, s6, s12
	s_mul_i32 s12, s4, s27
	s_abs_i32 s30, s8
	s_sub_i32 s12, s29, s12
	s_mul_hi_u32 s5, s30, s31
	s_ashr_i32 s16, s16, 31
	s_add_i32 s29, s4, 1
	s_sub_i32 s31, s12, s27
	s_cmp_ge_u32 s12, s27
	s_cselect_b32 s4, s29, s4
	s_cselect_b32 s12, s31, s12
	s_add_i32 s29, s4, 1
	s_cmp_ge_u32 s12, s27
	s_cselect_b32 s4, s29, s4
	s_mul_i32 s12, s5, s26
	s_xor_b32 s4, s4, s6
	s_sub_i32 s12, s30, s12
	s_sub_i32 s6, s4, s6
	s_xor_b32 s4, s28, s16
	s_add_i32 s16, s5, 1
	s_sub_i32 s27, s12, s26
	s_cmp_ge_u32 s12, s26
	s_cselect_b32 s5, s16, s5
	s_cselect_b32 s12, s27, s12
	s_add_i32 s16, s5, 1
	s_cmp_ge_u32 s12, s26
	s_cselect_b32 s5, s16, s5
	s_xor_b32 s5, s5, s4
	s_sub_i32 s4, s5, s4
	s_mul_hi_i32 s5, s4, s17
	s_mul_i32 s4, s4, s17
	s_mul_i32 s12, s6, s13
	s_ashr_i32 s13, s12, 31
	s_lshl_b64 s[26:27], s[4:5], 2
	s_mul_i32 s16, s3, s0
	s_waitcnt lgkmcnt(0)
	s_add_u32 s6, s20, s26
	s_addc_u32 s29, s21, s27
	s_ashr_i32 s17, s16, 31
	s_lshl_b64 s[16:17], s[16:17], 2
	s_lshl_b64 s[12:13], s[12:13], 2
	s_mul_hi_i32 s5, s18, s8
	s_mul_i32 s4, s18, s8
	s_add_u32 s18, s12, s16
	s_addc_u32 s30, s13, s17
	s_mul_i32 s28, s7, s14
	s_add_u32 s6, s18, s6
	s_addc_u32 s73, s30, s29
	s_ashr_i32 s29, s28, 31
	s_lshl_b64 s[16:17], s[4:5], 2
	s_lshl_b64 s[4:5], s[28:29], 2
	s_add_u32 s22, s22, s4
	s_addc_u32 s23, s23, s5
	s_add_u32 s14, s22, s16
	s_movk_i32 s4, 0x1080
	s_addc_u32 s74, s23, s17
	v_mad_u32_u24 v0, v84, s4, 0
	s_ashr_i32 s5, s0, 31
	s_mov_b32 s4, s0
	v_lshrrev_b32_e32 v2, 1, v85
	s_ashr_i32 s13, s1, 31
	s_lshl_b64 s[4:5], s[4:5], 2
	v_mul_u32_u24_e32 v1, 0x108, v88
	v_and_b32_e32 v2, 0x1f8, v2
	s_add_u32 s18, s18, s26
	v_add_u32_e32 v90, v0, v86
	v_add3_u32 v91, v0, v1, v2
	v_lshlrev_b32_e32 v0, 8, v84
	s_addc_u32 s26, s30, s27
	v_mov_b32_e32 v1, s26
	v_add_co_u32_e32 v0, vcc, s18, v0
	v_addc_co_u32_e32 v1, vcc, 0, v1, vcc
	v_add_co_u32_e32 v0, vcc, v0, v86
	v_addc_co_u32_e32 v1, vcc, 0, v1, vcc
	v_mov_b32_e32 v2, s21
	v_add_co_u32_e32 v16, vcc, s20, v0
	v_addc_co_u32_e32 v17, vcc, v2, v1, vcc
	v_lshlrev_b32_e32 v0, 9, v84
	v_mov_b32_e32 v1, s17
	v_add_co_u32_e32 v0, vcc, s16, v0
	v_addc_co_u32_e32 v1, vcc, 0, v1, vcc
	v_lshlrev_b32_e32 v2, 3, v85
	v_add_co_u32_e32 v0, vcc, v0, v2
	s_mov_b32 s12, s1
	v_addc_co_u32_e32 v1, vcc, 0, v1, vcc
	s_lshl_b64 s[12:13], s[12:13], 3
	v_mov_b32_e32 v2, s23
	v_add_co_u32_e32 v18, vcc, s22, v0
	v_mov_b32_e32 v94, 0
	v_addc_co_u32_e32 v19, vcc, v2, v1, vcc
	s_mul_i32 s16, s0, 63
	s_lshl_b32 s17, s1, 1
	s_mul_i32 s18, s1, 3
	s_lshl_b32 s20, s0, 1
	;; [unrolled: 2-line block ×3, first 2 shown]
	s_mul_i32 s23, s0, 5
	s_mul_i32 s26, s0, 6
	;; [unrolled: 1-line block ×3, first 2 shown]
	s_lshl_b32 s28, s0, 3
	s_mul_i32 s29, s0, 9
	s_mul_i32 s30, s0, 10
	;; [unrolled: 1-line block ×7, first 2 shown]
	s_lshl_b32 s37, s0, 4
	s_mul_i32 s38, s0, 17
	s_mul_i32 s39, s0, 18
	;; [unrolled: 1-line block ×15, first 2 shown]
	s_lshl_b32 s53, s0, 5
	s_mul_i32 s54, s0, 33
	s_mul_i32 s55, s0, 34
	s_mul_i32 s56, s0, 35
	s_mul_i32 s57, s0, 36
	s_mul_i32 s58, s0, 37
	s_mul_i32 s59, s0, 38
	s_mul_i32 s60, s0, 39
	s_mul_i32 s61, s0, 40
	s_mul_i32 s62, s0, 41
	s_mul_i32 s63, s0, 42
	s_mul_i32 s64, s0, 43
	s_mul_i32 s65, s0, 44
	s_mul_i32 s66, s0, 45
	s_mul_i32 s67, s0, 46
	s_mul_i32 s68, s0, 47
	s_mul_i32 s69, s0, 48
	s_mul_i32 s70, s0, 49
	s_mul_i32 s71, s0, 50
	s_mul_i32 s72, s0, 51
	v_mov_b32_e32 v92, s73
	s_mul_i32 s73, s0, 52
	v_mov_b32_e32 v93, s74
	s_mul_i32 s74, s0, 53
	v_mov_b32_e32 v95, s5
	v_mov_b32_e32 v96, s13
	;; [unrolled: 1-line block ×18, first 2 shown]
	s_mul_i32 s5, s0, 54
	s_mul_i32 s13, s0, 55
	;; [unrolled: 1-line block ×9, first 2 shown]
	s_mov_b64 s[0:1], 0
.LBB113_4:                              ; =>This Inner Loop Header: Depth=1
	global_load_dword v20, v[16:17], off
	v_add_u32_e32 v36, s37, v89
	v_ashrrev_i32_e32 v37, 31, v36
	v_lshlrev_b64 v[36:37], 2, v[36:37]
	v_add_u32_e32 v52, s53, v89
	v_ashrrev_i32_e32 v53, 31, v52
	v_lshlrev_b64 v[52:53], 2, v[52:53]
	;; [unrolled: 3-line block ×3, first 2 shown]
	s_waitcnt vmcnt(0)
	ds_write_b32 v90, v20
	v_add_co_u32_e32 v20, vcc, s4, v16
	v_addc_co_u32_e32 v21, vcc, v17, v95, vcc
	global_load_dword v20, v[20:21], off
	s_waitcnt vmcnt(0)
	ds_write_b32 v90, v20 offset:264
	v_add_u32_e32 v20, s20, v89
	v_ashrrev_i32_e32 v21, 31, v20
	v_lshlrev_b64 v[20:21], 2, v[20:21]
	v_add_co_u32_e32 v20, vcc, s6, v20
	v_addc_co_u32_e32 v21, vcc, v92, v21, vcc
	global_load_dword v20, v[20:21], off
	s_waitcnt vmcnt(0)
	ds_write_b32 v90, v20 offset:528
	v_add_u32_e32 v20, s21, v89
	v_ashrrev_i32_e32 v21, 31, v20
	v_lshlrev_b64 v[20:21], 2, v[20:21]
	;; [unrolled: 8-line block ×14, first 2 shown]
	v_add_co_u32_e32 v20, vcc, s6, v20
	v_addc_co_u32_e32 v21, vcc, v92, v21, vcc
	global_load_dword v20, v[20:21], off
	v_add_co_u32_e32 v36, vcc, s6, v36
	v_addc_co_u32_e32 v37, vcc, v92, v37, vcc
	s_waitcnt vmcnt(0)
	ds_write_b32 v90, v20 offset:3960
	ds_read_b64 v[34:35], v91
	ds_read_b64 v[32:33], v91 offset:32
	ds_read_b64 v[30:31], v91 offset:64
	;; [unrolled: 1-line block ×7, first 2 shown]
	global_load_dword v36, v[36:37], off
	s_waitcnt vmcnt(0)
	ds_write_b32 v90, v36
	v_add_u32_e32 v36, s38, v89
	v_ashrrev_i32_e32 v37, 31, v36
	v_lshlrev_b64 v[36:37], 2, v[36:37]
	v_add_co_u32_e32 v36, vcc, s6, v36
	v_addc_co_u32_e32 v37, vcc, v92, v37, vcc
	global_load_dword v36, v[36:37], off
	s_waitcnt vmcnt(0)
	ds_write_b32 v90, v36 offset:264
	v_add_u32_e32 v36, s39, v89
	v_ashrrev_i32_e32 v37, 31, v36
	v_lshlrev_b64 v[36:37], 2, v[36:37]
	v_add_co_u32_e32 v36, vcc, s6, v36
	v_addc_co_u32_e32 v37, vcc, v92, v37, vcc
	global_load_dword v36, v[36:37], off
	s_waitcnt vmcnt(0)
	ds_write_b32 v90, v36 offset:528
	;; [unrolled: 8-line block ×14, first 2 shown]
	v_add_u32_e32 v36, s52, v89
	v_ashrrev_i32_e32 v37, 31, v36
	v_lshlrev_b64 v[36:37], 2, v[36:37]
	v_add_co_u32_e32 v36, vcc, s6, v36
	v_addc_co_u32_e32 v37, vcc, v92, v37, vcc
	global_load_dword v36, v[36:37], off
	v_add_co_u32_e32 v52, vcc, s6, v52
	v_addc_co_u32_e32 v53, vcc, v92, v53, vcc
	s_waitcnt vmcnt(0)
	ds_write_b32 v90, v36 offset:3960
	ds_read_b64 v[50:51], v91
	ds_read_b64 v[48:49], v91 offset:32
	ds_read_b64 v[46:47], v91 offset:64
	;; [unrolled: 1-line block ×7, first 2 shown]
	global_load_dword v52, v[52:53], off
	s_waitcnt vmcnt(0)
	ds_write_b32 v90, v52
	v_add_u32_e32 v52, s54, v89
	v_ashrrev_i32_e32 v53, 31, v52
	v_lshlrev_b64 v[52:53], 2, v[52:53]
	v_add_co_u32_e32 v52, vcc, s6, v52
	v_addc_co_u32_e32 v53, vcc, v92, v53, vcc
	global_load_dword v52, v[52:53], off
	s_waitcnt vmcnt(0)
	ds_write_b32 v90, v52 offset:264
	v_add_u32_e32 v52, s55, v89
	v_ashrrev_i32_e32 v53, 31, v52
	v_lshlrev_b64 v[52:53], 2, v[52:53]
	v_add_co_u32_e32 v52, vcc, s6, v52
	v_addc_co_u32_e32 v53, vcc, v92, v53, vcc
	global_load_dword v52, v[52:53], off
	s_waitcnt vmcnt(0)
	ds_write_b32 v90, v52 offset:528
	;; [unrolled: 8-line block ×14, first 2 shown]
	v_add_u32_e32 v52, s68, v89
	v_ashrrev_i32_e32 v53, 31, v52
	v_lshlrev_b64 v[52:53], 2, v[52:53]
	v_add_co_u32_e32 v52, vcc, s6, v52
	v_addc_co_u32_e32 v53, vcc, v92, v53, vcc
	global_load_dword v52, v[52:53], off
	v_add_co_u32_e32 v68, vcc, s6, v68
	v_addc_co_u32_e32 v69, vcc, v92, v69, vcc
	s_waitcnt vmcnt(0)
	ds_write_b32 v90, v52 offset:3960
	ds_read_b64 v[66:67], v91
	ds_read_b64 v[64:65], v91 offset:32
	ds_read_b64 v[62:63], v91 offset:64
	;; [unrolled: 1-line block ×7, first 2 shown]
	global_load_dword v68, v[68:69], off
	s_waitcnt vmcnt(0)
	ds_write_b32 v90, v68
	v_add_u32_e32 v68, s70, v89
	v_ashrrev_i32_e32 v69, 31, v68
	v_lshlrev_b64 v[68:69], 2, v[68:69]
	v_add_co_u32_e32 v68, vcc, s6, v68
	v_addc_co_u32_e32 v69, vcc, v92, v69, vcc
	global_load_dword v68, v[68:69], off
	s_waitcnt vmcnt(0)
	ds_write_b32 v90, v68 offset:264
	v_add_u32_e32 v68, s71, v89
	v_ashrrev_i32_e32 v69, 31, v68
	v_lshlrev_b64 v[68:69], 2, v[68:69]
	v_add_co_u32_e32 v68, vcc, s6, v68
	v_addc_co_u32_e32 v69, vcc, v92, v69, vcc
	global_load_dword v68, v[68:69], off
	s_waitcnt vmcnt(0)
	ds_write_b32 v90, v68 offset:528
	;; [unrolled: 8-line block ×15, first 2 shown]
	ds_read_b64 v[82:83], v91
	ds_read_b64 v[80:81], v91 offset:32
	ds_read_b64 v[78:79], v91 offset:64
	;; [unrolled: 1-line block ×7, first 2 shown]
	global_load_dwordx2 v[98:99], v[18:19], off
	s_waitcnt vmcnt(0)
	v_cvt_f16_f32_e32 v97, v98
	v_cvt_f16_f32_e32 v98, v99
	v_pack_b32_f16 v97, v97, v98
	v_add_co_u32_e32 v98, vcc, s12, v18
	v_addc_co_u32_e32 v99, vcc, v19, v96, vcc
	global_load_dwordx2 v[98:99], v[98:99], off
	ds_write_b32 v90, v97
	s_waitcnt vmcnt(0)
	v_cvt_f16_f32_e32 v97, v98
	v_cvt_f16_f32_e32 v98, v99
	v_pack_b32_f16 v97, v97, v98
	v_add_u32_e32 v98, s17, v89
	v_ashrrev_i32_e32 v99, 31, v98
	v_lshlrev_b64 v[98:99], 3, v[98:99]
	v_add_co_u32_e32 v98, vcc, s14, v98
	v_addc_co_u32_e32 v99, vcc, v93, v99, vcc
	global_load_dwordx2 v[98:99], v[98:99], off
	ds_write_b32 v90, v97 offset:264
	s_waitcnt vmcnt(0)
	v_cvt_f16_f32_e32 v97, v98
	v_cvt_f16_f32_e32 v98, v99
	v_pack_b32_f16 v97, v97, v98
	v_add_u32_e32 v98, s18, v89
	v_ashrrev_i32_e32 v99, 31, v98
	v_lshlrev_b64 v[98:99], 3, v[98:99]
	v_add_co_u32_e32 v98, vcc, s14, v98
	v_addc_co_u32_e32 v99, vcc, v93, v99, vcc
	global_load_dwordx2 v[98:99], v[98:99], off
	ds_write_b32 v90, v97 offset:528
	v_add_co_u32_e32 v16, vcc, 0x500, v16
	v_addc_co_u32_e32 v17, vcc, 0, v17, vcc
	v_add_co_u32_e32 v18, vcc, 0xa00, v18
	v_add_u32_e32 v89, 0x140, v89
	v_addc_co_u32_e32 v19, vcc, 0, v19, vcc
	v_cmp_le_i32_e32 vcc, s9, v89
	s_or_b64 s[0:1], vcc, s[0:1]
	s_waitcnt vmcnt(0)
	v_cvt_f16_f32_e32 v97, v98
	v_cvt_f16_f32_e32 v98, v99
	v_pack_b32_f16 v97, v97, v98
	ds_write_b32 v90, v97 offset:792
	ds_write_b32 v90, v94 offset:1056
	;; [unrolled: 1-line block ×13, first 2 shown]
	ds_read_b64 v[98:99], v91
	ds_read_b64 v[100:101], v91 offset:32
	s_waitcnt lgkmcnt(1)
	v_mfma_f32_16x16x16f16 v[12:15], v[34:35], v[98:99], v[12:15]
	v_mfma_f32_16x16x16f16 v[8:11], v[50:51], v[98:99], v[8:11]
	;; [unrolled: 1-line block ×4, first 2 shown]
	s_waitcnt lgkmcnt(0)
	v_mfma_f32_16x16x16f16 v[12:15], v[32:33], v[100:101], v[12:15]
	ds_read_b64 v[32:33], v91 offset:64
	v_mfma_f32_16x16x16f16 v[8:11], v[48:49], v[100:101], v[8:11]
	v_mfma_f32_16x16x16f16 v[4:7], v[64:65], v[100:101], v[4:7]
	v_mfma_f32_16x16x16f16 v[0:3], v[80:81], v[100:101], v[0:3]
	s_waitcnt lgkmcnt(0)
	v_mfma_f32_16x16x16f16 v[12:15], v[30:31], v[32:33], v[12:15]
	ds_read_b64 v[30:31], v91 offset:96
	v_mfma_f32_16x16x16f16 v[8:11], v[46:47], v[32:33], v[8:11]
	v_mfma_f32_16x16x16f16 v[4:7], v[62:63], v[32:33], v[4:7]
	v_mfma_f32_16x16x16f16 v[0:3], v[78:79], v[32:33], v[0:3]
	;; [unrolled: 6-line block ×6, first 2 shown]
	s_waitcnt lgkmcnt(0)
	v_mfma_f32_16x16x16f16 v[12:15], v[20:21], v[22:23], v[12:15]
	v_mfma_f32_16x16x16f16 v[8:11], v[36:37], v[22:23], v[8:11]
	;; [unrolled: 1-line block ×4, first 2 shown]
	s_andn2_b64 exec, exec, s[0:1]
	s_cbranch_execnz .LBB113_4
; %bb.5:
	s_or_b64 exec, exec, s[0:1]
.LBB113_6:
	s_or_b64 exec, exec, s[24:25]
	v_mul_u32_u24_e32 v16, 0x508, v88
	v_lshlrev_b32_e32 v17, 2, v87
	v_add3_u32 v16, 0, v16, v17
	v_and_b32_e32 v17, 0x3f0, v85
	v_add_u32_e32 v17, v16, v17
	s_waitcnt lgkmcnt(0)
	s_barrier
	ds_write2_b32 v17, v12, v13 offset1:1
	ds_write_b32 v17, v14 offset:8
	v_or_b32_e32 v12, 12, v85
	v_and_b32_e32 v12, 0x3fc, v12
	v_add_u32_e32 v12, v16, v12
	v_cmp_gt_u32_e32 vcc, 4, v84
	ds_write_b32 v12, v15
	ds_write2_b32 v17, v8, v9 offset0:16 offset1:17
	ds_write_b32 v17, v10 offset:72
	ds_write_b32 v12, v11 offset:64
	ds_write2_b32 v17, v4, v5 offset0:32 offset1:33
	ds_write_b32 v17, v6 offset:136
	ds_write_b32 v12, v7 offset:128
	;; [unrolled: 3-line block ×3, first 2 shown]
	s_waitcnt lgkmcnt(0)
	s_barrier
	s_and_saveexec_b64 s[0:1], vcc
	s_cbranch_execz .LBB113_8
; %bb.7:
	v_mul_u32_u24_e32 v0, 0x508, v84
	v_add3_u32 v4, 0, v86, v0
	ds_read2st64_b32 v[0:1], v4 offset1:1
	ds_read2st64_b32 v[2:3], v4 offset0:2 offset1:3
	ds_read_b32 v4, v4 offset:1024
	s_mul_hi_i32 s1, s19, s8
	s_mul_i32 s0, s19, s8
	s_waitcnt lgkmcnt(2)
	v_add_f32_e32 v0, 0, v0
	s_lshl_b64 s[0:1], s[0:1], 2
	v_add_f32_e32 v0, v0, v1
	s_mul_i32 s4, s7, s15
	s_add_u32 s6, s10, s0
	s_waitcnt lgkmcnt(1)
	v_add_f32_e32 v0, v0, v2
	s_addc_u32 s7, s11, s1
	s_ashr_i32 s5, s4, 31
	v_add_f32_e32 v0, v0, v3
	s_lshl_b64 s[0:1], s[4:5], 2
	s_waitcnt lgkmcnt(0)
	v_add_f32_e32 v2, v0, v4
	v_mul_lo_u32 v0, v84, s2
	s_add_u32 s0, s6, s0
	v_add3_u32 v0, s3, v85, v0
	v_mov_b32_e32 v1, 0
	s_addc_u32 s1, s7, s1
	v_lshlrev_b64 v[0:1], 2, v[0:1]
	v_mov_b32_e32 v3, s1
	v_add_co_u32_e32 v0, vcc, s0, v0
	v_addc_co_u32_e32 v1, vcc, v3, v1, vcc
	global_store_dword v[0:1], v2, off
.LBB113_8:
	s_endpgm
	.section	.rodata,"a",@progbits
	.p2align	6, 0x0
	.amdhsa_kernel _ZL9mul_mat_fI7__half2Li64ELi4ELi5ELb0EEvPKT_PKfPKiPfiiiiiiiiiiiiiiii
		.amdhsa_group_segment_fixed_size 0
		.amdhsa_private_segment_fixed_size 0
		.amdhsa_kernarg_size 96
		.amdhsa_user_sgpr_count 6
		.amdhsa_user_sgpr_private_segment_buffer 1
		.amdhsa_user_sgpr_dispatch_ptr 0
		.amdhsa_user_sgpr_queue_ptr 0
		.amdhsa_user_sgpr_kernarg_segment_ptr 1
		.amdhsa_user_sgpr_dispatch_id 0
		.amdhsa_user_sgpr_flat_scratch_init 0
		.amdhsa_user_sgpr_kernarg_preload_length 0
		.amdhsa_user_sgpr_kernarg_preload_offset 0
		.amdhsa_user_sgpr_private_segment_size 0
		.amdhsa_uses_dynamic_stack 0
		.amdhsa_system_sgpr_private_segment_wavefront_offset 0
		.amdhsa_system_sgpr_workgroup_id_x 1
		.amdhsa_system_sgpr_workgroup_id_y 1
		.amdhsa_system_sgpr_workgroup_id_z 1
		.amdhsa_system_sgpr_workgroup_info 0
		.amdhsa_system_vgpr_workitem_id 1
		.amdhsa_next_free_vgpr 102
		.amdhsa_next_free_sgpr 82
		.amdhsa_accum_offset 104
		.amdhsa_reserve_vcc 1
		.amdhsa_reserve_flat_scratch 0
		.amdhsa_float_round_mode_32 0
		.amdhsa_float_round_mode_16_64 0
		.amdhsa_float_denorm_mode_32 3
		.amdhsa_float_denorm_mode_16_64 3
		.amdhsa_dx10_clamp 1
		.amdhsa_ieee_mode 1
		.amdhsa_fp16_overflow 0
		.amdhsa_tg_split 0
		.amdhsa_exception_fp_ieee_invalid_op 0
		.amdhsa_exception_fp_denorm_src 0
		.amdhsa_exception_fp_ieee_div_zero 0
		.amdhsa_exception_fp_ieee_overflow 0
		.amdhsa_exception_fp_ieee_underflow 0
		.amdhsa_exception_fp_ieee_inexact 0
		.amdhsa_exception_int_div_zero 0
	.end_amdhsa_kernel
	.section	.text._ZL9mul_mat_fI7__half2Li64ELi4ELi5ELb0EEvPKT_PKfPKiPfiiiiiiiiiiiiiiii,"axG",@progbits,_ZL9mul_mat_fI7__half2Li64ELi4ELi5ELb0EEvPKT_PKfPKiPfiiiiiiiiiiiiiiii,comdat
.Lfunc_end113:
	.size	_ZL9mul_mat_fI7__half2Li64ELi4ELi5ELb0EEvPKT_PKfPKiPfiiiiiiiiiiiiiiii, .Lfunc_end113-_ZL9mul_mat_fI7__half2Li64ELi4ELi5ELb0EEvPKT_PKfPKiPfiiiiiiiiiiiiiiii
                                        ; -- End function
	.section	.AMDGPU.csdata,"",@progbits
; Kernel info:
; codeLenInByte = 5072
; NumSgprs: 86
; NumVgprs: 102
; NumAgprs: 0
; TotalNumVgprs: 102
; ScratchSize: 0
; MemoryBound: 0
; FloatMode: 240
; IeeeMode: 1
; LDSByteSize: 0 bytes/workgroup (compile time only)
; SGPRBlocks: 10
; VGPRBlocks: 12
; NumSGPRsForWavesPerEU: 86
; NumVGPRsForWavesPerEU: 102
; AccumOffset: 104
; Occupancy: 4
; WaveLimiterHint : 0
; COMPUTE_PGM_RSRC2:SCRATCH_EN: 0
; COMPUTE_PGM_RSRC2:USER_SGPR: 6
; COMPUTE_PGM_RSRC2:TRAP_HANDLER: 0
; COMPUTE_PGM_RSRC2:TGID_X_EN: 1
; COMPUTE_PGM_RSRC2:TGID_Y_EN: 1
; COMPUTE_PGM_RSRC2:TGID_Z_EN: 1
; COMPUTE_PGM_RSRC2:TIDIG_COMP_CNT: 1
; COMPUTE_PGM_RSRC3_GFX90A:ACCUM_OFFSET: 25
; COMPUTE_PGM_RSRC3_GFX90A:TG_SPLIT: 0
	.section	.text._ZL13mul_mat_f_idsI7__half2Li64ELi4ELi6EEvPKT_PKfPKiS7_S7_Pfiiiiiiiiiiiiii15HIP_vector_typeIjLj3EESA_,"axG",@progbits,_ZL13mul_mat_f_idsI7__half2Li64ELi4ELi6EEvPKT_PKfPKiS7_S7_Pfiiiiiiiiiiiiii15HIP_vector_typeIjLj3EESA_,comdat
	.globl	_ZL13mul_mat_f_idsI7__half2Li64ELi4ELi6EEvPKT_PKfPKiS7_S7_Pfiiiiiiiiiiiiii15HIP_vector_typeIjLj3EESA_ ; -- Begin function _ZL13mul_mat_f_idsI7__half2Li64ELi4ELi6EEvPKT_PKfPKiS7_S7_Pfiiiiiiiiiiiiii15HIP_vector_typeIjLj3EESA_
	.p2align	8
	.type	_ZL13mul_mat_f_idsI7__half2Li64ELi4ELi6EEvPKT_PKfPKiS7_S7_Pfiiiiiiiiiiiiii15HIP_vector_typeIjLj3EESA_,@function
_ZL13mul_mat_f_idsI7__half2Li64ELi4ELi6EEvPKT_PKfPKiS7_S7_Pfiiiiiiiiiiiiii15HIP_vector_typeIjLj3EESA_: ; @_ZL13mul_mat_f_idsI7__half2Li64ELi4ELi6EEvPKT_PKfPKiS7_S7_Pfiiiiiiiiiiiiii15HIP_vector_typeIjLj3EESA_
; %bb.0:
	s_load_dwordx2 s[0:1], s[4:5], 0x20
	s_mov_b32 s34, s7
	s_ashr_i32 s35, s7, 31
	s_lshl_b64 s[2:3], s[34:35], 2
	s_waitcnt lgkmcnt(0)
	s_add_u32 s0, s0, s2
	s_addc_u32 s1, s1, s3
	s_load_dwordx2 s[26:27], s[0:1], 0x0
	s_waitcnt lgkmcnt(0)
	s_sub_i32 s33, s27, s26
	s_add_i32 s0, s33, 3
	s_ashr_i32 s1, s0, 31
	s_lshr_b32 s1, s1, 30
	s_add_i32 s0, s0, s1
	s_ashr_i32 s0, s0, 2
	s_cmp_ge_i32 s8, s0
	s_cbranch_scc1 .LBB114_23
; %bb.1:
	v_bfe_u32 v91, v0, 10, 10
	v_lshlrev_b32_e32 v92, 6, v91
	v_and_b32_e32 v90, 0x3ff, v0
	s_load_dwordx4 s[12:15], s[4:5], 0x30
	s_load_dwordx2 s[20:21], s[4:5], 0x40
	s_load_dwordx4 s[0:3], s[4:5], 0x4c
	s_load_dwordx4 s[16:19], s[4:5], 0x68
	s_load_dwordx2 s[24:25], s[4:5], 0x78
	v_add_u32_e32 v94, v92, v90
	s_ashr_i32 s27, s26, 31
	s_waitcnt lgkmcnt(0)
	v_cmp_le_i32_e32 vcc, s12, v94
	v_and_b32_e32 v93, 15, v90
                                        ; implicit-def: $sgpr3
	s_and_saveexec_b64 s[10:11], vcc
	s_xor_b64 s[10:11], exec, s[10:11]
; %bb.2:
	v_and_b32_e32 v93, 15, v90
	s_mov_b32 s3, 0
                                        ; implicit-def: $vgpr94
; %bb.3:
	s_or_saveexec_b64 s[22:23], s[10:11]
	s_load_dwordx2 s[10:11], s[4:5], 0x18
                                        ; implicit-def: $vgpr101 : SGPR spill to VGPR lane
	s_lshl_b32 s7, s6, 6
	s_lshl_b32 s6, s8, 2
	v_mov_b32_e32 v15, s3
	v_mov_b32_e32 v14, s3
	s_waitcnt lgkmcnt(0)
	v_writelane_b32 v101, s10, 0
	v_writelane_b32 v101, s11, 1
	s_load_dwordx2 s[10:11], s[4:5], 0x28
	v_mov_b32_e32 v13, s3
	v_mov_b32_e32 v12, s3
	;; [unrolled: 1-line block ×4, first 2 shown]
	s_waitcnt lgkmcnt(0)
	v_writelane_b32 v101, s10, 2
	v_writelane_b32 v101, s11, 3
	v_mov_b32_e32 v1, s3
	v_mov_b32_e32 v0, s3
	;; [unrolled: 1-line block ×10, first 2 shown]
	v_writelane_b32 v101, s22, 4
	v_writelane_b32 v101, s23, 5
	s_xor_b64 exec, exec, s[22:23]
	s_cbranch_execz .LBB114_19
; %bb.4:
	v_writelane_b32 v101, s24, 6
	v_writelane_b32 v101, s25, 7
	s_load_dwordx4 s[8:11], s[4:5], 0x0
	s_load_dwordx2 s[22:23], s[4:5], 0x10
	s_mul_i32 s4, s34, s0
	s_mul_i32 s24, s7, s15
	s_ashr_i32 s5, s4, 31
	s_ashr_i32 s25, s24, 31
	s_lshl_b64 s[24:25], s[24:25], 2
	s_lshl_b64 s[4:5], s[4:5], 2
	s_add_u32 s3, s4, s24
	s_addc_u32 s24, s5, s25
	s_waitcnt lgkmcnt(0)
	s_add_u32 s0, s3, s8
	s_addc_u32 s25, s24, s9
	s_lshl_b64 s[4:5], s[26:27], 2
	s_add_u32 s28, s22, s4
	s_addc_u32 s29, s23, s5
	s_movk_i32 s4, 0x1080
	s_cmp_lt_i32 s6, s33
	v_writelane_b32 v101, s7, 8
	v_mad_u32_u24 v0, v91, s4, 0
	s_cselect_b64 s[4:5], -1, 0
	s_ashr_i32 s7, s6, 31
	s_lshl_b64 s[22:23], s[6:7], 2
	s_add_u32 s34, s28, s22
	v_lshrrev_b32_e32 v3, 1, v90
	s_addc_u32 s35, s29, s23
	s_or_b32 s7, s6, 1
	v_lshlrev_b32_e32 v1, 2, v90
	v_mul_u32_u24_e32 v2, 0x108, v93
	v_and_b32_e32 v3, 0x1f8, v3
	s_cmp_lt_i32 s7, s33
	v_add_u32_e32 v95, v0, v1
	v_add3_u32 v96, v0, v2, v3
	s_cselect_b64 s[36:37], -1, 0
	s_or_b32 s7, s6, 2
	v_lshlrev_b32_e32 v0, 8, v91
	s_cmp_lt_i32 s7, s33
	v_mov_b32_e32 v2, s24
	v_add_co_u32_e32 v0, vcc, s3, v0
	s_cselect_b64 s[38:39], -1, 0
	s_or_b32 s7, s6, 3
	v_addc_co_u32_e32 v2, vcc, 0, v2, vcc
	s_cmp_lt_i32 s7, s33
	v_add_co_u32_e32 v0, vcc, v0, v1
	s_cselect_b64 s[40:41], -1, 0
	s_ashr_i32 s23, s15, 31
	s_mov_b32 s22, s15
	v_addc_co_u32_e32 v1, vcc, 0, v2, vcc
	s_lshl_b64 s[42:43], s[22:23], 2
	v_mov_b32_e32 v2, s9
	v_add_co_u32_e32 v16, vcc, s8, v0
	v_mov_b32_e32 v98, 0
	v_addc_co_u32_e32 v17, vcc, v2, v1, vcc
	s_lshl_b32 s7, s15, 1
	s_mul_i32 s44, s15, 3
	s_lshl_b32 s45, s15, 2
	s_mul_i32 s46, s15, 5
	s_mul_i32 s47, s15, 6
	;; [unrolled: 1-line block ×3, first 2 shown]
	s_lshl_b32 s49, s15, 3
	s_mul_i32 s50, s15, 9
	s_mul_i32 s51, s15, 10
	;; [unrolled: 1-line block ×7, first 2 shown]
	s_lshl_b32 s57, s15, 4
	s_mul_i32 s58, s15, 17
	s_mul_i32 s59, s15, 18
	;; [unrolled: 1-line block ×15, first 2 shown]
	s_lshl_b32 s73, s15, 5
	s_mul_i32 s74, s15, 33
	s_mul_i32 s75, s15, 34
	;; [unrolled: 1-line block ×15, first 2 shown]
	v_mov_b32_e32 v97, s25
	s_mul_i32 s89, s15, 48
	v_mov_b32_e32 v99, s43
	v_mov_b32_e32 v8, 0
	;; [unrolled: 1-line block ×17, first 2 shown]
	s_mul_i32 s43, s15, 49
	s_mul_i32 s90, s15, 50
	;; [unrolled: 1-line block ×15, first 2 shown]
	s_mov_b64 s[8:9], 0
	s_branch .LBB114_6
.LBB114_5:                              ;   in Loop: Header=BB114_6 Depth=1
	s_waitcnt vmcnt(0)
	v_cvt_f16_f32_e32 v82, v82
	v_cvt_f16_f32_e32 v83, v83
	;; [unrolled: 1-line block ×4, first 2 shown]
	v_add_co_u32_e32 v16, vcc, 0x600, v16
	v_pack_b32_f16 v82, v82, v83
	v_cvt_f16_f32_e32 v83, v84
	v_cvt_f16_f32_e32 v84, v85
	;; [unrolled: 1-line block ×4, first 2 shown]
	v_pack_b32_f16 v86, v86, v87
	ds_write2_b32 v95, v82, v86 offset1:66
	v_pack_b32_f16 v82, v83, v84
	v_pack_b32_f16 v83, v85, v88
	ds_write2_b32 v95, v82, v83 offset0:132 offset1:198
	v_add_u32_e32 v82, 0x400, v95
	ds_write2_b32 v82, v98, v98 offset0:8 offset1:74
	ds_write2_b32 v82, v98, v98 offset0:140 offset1:206
	v_add_u32_e32 v82, 0x800, v95
	ds_write2_b32 v82, v98, v98 offset0:16 offset1:82
	;; [unrolled: 3-line block ×3, first 2 shown]
	ds_write2_b32 v82, v98, v98 offset0:156 offset1:222
	ds_read2_b64 v[82:85], v96 offset1:4
	s_waitcnt lgkmcnt(0)
	v_mfma_f32_16x16x16f16 v[8:11], v[34:35], v[82:83], v[8:11]
	v_add_u32_e32 v94, 0x180, v94
	v_addc_co_u32_e32 v17, vcc, 0, v17, vcc
	v_cmp_le_i32_e32 vcc, s12, v94
	s_or_b64 s[8:9], vcc, s[8:9]
	v_mfma_f32_16x16x16f16 v[4:7], v[50:51], v[82:83], v[4:7]
	v_mfma_f32_16x16x16f16 v[0:3], v[64:65], v[82:83], v[0:3]
	;; [unrolled: 1-line block ×6, first 2 shown]
	ds_read2_b64 v[62:65], v96 offset0:8 offset1:12
	v_mfma_f32_16x16x16f16 v[12:15], v[78:79], v[84:85], v[12:15]
	s_waitcnt lgkmcnt(0)
	v_mfma_f32_16x16x16f16 v[8:11], v[28:29], v[62:63], v[8:11]
	v_mfma_f32_16x16x16f16 v[4:7], v[44:45], v[62:63], v[4:7]
	;; [unrolled: 1-line block ×5, first 2 shown]
	ds_read2_b64 v[26:29], v96 offset0:16 offset1:20
	v_mfma_f32_16x16x16f16 v[4:7], v[42:43], v[64:65], v[4:7]
	v_mfma_f32_16x16x16f16 v[0:3], v[58:59], v[64:65], v[0:3]
	;; [unrolled: 1-line block ×3, first 2 shown]
	s_waitcnt lgkmcnt(0)
	v_mfma_f32_16x16x16f16 v[8:11], v[24:25], v[26:27], v[8:11]
	v_mfma_f32_16x16x16f16 v[4:7], v[40:41], v[26:27], v[4:7]
	v_mfma_f32_16x16x16f16 v[0:3], v[56:57], v[26:27], v[0:3]
	v_mfma_f32_16x16x16f16 v[12:15], v[72:73], v[26:27], v[12:15]
	v_mfma_f32_16x16x16f16 v[8:11], v[22:23], v[28:29], v[8:11]
	ds_read2_b64 v[22:25], v96 offset0:24 offset1:28
	v_mfma_f32_16x16x16f16 v[4:7], v[38:39], v[28:29], v[4:7]
	v_mfma_f32_16x16x16f16 v[0:3], v[54:55], v[28:29], v[0:3]
	;; [unrolled: 1-line block ×3, first 2 shown]
	s_waitcnt lgkmcnt(0)
	v_mfma_f32_16x16x16f16 v[8:11], v[20:21], v[22:23], v[8:11]
	v_mfma_f32_16x16x16f16 v[4:7], v[36:37], v[22:23], v[4:7]
	;; [unrolled: 1-line block ×8, first 2 shown]
	s_andn2_b64 exec, exec, s[8:9]
	s_cbranch_execz .LBB114_18
.LBB114_6:                              ; =>This Inner Loop Header: Depth=1
	v_add_co_u32_e32 v18, vcc, s42, v16
	v_addc_co_u32_e32 v19, vcc, v17, v99, vcc
	global_load_dword v30, v[16:17], off
	global_load_dword v31, v[18:19], off
	v_add_u32_e32 v18, s7, v94
	v_ashrrev_i32_e32 v19, 31, v18
	v_lshlrev_b64 v[18:19], 2, v[18:19]
	v_add_u32_e32 v20, s44, v94
	v_add_co_u32_e32 v18, vcc, s0, v18
	v_ashrrev_i32_e32 v21, 31, v20
	v_addc_co_u32_e32 v19, vcc, v97, v19, vcc
	v_lshlrev_b64 v[20:21], 2, v[20:21]
	v_add_u32_e32 v22, s45, v94
	v_add_co_u32_e32 v20, vcc, s0, v20
	v_ashrrev_i32_e32 v23, 31, v22
	v_addc_co_u32_e32 v21, vcc, v97, v21, vcc
	;; [unrolled: 5-line block ×5, first 2 shown]
	v_lshlrev_b64 v[28:29], 2, v[28:29]
	v_add_co_u32_e32 v28, vcc, s0, v28
	v_addc_co_u32_e32 v29, vcc, v97, v29, vcc
	global_load_dword v32, v[18:19], off
	global_load_dword v33, v[20:21], off
	;; [unrolled: 1-line block ×3, first 2 shown]
	s_nop 0
	global_load_dword v24, v[24:25], off
	s_nop 0
	global_load_dword v25, v[26:27], off
	;; [unrolled: 2-line block ×3, first 2 shown]
	v_add_u32_e32 v18, s49, v94
	v_ashrrev_i32_e32 v19, 31, v18
	v_add_u32_e32 v20, s50, v94
	v_lshlrev_b64 v[18:19], 2, v[18:19]
	v_ashrrev_i32_e32 v21, 31, v20
	v_add_co_u32_e32 v18, vcc, s0, v18
	v_add_u32_e32 v22, s51, v94
	v_lshlrev_b64 v[20:21], 2, v[20:21]
	v_addc_co_u32_e32 v19, vcc, v97, v19, vcc
	v_ashrrev_i32_e32 v23, 31, v22
	v_add_co_u32_e32 v20, vcc, s0, v20
	v_lshlrev_b64 v[22:23], 2, v[22:23]
	v_addc_co_u32_e32 v21, vcc, v97, v21, vcc
	global_load_dword v18, v[18:19], off
	s_nop 0
	global_load_dword v19, v[20:21], off
	v_add_u32_e32 v20, s52, v94
	v_add_co_u32_e32 v22, vcc, s0, v22
	v_ashrrev_i32_e32 v21, 31, v20
	v_addc_co_u32_e32 v23, vcc, v97, v23, vcc
	v_lshlrev_b64 v[20:21], 2, v[20:21]
	v_add_u32_e32 v58, s82, v94
	v_ashrrev_i32_e32 v59, 31, v58
	v_lshlrev_b64 v[58:59], 2, v[58:59]
	s_waitcnt vmcnt(9)
	ds_write_b32 v95, v30
	s_waitcnt vmcnt(8)
	ds_write_b32 v95, v31 offset:264
	s_waitcnt vmcnt(7)
	ds_write_b32 v95, v32 offset:528
	;; [unrolled: 2-line block ×7, first 2 shown]
	v_add_co_u32_e32 v24, vcc, s0, v20
	v_add_u32_e32 v20, s53, v94
	v_addc_co_u32_e32 v25, vcc, v97, v21, vcc
	v_ashrrev_i32_e32 v21, 31, v20
	v_lshlrev_b64 v[20:21], 2, v[20:21]
	v_add_co_u32_e32 v26, vcc, s0, v20
	v_add_u32_e32 v20, s54, v94
	v_addc_co_u32_e32 v27, vcc, v97, v21, vcc
	v_ashrrev_i32_e32 v21, 31, v20
	v_lshlrev_b64 v[20:21], 2, v[20:21]
	;; [unrolled: 5-line block ×6, first 2 shown]
	v_add_co_u32_e32 v36, vcc, s0, v20
	v_addc_co_u32_e32 v37, vcc, v97, v21, vcc
	global_load_dword v20, v[22:23], off
	global_load_dword v21, v[24:25], off
	s_nop 0
	global_load_dword v22, v[26:27], off
	global_load_dword v23, v[28:29], off
	;; [unrolled: 1-line block ×4, first 2 shown]
	s_nop 0
	global_load_dword v32, v[34:35], off
	global_load_dword v33, v[36:37], off
	v_add_u32_e32 v26, s59, v94
	v_ashrrev_i32_e32 v27, 31, v26
	v_lshlrev_b64 v[26:27], 2, v[26:27]
	v_add_u32_e32 v28, s60, v94
	v_add_co_u32_e32 v26, vcc, s0, v26
	v_ashrrev_i32_e32 v29, 31, v28
	v_addc_co_u32_e32 v27, vcc, v97, v27, vcc
	v_lshlrev_b64 v[28:29], 2, v[28:29]
	v_add_u32_e32 v30, s61, v94
	v_add_co_u32_e32 v28, vcc, s0, v28
	v_ashrrev_i32_e32 v31, 31, v30
	v_addc_co_u32_e32 v29, vcc, v97, v29, vcc
	;; [unrolled: 5-line block ×4, first 2 shown]
	v_lshlrev_b64 v[36:37], 2, v[36:37]
	v_add_co_u32_e32 v40, vcc, s0, v36
	v_add_u32_e32 v36, s64, v94
	v_addc_co_u32_e32 v41, vcc, v97, v37, vcc
	v_ashrrev_i32_e32 v37, 31, v36
	v_lshlrev_b64 v[36:37], 2, v[36:37]
	v_add_co_u32_e32 v42, vcc, s0, v36
	v_add_u32_e32 v36, s65, v94
	v_addc_co_u32_e32 v43, vcc, v97, v37, vcc
	v_ashrrev_i32_e32 v37, 31, v36
	;; [unrolled: 5-line block ×3, first 2 shown]
	v_lshlrev_b64 v[36:37], 2, v[36:37]
	v_add_co_u32_e32 v46, vcc, s0, v36
	v_addc_co_u32_e32 v47, vcc, v97, v37, vcc
	global_load_dword v36, v[26:27], off
	global_load_dword v37, v[28:29], off
	;; [unrolled: 1-line block ×4, first 2 shown]
	s_nop 0
	global_load_dword v40, v[40:41], off
	s_nop 0
	global_load_dword v41, v[42:43], off
	;; [unrolled: 2-line block ×3, first 2 shown]
	global_load_dword v43, v[46:47], off
	v_add_u32_e32 v26, s67, v94
	v_ashrrev_i32_e32 v27, 31, v26
	v_lshlrev_b64 v[26:27], 2, v[26:27]
	v_add_u32_e32 v28, s68, v94
	v_add_co_u32_e32 v26, vcc, s0, v26
	v_ashrrev_i32_e32 v29, 31, v28
	v_addc_co_u32_e32 v27, vcc, v97, v27, vcc
	v_lshlrev_b64 v[28:29], 2, v[28:29]
	v_add_u32_e32 v30, s69, v94
	v_add_co_u32_e32 v28, vcc, s0, v28
	v_ashrrev_i32_e32 v31, 31, v30
	v_addc_co_u32_e32 v29, vcc, v97, v29, vcc
	;; [unrolled: 5-line block ×4, first 2 shown]
	v_lshlrev_b64 v[44:45], 2, v[44:45]
	v_add_co_u32_e32 v48, vcc, s0, v44
	v_add_u32_e32 v44, s72, v94
	v_addc_co_u32_e32 v49, vcc, v97, v45, vcc
	v_ashrrev_i32_e32 v45, 31, v44
	v_lshlrev_b64 v[44:45], 2, v[44:45]
	v_add_co_u32_e32 v52, vcc, s0, v44
	v_add_u32_e32 v44, s73, v94
	v_addc_co_u32_e32 v53, vcc, v97, v45, vcc
	v_ashrrev_i32_e32 v45, 31, v44
	;; [unrolled: 5-line block ×3, first 2 shown]
	v_lshlrev_b64 v[44:45], 2, v[44:45]
	v_add_co_u32_e32 v56, vcc, s0, v44
	v_addc_co_u32_e32 v57, vcc, v97, v45, vcc
	global_load_dword v44, v[26:27], off
	global_load_dword v45, v[28:29], off
	;; [unrolled: 1-line block ×6, first 2 shown]
	s_nop 0
	global_load_dword v48, v[54:55], off
	global_load_dword v49, v[56:57], off
	v_add_u32_e32 v26, s75, v94
	v_ashrrev_i32_e32 v27, 31, v26
	v_lshlrev_b64 v[26:27], 2, v[26:27]
	v_add_u32_e32 v28, s76, v94
	v_add_co_u32_e32 v26, vcc, s0, v26
	v_ashrrev_i32_e32 v29, 31, v28
	v_addc_co_u32_e32 v27, vcc, v97, v27, vcc
	v_lshlrev_b64 v[28:29], 2, v[28:29]
	v_add_u32_e32 v30, s77, v94
	v_add_co_u32_e32 v28, vcc, s0, v28
	v_ashrrev_i32_e32 v31, 31, v30
	v_addc_co_u32_e32 v29, vcc, v97, v29, vcc
	;; [unrolled: 5-line block ×6, first 2 shown]
	v_lshlrev_b64 v[56:57], 2, v[56:57]
	v_add_co_u32_e32 v56, vcc, s0, v56
	v_addc_co_u32_e32 v57, vcc, v97, v57, vcc
	v_add_co_u32_e32 v58, vcc, s0, v58
	v_addc_co_u32_e32 v59, vcc, v97, v59, vcc
	global_load_dword v60, v[26:27], off
	global_load_dword v61, v[28:29], off
	;; [unrolled: 1-line block ×8, first 2 shown]
	v_add_u32_e32 v26, s83, v94
	v_ashrrev_i32_e32 v27, 31, v26
	v_lshlrev_b64 v[26:27], 2, v[26:27]
	v_add_u32_e32 v28, s84, v94
	v_add_co_u32_e32 v26, vcc, s0, v26
	v_ashrrev_i32_e32 v29, 31, v28
	v_addc_co_u32_e32 v27, vcc, v97, v27, vcc
	v_lshlrev_b64 v[28:29], 2, v[28:29]
	v_add_u32_e32 v30, s85, v94
	v_add_co_u32_e32 v28, vcc, s0, v28
	v_ashrrev_i32_e32 v31, 31, v30
	v_addc_co_u32_e32 v29, vcc, v97, v29, vcc
	;; [unrolled: 5-line block ×7, first 2 shown]
	v_lshlrev_b64 v[58:59], 2, v[58:59]
	v_add_co_u32_e32 v58, vcc, s0, v58
	v_addc_co_u32_e32 v59, vcc, v97, v59, vcc
	global_load_dword v68, v[26:27], off
	global_load_dword v69, v[28:29], off
	;; [unrolled: 1-line block ×8, first 2 shown]
	v_add_u32_e32 v26, s90, v94
	v_ashrrev_i32_e32 v27, 31, v26
	v_lshlrev_b64 v[26:27], 2, v[26:27]
	v_add_u32_e32 v28, s91, v94
	v_add_co_u32_e32 v26, vcc, s0, v26
	v_ashrrev_i32_e32 v29, 31, v28
	v_addc_co_u32_e32 v27, vcc, v97, v27, vcc
	v_lshlrev_b64 v[28:29], 2, v[28:29]
	v_add_u32_e32 v30, s92, v94
	v_add_co_u32_e32 v28, vcc, s0, v28
	v_ashrrev_i32_e32 v31, 31, v30
	v_addc_co_u32_e32 v29, vcc, v97, v29, vcc
	;; [unrolled: 5-line block ×7, first 2 shown]
	v_lshlrev_b64 v[58:59], 2, v[58:59]
	v_add_co_u32_e32 v58, vcc, s0, v58
	v_addc_co_u32_e32 v59, vcc, v97, v59, vcc
	global_load_dword v76, v[26:27], off
	global_load_dword v77, v[28:29], off
	;; [unrolled: 1-line block ×8, first 2 shown]
	v_add_u32_e32 v26, s22, v94
	v_ashrrev_i32_e32 v27, 31, v26
	v_lshlrev_b64 v[26:27], 2, v[26:27]
	v_add_u32_e32 v28, s23, v94
	v_add_co_u32_e32 v26, vcc, s0, v26
	v_ashrrev_i32_e32 v29, 31, v28
	v_addc_co_u32_e32 v27, vcc, v97, v27, vcc
	v_lshlrev_b64 v[28:29], 2, v[28:29]
	v_add_u32_e32 v30, s28, v94
	v_add_co_u32_e32 v28, vcc, s0, v28
	v_ashrrev_i32_e32 v31, 31, v30
	v_addc_co_u32_e32 v29, vcc, v97, v29, vcc
	;; [unrolled: 5-line block ×5, first 2 shown]
	v_lshlrev_b64 v[54:55], 2, v[54:55]
	v_add_co_u32_e32 v54, vcc, s0, v54
	v_addc_co_u32_e32 v55, vcc, v97, v55, vcc
	global_load_dword v84, v[26:27], off
	global_load_dword v85, v[28:29], off
	;; [unrolled: 1-line block ×6, first 2 shown]
	s_waitcnt vmcnt(55)
	ds_write_b32 v95, v18 offset:2112
	s_waitcnt vmcnt(54)
	ds_write_b32 v95, v19 offset:2376
	s_waitcnt vmcnt(53)
	ds_write_b32 v95, v20 offset:2640
	s_waitcnt vmcnt(52)
	ds_write_b32 v95, v21 offset:2904
	s_waitcnt vmcnt(51)
	ds_write_b32 v95, v22 offset:3168
	s_waitcnt vmcnt(50)
	ds_write_b32 v95, v23 offset:3432
	s_waitcnt vmcnt(49)
	ds_write_b32 v95, v24 offset:3696
	s_waitcnt vmcnt(48)
	ds_write_b32 v95, v25 offset:3960
	ds_read_b64 v[34:35], v96
	ds_read_b64 v[30:31], v96 offset:32
	ds_read_b64 v[28:29], v96 offset:64
	ds_read_b64 v[26:27], v96 offset:96
	ds_read_b64 v[24:25], v96 offset:128
	ds_read_b64 v[22:23], v96 offset:160
	ds_read_b64 v[20:21], v96 offset:192
	ds_read_b64 v[18:19], v96 offset:224
	s_waitcnt vmcnt(47)
	ds_write_b32 v95, v32
	s_waitcnt vmcnt(46)
	ds_write_b32 v95, v33 offset:264
	s_waitcnt vmcnt(45)
	ds_write_b32 v95, v36 offset:528
	s_waitcnt vmcnt(44)
	ds_write_b32 v95, v37 offset:792
	s_waitcnt vmcnt(43)
	ds_write_b32 v95, v38 offset:1056
	s_waitcnt vmcnt(42)
	ds_write_b32 v95, v39 offset:1320
	s_waitcnt vmcnt(41)
	ds_write_b32 v95, v40 offset:1584
	s_waitcnt vmcnt(40)
	ds_write_b32 v95, v41 offset:1848
	s_waitcnt vmcnt(39)
	ds_write_b32 v95, v42 offset:2112
	s_waitcnt vmcnt(38)
	ds_write_b32 v95, v43 offset:2376
	s_waitcnt vmcnt(37)
	ds_write_b32 v95, v44 offset:2640
	s_waitcnt vmcnt(36)
	ds_write_b32 v95, v45 offset:2904
	s_waitcnt vmcnt(35)
	ds_write_b32 v95, v46 offset:3168
	s_waitcnt vmcnt(34)
	ds_write_b32 v95, v47 offset:3432
	s_waitcnt vmcnt(33)
	ds_write_b32 v95, v50 offset:3696
	s_waitcnt vmcnt(32)
	ds_write_b32 v95, v51 offset:3960
	ds_read_b64 v[50:51], v96
	ds_read_b64 v[46:47], v96 offset:32
	ds_read_b64 v[44:45], v96 offset:64
	ds_read_b64 v[42:43], v96 offset:96
	ds_read_b64 v[40:41], v96 offset:128
	ds_read_b64 v[38:39], v96 offset:160
	ds_read_b64 v[36:37], v96 offset:192
	ds_read_b64 v[32:33], v96 offset:224
	s_waitcnt vmcnt(31)
	ds_write_b32 v95, v48
	s_waitcnt vmcnt(30)
	ds_write_b32 v95, v49 offset:264
	s_waitcnt vmcnt(29)
	ds_write_b32 v95, v60 offset:528
	s_waitcnt vmcnt(28)
	ds_write_b32 v95, v61 offset:792
	s_waitcnt vmcnt(27)
	ds_write_b32 v95, v62 offset:1056
	s_waitcnt vmcnt(26)
	ds_write_b32 v95, v63 offset:1320
	s_waitcnt vmcnt(25)
	ds_write_b32 v95, v64 offset:1584
	s_waitcnt vmcnt(24)
	ds_write_b32 v95, v65 offset:1848
	;; [unrolled: 40-line block ×3, first 2 shown]
	s_waitcnt vmcnt(7)
	ds_write_b32 v95, v82 offset:2112
	s_waitcnt vmcnt(6)
	ds_write_b32 v95, v83 offset:2376
	s_waitcnt vmcnt(5)
	ds_write_b32 v95, v84 offset:2640
	s_waitcnt vmcnt(4)
	ds_write_b32 v95, v85 offset:2904
	s_waitcnt vmcnt(3)
	ds_write_b32 v95, v86 offset:3168
	s_waitcnt vmcnt(2)
	ds_write_b32 v95, v87 offset:3432
	s_waitcnt vmcnt(1)
	ds_write_b32 v95, v88 offset:3696
	s_waitcnt vmcnt(0)
	ds_write_b32 v95, v89 offset:3960
	ds_read_b64 v[80:81], v96
	ds_read_b64 v[78:79], v96 offset:32
	ds_read_b64 v[76:77], v96 offset:64
	;; [unrolled: 1-line block ×7, first 2 shown]
	s_andn2_b64 vcc, exec, s[4:5]
	v_mov_b32_e32 v82, 0
	v_mov_b32_e32 v83, 0
	s_cbranch_vccnz .LBB114_9
; %bb.7:                                ;   in Loop: Header=BB114_6 Depth=1
	s_load_dword vcc_lo, s[34:35], 0x0
	v_mov_b32_e32 v83, 0
	v_mov_b32_e32 v82, 0
	s_waitcnt lgkmcnt(0)
	s_mul_hi_u32 vcc_hi, vcc_lo, s16
	s_add_i32 vcc_hi, vcc_lo, vcc_hi
	s_lshr_b32 s30, vcc_hi, s17
	s_cmp_ge_i32 s30, s13
	s_cbranch_scc1 .LBB114_9
; %bb.8:                                ;   in Loop: Header=BB114_6 Depth=1
	s_mul_i32 vcc_hi, s30, s18
	s_sub_i32 s31, vcc_lo, vcc_hi
	s_mul_i32 s30, s30, s20
	s_mul_i32 s31, s31, s1
	v_add_u32_e32 v82, s30, v94
	v_lshl_add_u32 v82, v82, 1, s31
	v_ashrrev_i32_e32 v83, 31, v82
	v_lshlrev_b64 v[82:83], 2, v[82:83]
	v_mov_b32_e32 v84, s11
	v_add_co_u32_e32 v82, vcc, s10, v82
	v_addc_co_u32_e32 v83, vcc, v84, v83, vcc
	global_load_dwordx2 v[82:83], v[82:83], off
.LBB114_9:                              ;   in Loop: Header=BB114_6 Depth=1
	s_andn2_b64 vcc, exec, s[36:37]
	v_mov_b32_e32 v84, 0
	v_mov_b32_e32 v86, 0
	;; [unrolled: 1-line block ×3, first 2 shown]
	s_cbranch_vccnz .LBB114_12
; %bb.10:                               ;   in Loop: Header=BB114_6 Depth=1
	s_load_dword vcc_lo, s[34:35], 0x4
	v_mov_b32_e32 v87, 0
	v_mov_b32_e32 v86, 0
	s_waitcnt lgkmcnt(0)
	s_mul_hi_u32 s30, vcc_lo, s16
	s_add_i32 s30, vcc_lo, s30
	s_lshr_b32 vcc_hi, s30, s17
	s_cmp_ge_i32 vcc_hi, s13
	s_cbranch_scc1 .LBB114_12
; %bb.11:                               ;   in Loop: Header=BB114_6 Depth=1
	s_mul_i32 s30, vcc_hi, s18
	s_sub_i32 s30, vcc_lo, s30
	s_mul_i32 vcc_hi, vcc_hi, s20
	s_mul_i32 s30, s30, s1
	v_add_u32_e32 v85, vcc_hi, v94
	v_lshl_add_u32 v86, v85, 1, s30
	v_ashrrev_i32_e32 v87, 31, v86
	v_lshlrev_b64 v[86:87], 2, v[86:87]
	v_mov_b32_e32 v85, s11
	v_add_co_u32_e32 v86, vcc, s10, v86
	v_addc_co_u32_e32 v87, vcc, v85, v87, vcc
	global_load_dwordx2 v[86:87], v[86:87], off
.LBB114_12:                             ;   in Loop: Header=BB114_6 Depth=1
	s_andn2_b64 vcc, exec, s[38:39]
	v_mov_b32_e32 v85, 0
	s_cbranch_vccnz .LBB114_15
; %bb.13:                               ;   in Loop: Header=BB114_6 Depth=1
	s_load_dword vcc_lo, s[34:35], 0x8
	v_mov_b32_e32 v85, 0
	v_mov_b32_e32 v84, 0
	s_waitcnt lgkmcnt(0)
	s_mul_hi_u32 s30, vcc_lo, s16
	s_add_i32 s30, vcc_lo, s30
	s_lshr_b32 vcc_hi, s30, s17
	s_cmp_ge_i32 vcc_hi, s13
	s_cbranch_scc1 .LBB114_15
; %bb.14:                               ;   in Loop: Header=BB114_6 Depth=1
	s_mul_i32 s30, vcc_hi, s18
	s_sub_i32 s30, vcc_lo, s30
	s_mul_i32 vcc_hi, vcc_hi, s20
	s_mul_i32 s30, s30, s1
	v_add_u32_e32 v84, vcc_hi, v94
	v_lshl_add_u32 v84, v84, 1, s30
	v_ashrrev_i32_e32 v85, 31, v84
	v_lshlrev_b64 v[84:85], 2, v[84:85]
	v_mov_b32_e32 v88, s11
	v_add_co_u32_e32 v84, vcc, s10, v84
	v_addc_co_u32_e32 v85, vcc, v88, v85, vcc
	global_load_dwordx2 v[84:85], v[84:85], off
.LBB114_15:                             ;   in Loop: Header=BB114_6 Depth=1
	s_andn2_b64 vcc, exec, s[40:41]
	v_mov_b32_e32 v88, 0
	v_mov_b32_e32 v89, 0
	s_cbranch_vccnz .LBB114_5
; %bb.16:                               ;   in Loop: Header=BB114_6 Depth=1
	s_load_dword vcc_lo, s[34:35], 0xc
	v_mov_b32_e32 v89, 0
	v_mov_b32_e32 v88, 0
	s_waitcnt lgkmcnt(0)
	s_mul_hi_u32 s30, vcc_lo, s16
	s_add_i32 s30, vcc_lo, s30
	s_lshr_b32 vcc_hi, s30, s17
	s_cmp_ge_i32 vcc_hi, s13
	s_cbranch_scc1 .LBB114_5
; %bb.17:                               ;   in Loop: Header=BB114_6 Depth=1
	s_mul_i32 s30, vcc_hi, s18
	s_sub_i32 s30, vcc_lo, s30
	s_mul_i32 vcc_hi, vcc_hi, s20
	s_mul_i32 s30, s30, s1
	v_add_u32_e32 v88, vcc_hi, v94
	v_lshl_add_u32 v88, v88, 1, s30
	v_ashrrev_i32_e32 v89, 31, v88
	v_lshlrev_b64 v[88:89], 2, v[88:89]
	v_mov_b32_e32 v100, s11
	v_add_co_u32_e32 v88, vcc, s10, v88
	v_addc_co_u32_e32 v89, vcc, v100, v89, vcc
	global_load_dwordx2 v[88:89], v[88:89], off
	s_branch .LBB114_5
.LBB114_18:
	s_or_b64 exec, exec, s[8:9]
	v_readlane_b32 s24, v101, 6
	v_readlane_b32 s25, v101, 7
	;; [unrolled: 1-line block ×3, first 2 shown]
.LBB114_19:
	v_readlane_b32 s0, v101, 4
	v_readlane_b32 s1, v101, 5
	s_or_b64 exec, exec, s[0:1]
	v_mul_u32_u24_e32 v16, 0x608, v93
	v_lshlrev_b32_e32 v17, 2, v92
	v_add3_u32 v16, 0, v16, v17
	v_and_b32_e32 v17, 0x3f0, v90
	v_add_u32_e32 v17, v16, v17
	s_barrier
	ds_write2_b32 v17, v8, v9 offset1:1
	ds_write_b32 v17, v10 offset:8
	v_or_b32_e32 v8, 12, v90
	v_and_b32_e32 v8, 0x3fc, v8
	v_add_u32_e32 v8, v16, v8
	v_cmp_gt_u32_e32 vcc, 4, v91
	ds_write_b32 v8, v11
	ds_write2_b32 v17, v4, v5 offset0:16 offset1:17
	ds_write_b32 v17, v6 offset:72
	ds_write_b32 v8, v7 offset:64
	ds_write2_b32 v17, v0, v1 offset0:32 offset1:33
	ds_write_b32 v17, v2 offset:136
	ds_write_b32 v8, v3 offset:128
	;; [unrolled: 3-line block ×3, first 2 shown]
	s_waitcnt lgkmcnt(0)
	s_barrier
	s_and_saveexec_b64 s[0:1], vcc
	s_cbranch_execz .LBB114_23
; %bb.20:
	s_cmp_gt_i32 s14, 0
	v_or_b32_e32 v0, s6, v91
	s_cselect_b64 s[0:1], -1, 0
	v_cmp_gt_i32_e32 vcc, s33, v0
	s_and_b64 s[0:1], s[0:1], vcc
	s_and_b64 exec, exec, s[0:1]
	s_cbranch_execz .LBB114_23
; %bb.21:
	s_lshl_b64 s[0:1], s[26:27], 2
	v_readlane_b32 s4, v101, 0
	v_readlane_b32 s5, v101, 1
	s_add_u32 s0, s4, s0
	v_ashrrev_i32_e32 v1, 31, v0
	s_addc_u32 s1, s5, s1
	v_lshlrev_b64 v[0:1], 2, v[0:1]
	v_mov_b32_e32 v2, s1
	v_add_co_u32_e32 v0, vcc, s0, v0
	v_addc_co_u32_e32 v1, vcc, v2, v1, vcc
	global_load_dword v0, v[0:1], off
	s_waitcnt vmcnt(0)
	v_mul_hi_u32 v1, v0, s19
	v_add_u32_e32 v1, v0, v1
	v_lshrrev_b32_e32 v1, s24, v1
	v_cmp_gt_i32_e32 vcc, s13, v1
	s_and_b64 exec, exec, vcc
	s_cbranch_execz .LBB114_23
; %bb.22:
	v_lshlrev_b32_e32 v2, 2, v90
	v_mul_u32_u24_e32 v3, 0x608, v91
	v_add3_u32 v6, 0, v2, v3
	ds_read2st64_b32 v[2:3], v6 offset1:1
	ds_read2st64_b32 v[4:5], v6 offset0:2 offset1:3
	ds_read2st64_b32 v[6:7], v6 offset0:4 offset1:5
	v_add_u32_e32 v8, s7, v90
	v_readlane_b32 s0, v101, 2
	s_waitcnt lgkmcnt(2)
	v_add_f32_e32 v2, 0, v2
	v_add_f32_e32 v2, v2, v3
	v_mul_lo_u32 v3, v1, s25
	v_sub_u32_e32 v0, v0, v3
	v_mul_lo_u32 v0, v0, s2
	v_mul_lo_u32 v1, v1, s21
	s_waitcnt lgkmcnt(1)
	v_add_f32_e32 v2, v2, v4
	v_add3_u32 v0, v8, v1, v0
	v_mov_b32_e32 v1, 0
	v_add_f32_e32 v2, v2, v5
	v_lshlrev_b64 v[0:1], 2, v[0:1]
	v_readlane_b32 s1, v101, 3
	s_waitcnt lgkmcnt(0)
	v_add_f32_e32 v2, v2, v6
	v_mov_b32_e32 v3, s1
	v_add_co_u32_e32 v0, vcc, s0, v0
	v_add_f32_e32 v2, v2, v7
	v_addc_co_u32_e32 v1, vcc, v3, v1, vcc
	global_store_dword v[0:1], v2, off
.LBB114_23:
	s_endpgm
	.section	.rodata,"a",@progbits
	.p2align	6, 0x0
	.amdhsa_kernel _ZL13mul_mat_f_idsI7__half2Li64ELi4ELi6EEvPKT_PKfPKiS7_S7_Pfiiiiiiiiiiiiii15HIP_vector_typeIjLj3EESA_
		.amdhsa_group_segment_fixed_size 0
		.amdhsa_private_segment_fixed_size 0
		.amdhsa_kernarg_size 128
		.amdhsa_user_sgpr_count 6
		.amdhsa_user_sgpr_private_segment_buffer 1
		.amdhsa_user_sgpr_dispatch_ptr 0
		.amdhsa_user_sgpr_queue_ptr 0
		.amdhsa_user_sgpr_kernarg_segment_ptr 1
		.amdhsa_user_sgpr_dispatch_id 0
		.amdhsa_user_sgpr_flat_scratch_init 0
		.amdhsa_user_sgpr_kernarg_preload_length 0
		.amdhsa_user_sgpr_kernarg_preload_offset 0
		.amdhsa_user_sgpr_private_segment_size 0
		.amdhsa_uses_dynamic_stack 0
		.amdhsa_system_sgpr_private_segment_wavefront_offset 0
		.amdhsa_system_sgpr_workgroup_id_x 1
		.amdhsa_system_sgpr_workgroup_id_y 1
		.amdhsa_system_sgpr_workgroup_id_z 1
		.amdhsa_system_sgpr_workgroup_info 0
		.amdhsa_system_vgpr_workitem_id 1
		.amdhsa_next_free_vgpr 102
		.amdhsa_next_free_sgpr 96
		.amdhsa_accum_offset 104
		.amdhsa_reserve_vcc 1
		.amdhsa_reserve_flat_scratch 0
		.amdhsa_float_round_mode_32 0
		.amdhsa_float_round_mode_16_64 0
		.amdhsa_float_denorm_mode_32 3
		.amdhsa_float_denorm_mode_16_64 3
		.amdhsa_dx10_clamp 1
		.amdhsa_ieee_mode 1
		.amdhsa_fp16_overflow 0
		.amdhsa_tg_split 0
		.amdhsa_exception_fp_ieee_invalid_op 0
		.amdhsa_exception_fp_denorm_src 0
		.amdhsa_exception_fp_ieee_div_zero 0
		.amdhsa_exception_fp_ieee_overflow 0
		.amdhsa_exception_fp_ieee_underflow 0
		.amdhsa_exception_fp_ieee_inexact 0
		.amdhsa_exception_int_div_zero 0
	.end_amdhsa_kernel
	.section	.text._ZL13mul_mat_f_idsI7__half2Li64ELi4ELi6EEvPKT_PKfPKiS7_S7_Pfiiiiiiiiiiiiii15HIP_vector_typeIjLj3EESA_,"axG",@progbits,_ZL13mul_mat_f_idsI7__half2Li64ELi4ELi6EEvPKT_PKfPKiS7_S7_Pfiiiiiiiiiiiiii15HIP_vector_typeIjLj3EESA_,comdat
.Lfunc_end114:
	.size	_ZL13mul_mat_f_idsI7__half2Li64ELi4ELi6EEvPKT_PKfPKiS7_S7_Pfiiiiiiiiiiiiii15HIP_vector_typeIjLj3EESA_, .Lfunc_end114-_ZL13mul_mat_f_idsI7__half2Li64ELi4ELi6EEvPKT_PKfPKiS7_S7_Pfiiiiiiiiiiiiii15HIP_vector_typeIjLj3EESA_
                                        ; -- End function
	.section	.AMDGPU.csdata,"",@progbits
; Kernel info:
; codeLenInByte = 5456
; NumSgprs: 100
; NumVgprs: 102
; NumAgprs: 0
; TotalNumVgprs: 102
; ScratchSize: 0
; MemoryBound: 0
; FloatMode: 240
; IeeeMode: 1
; LDSByteSize: 0 bytes/workgroup (compile time only)
; SGPRBlocks: 12
; VGPRBlocks: 12
; NumSGPRsForWavesPerEU: 100
; NumVGPRsForWavesPerEU: 102
; AccumOffset: 104
; Occupancy: 4
; WaveLimiterHint : 1
; COMPUTE_PGM_RSRC2:SCRATCH_EN: 0
; COMPUTE_PGM_RSRC2:USER_SGPR: 6
; COMPUTE_PGM_RSRC2:TRAP_HANDLER: 0
; COMPUTE_PGM_RSRC2:TGID_X_EN: 1
; COMPUTE_PGM_RSRC2:TGID_Y_EN: 1
; COMPUTE_PGM_RSRC2:TGID_Z_EN: 1
; COMPUTE_PGM_RSRC2:TIDIG_COMP_CNT: 1
; COMPUTE_PGM_RSRC3_GFX90A:ACCUM_OFFSET: 25
; COMPUTE_PGM_RSRC3_GFX90A:TG_SPLIT: 0
	.section	.text._ZL9mul_mat_fI7__half2Li64ELi4ELi6ELb1EEvPKT_PKfPKiPfiiiiiiiiiiiiiiii,"axG",@progbits,_ZL9mul_mat_fI7__half2Li64ELi4ELi6ELb1EEvPKT_PKfPKiPfiiiiiiiiiiiiiiii,comdat
	.globl	_ZL9mul_mat_fI7__half2Li64ELi4ELi6ELb1EEvPKT_PKfPKiPfiiiiiiiiiiiiiiii ; -- Begin function _ZL9mul_mat_fI7__half2Li64ELi4ELi6ELb1EEvPKT_PKfPKiPfiiiiiiiiiiiiiiii
	.p2align	8
	.type	_ZL9mul_mat_fI7__half2Li64ELi4ELi6ELb1EEvPKT_PKfPKiPfiiiiiiiiiiiiiiii,@function
_ZL9mul_mat_fI7__half2Li64ELi4ELi6ELb1EEvPKT_PKfPKiPfiiiiiiiiiiiiiiii: ; @_ZL9mul_mat_fI7__half2Li64ELi4ELi6ELb1EEvPKT_PKfPKiPfiiiiiiiiiiiiiiii
; %bb.0:
	s_load_dwordx8 s[12:19], s[4:5], 0x20
	v_and_b32_e32 v16, 0x3ff, v0
	v_bfe_u32 v17, v0, 10, 10
	v_cmp_eq_u32_e32 vcc, 0, v16
	s_waitcnt lgkmcnt(0)
	s_add_i32 s0, s13, 3
	s_ashr_i32 s1, s0, 31
	s_lshr_b32 s1, s1, 30
	s_add_i32 s0, s0, s1
	s_ashr_i32 s0, s0, 2
	v_cvt_f32_u32_e32 v1, s0
	s_load_dwordx4 s[20:23], s[4:5], 0x44
	s_load_dword s1, s[4:5], 0x64
	s_sub_i32 s2, 0, s0
	s_add_u32 s10, s4, 0x60
	v_rcp_iflag_f32_e32 v1, v1
	s_addc_u32 s11, s5, 0
	v_mul_f32_e32 v1, 0x4f7ffffe, v1
	v_cvt_u32_f32_e32 v1, v1
	v_readfirstlane_b32 s3, v1
	s_mul_i32 s2, s2, s3
	s_mul_hi_u32 s2, s3, s2
	s_add_i32 s3, s3, s2
	s_waitcnt lgkmcnt(0)
	s_mul_hi_u32 s2, s1, s3
	s_mul_i32 s3, s2, s0
	s_sub_i32 s1, s1, s3
	s_add_i32 s9, s2, 1
	s_sub_i32 s3, s1, s0
	s_cmp_ge_u32 s1, s0
	s_cselect_b32 s2, s9, s2
	s_cselect_b32 s1, s3, s1
	s_add_i32 s3, s2, 1
	s_cmp_ge_u32 s1, s0
	s_cselect_b32 s2, s3, s2
	v_cvt_f32_u32_e32 v1, s2
	s_abs_i32 s33, s23
	v_cvt_f32_u32_e32 v2, s33
	s_sub_i32 s0, 0, s2
	v_rcp_iflag_f32_e32 v1, v1
	s_sub_i32 s1, 0, s33
	v_rcp_iflag_f32_e32 v2, v2
	v_mul_f32_e32 v1, 0x4f7ffffe, v1
	v_cvt_u32_f32_e32 v1, v1
	v_mul_f32_e32 v2, 0x4f7ffffe, v2
	v_cvt_u32_f32_e32 v2, v2
	v_readfirstlane_b32 s3, v1
	s_mul_i32 s0, s0, s3
	v_readfirstlane_b32 s34, v2
	s_mul_hi_u32 s0, s3, s0
	s_mul_i32 s1, s1, s34
	s_add_i32 s3, s3, s0
	s_mul_hi_u32 s9, s34, s1
	s_mul_hi_u32 s3, s7, s3
	s_and_saveexec_b64 s[0:1], vcc
	s_cbranch_execz .LBB115_2
; %bb.1:
	v_mov_b32_e32 v1, 0x100
	v_lshl_add_u32 v1, v17, 2, v1
	v_mov_b32_e32 v2, -1
	ds_write_b32 v1, v2
.LBB115_2:
	s_or_b64 exec, exec, s[0:1]
	s_mul_i32 s0, s3, s2
	s_load_dwordx4 s[24:27], s[4:5], 0x54
	s_sub_i32 s0, s7, s0
	s_waitcnt lgkmcnt(0)
	s_abs_i32 s27, s8
	s_add_i32 s34, s34, s9
	s_add_i32 s1, s3, 1
	s_sub_i32 s9, s0, s2
	s_cmp_ge_u32 s0, s2
	s_cselect_b32 s1, s1, s3
	s_cselect_b32 s0, s9, s0
	s_add_i32 s3, s1, 1
	s_cmp_ge_u32 s0, s2
	s_cselect_b32 s0, s3, s1
	s_lshl_b32 s9, s0, 2
	s_mul_i32 s1, s0, s2
	v_add_u32_e32 v1, s9, v17
	s_sub_i32 s7, s7, s1
	v_cmp_gt_i32_e32 vcc, s13, v1
	v_mov_b32_e32 v1, 0
	s_and_saveexec_b64 s[2:3], vcc
	s_cbranch_execz .LBB115_10
; %bb.3:
	v_cmp_gt_i32_e32 vcc, s14, v16
	v_mov_b32_e32 v1, 0
	s_and_saveexec_b64 s[28:29], vcc
	s_cbranch_execz .LBB115_9
; %bb.4:
	s_load_dwordx2 s[0:1], s[4:5], 0x10
	s_mul_hi_i32 s31, s9, s19
	s_mul_i32 s30, s9, s19
	v_mul_lo_u32 v2, v17, s19
	s_lshl_b64 s[30:31], s[30:31], 2
	s_waitcnt lgkmcnt(0)
	s_add_u32 s0, s0, s30
	v_ashrrev_i32_e32 v3, 31, v2
	s_addc_u32 s1, s1, s31
	v_lshlrev_b64 v[2:3], 2, v[2:3]
	v_mov_b32_e32 v4, s1
	v_add_co_u32_e32 v1, vcc, s0, v2
	v_mov_b32_e32 v2, 0x100
	v_addc_co_u32_e32 v4, vcc, v4, v3, vcc
	v_lshl_add_u32 v5, v17, 2, v2
	v_mul_lo_u32 v2, v16, s18
	s_lshl_b32 s35, s18, 6
	s_mov_b64 s[18:19], 0
	v_mov_b32_e32 v6, 0
	v_mov_b32_e32 v7, v16
	s_branch .LBB115_6
.LBB115_5:                              ;   in Loop: Header=BB115_6 Depth=1
	s_or_b64 exec, exec, s[30:31]
	v_add_u32_e32 v7, 64, v7
	v_cmp_le_i32_e64 s[0:1], s14, v7
	s_xor_b64 s[30:31], vcc, -1
	s_or_b64 s[0:1], s[30:31], s[0:1]
	s_and_b64 s[0:1], exec, s[0:1]
	s_or_b64 s[18:19], s[0:1], s[18:19]
	v_add_u32_e32 v2, s35, v2
	s_andn2_b64 exec, exec, s[18:19]
	s_cbranch_execz .LBB115_8
.LBB115_6:                              ; =>This Inner Loop Header: Depth=1
	v_ashrrev_i32_e32 v3, 31, v2
	v_lshlrev_b64 v[8:9], 2, v[2:3]
	v_add_co_u32_e32 v8, vcc, v1, v8
	v_addc_co_u32_e32 v9, vcc, v4, v9, vcc
	global_load_dword v3, v[8:9], off
	s_waitcnt vmcnt(0)
	v_cmp_ne_u32_e32 vcc, s7, v3
	v_cmp_eq_u32_e64 s[0:1], s7, v3
	s_and_saveexec_b64 s[30:31], s[0:1]
	s_cbranch_execz .LBB115_5
; %bb.7:                                ;   in Loop: Header=BB115_6 Depth=1
	v_mov_b32_e32 v6, 1
	ds_write_b32 v5, v7
	s_branch .LBB115_5
.LBB115_8:
	s_or_b64 exec, exec, s[18:19]
	v_cmp_ne_u32_e32 vcc, 0, v6
	v_cndmask_b32_e64 v1, 0, 1, vcc
.LBB115_9:
	s_or_b64 exec, exec, s[28:29]
.LBB115_10:
	s_or_b64 exec, exec, s[2:3]
	s_load_dwordx2 s[0:1], s[10:11], 0xc
	s_load_dwordx4 s[28:31], s[4:5], 0x0
	s_load_dwordx2 s[2:3], s[4:5], 0x18
	v_or_b32_dpp v1, v1, v1 row_shl:1 row_mask:0xf bank_mask:0xf bound_ctrl:1
	s_mul_hi_u32 s4, s27, s34
	s_waitcnt lgkmcnt(0)
	s_and_b32 s5, s1, 0xffff
	s_lshr_b32 s1, s0, 16
	s_and_b32 s0, s0, 0xffff
	v_or_b32_dpp v1, v1, v1 row_shl:2 row_mask:0xf bank_mask:0xf bound_ctrl:1
	s_mul_i32 s10, s1, s0
	s_bfe_i32 s10, s10, 0x180000
	v_or_b32_dpp v1, v1, v1 row_shl:4 row_mask:0xf bank_mask:0xf bound_ctrl:1
	s_mul_i32 s5, s10, s5
	s_add_i32 s10, s5, 63
	v_or_b32_dpp v1, v1, v1 row_shl:8 row_mask:0xf bank_mask:0xf bound_ctrl:1
	s_bitcmp1_b32 exec_hi, 0
	s_nop 0
	v_mov_b32_dpp v2, v1 wave_shl:1 row_mask:0xf bank_mask:0xf bound_ctrl:1
	s_nop 1
	v_or_b32_dpp v1, v2, v1 row_mirror row_mask:0xf bank_mask:0xf bound_ctrl:1
	v_readlane_b32 s5, v1, 32
	s_cselect_b32 s5, s5, 0
	v_readlane_b32 s11, v1, 0
	s_or_b32 s5, s5, s11
	s_andn2_b32 s10, s10, 63
	s_cmp_lg_u32 s10, 64
	v_mov_b32_e32 v1, s5
	s_cbranch_scc0 .LBB115_17
; %bb.11:
	v_bfe_u32 v0, v0, 20, 10
	v_mbcnt_lo_u32_b32 v1, -1, 0
	v_mad_u32_u24 v0, v0, s1, v17
	v_mbcnt_hi_u32_b32 v2, -1, v1
	v_mad_u64_u32 v[0:1], s[0:1], v0, s0, v[16:17]
	v_lshrrev_b32_e32 v1, 6, v0
	v_or_b32_e32 v1, v2, v1
	v_cmp_eq_u32_e32 vcc, 0, v1
	s_and_saveexec_b64 s[0:1], vcc
	s_cbranch_execz .LBB115_13
; %bb.12:
	v_mov_b32_e32 v1, 0
	v_mov_b32_e32 v3, s5
	ds_write_b32 v1, v3
.LBB115_13:
	s_or_b64 exec, exec, s[0:1]
	v_cmp_eq_u32_e32 vcc, 0, v2
	v_cmp_lt_u32_e64 s[0:1], 63, v0
	s_and_b64 s[10:11], s[0:1], vcc
	s_waitcnt lgkmcnt(0)
	s_barrier
	s_and_saveexec_b64 s[0:1], s[10:11]
	s_cbranch_execz .LBB115_16
; %bb.14:
	v_mbcnt_lo_u32_b32 v0, exec_lo, 0
	v_mbcnt_hi_u32_b32 v0, exec_hi, v0
	v_cmp_eq_u32_e32 vcc, 0, v0
	s_and_b64 exec, exec, vcc
	s_cbranch_execz .LBB115_16
; %bb.15:
	v_mov_b32_e32 v0, 0
	v_mov_b32_e32 v1, s5
	ds_or_b32 v0, v1
.LBB115_16:
	s_or_b64 exec, exec, s[0:1]
	v_mov_b32_e32 v0, 0
	s_waitcnt lgkmcnt(0)
	s_barrier
	ds_read_b32 v1, v0
	s_waitcnt lgkmcnt(0)
	s_barrier
.LBB115_17:
	v_cmp_ne_u32_e32 vcc, 0, v1
	s_ashr_i32 s5, s8, 31
	s_ashr_i32 s10, s23, 31
	s_cbranch_vccz .LBB115_39
; %bb.18:
	v_lshlrev_b32_e32 v88, 6, v17
	v_add_u32_e32 v90, v88, v16
	v_cmp_le_i32_e32 vcc, s12, v90
	v_and_b32_e32 v89, 15, v16
                                        ; implicit-def: $sgpr11
	s_and_saveexec_b64 s[0:1], vcc
	s_xor_b64 s[0:1], exec, s[0:1]
; %bb.19:
	v_and_b32_e32 v89, 15, v16
	s_mov_b32 s11, 0
                                        ; implicit-def: $vgpr90
; %bb.20:
	s_or_saveexec_b64 s[0:1], s[0:1]
	s_lshl_b32 s23, s6, 6
	v_mov_b32_e32 v11, s11
	v_mov_b32_e32 v10, s11
	;; [unrolled: 1-line block ×16, first 2 shown]
	s_xor_b64 exec, exec, s[0:1]
	s_cbranch_execz .LBB115_36
; %bb.21:
	s_mul_i32 s6, s4, s33
	s_sub_i32 s6, s27, s6
	s_xor_b32 s5, s5, s10
	s_add_i32 s10, s4, 1
	s_sub_i32 s11, s6, s33
	s_cmp_ge_u32 s6, s33
	s_cselect_b32 s4, s10, s4
	s_cselect_b32 s6, s11, s6
	s_add_i32 s10, s4, 1
	s_cmp_ge_u32 s6, s33
	s_cselect_b32 s4, s10, s4
	s_xor_b32 s4, s4, s5
	s_sub_i32 s4, s4, s5
	s_mul_hi_i32 s5, s4, s24
	s_mul_i32 s4, s4, s24
	s_mul_i32 s6, s7, s20
	s_ashr_i32 s7, s6, 31
	s_lshl_b64 s[34:35], s[4:5], 2
	s_add_u32 s4, s28, s34
	s_addc_u32 s5, s29, s35
	s_lshl_b64 s[36:37], s[6:7], 2
	s_mul_i32 s10, s23, s15
	s_add_u32 s4, s4, s36
	s_addc_u32 s5, s5, s37
	s_ashr_i32 s11, s10, 31
	s_lshl_b64 s[38:39], s[10:11], 2
	s_add_u32 s20, s4, s38
	s_movk_i32 s4, 0x1080
	v_mov_b32_e32 v91, 0x100
	s_addc_u32 s14, s5, s39
	v_mad_u32_u24 v0, v17, s4, v91
	s_mul_hi_i32 s5, s25, s8
	s_mul_i32 s4, s25, s8
	s_mul_hi_i32 s7, s16, s9
	s_mul_i32 s6, s16, s9
	s_lshl_b64 s[6:7], s[6:7], 3
	s_lshl_b64 s[4:5], s[4:5], 2
	s_add_u32 s4, s30, s4
	s_addc_u32 s5, s31, s5
	s_add_u32 s27, s4, s6
	s_addc_u32 s30, s5, s7
	s_cmp_lt_i32 s9, s13
	s_cselect_b64 s[4:5], -1, 0
	s_or_b32 s6, s9, 1
	s_cmp_lt_i32 s6, s13
	s_cselect_b64 s[6:7], -1, 0
	s_or_b32 s10, s9, 2
	s_cmp_lt_i32 s10, s13
	s_cselect_b64 s[10:11], -1, 0
	s_lshl_b32 s31, s16, 2
	s_or_b32 s18, s9, 3
	s_cmp_lt_i32 s18, s13
	s_cselect_b64 s[18:19], -1, 0
	s_ashr_i32 s25, s15, 31
	s_mov_b32 s24, s15
	s_lshl_b64 s[24:25], s[24:25], 2
	s_add_u32 s33, s34, s38
	s_addc_u32 s34, s35, s39
	v_lshrrev_b32_e32 v2, 1, v16
	s_add_u32 s33, s33, s36
	v_mul_u32_u24_e32 v1, 0x108, v89
	v_and_b32_e32 v2, 0x1f8, v2
	s_addc_u32 s34, s34, s37
	v_lshl_add_u32 v92, v16, 2, v0
	v_add3_u32 v93, v0, v1, v2
	v_lshlrev_b32_e32 v0, 1, v16
	s_add_u32 s28, s28, s33
	v_lshl_add_u32 v94, v17, 7, v0
	v_lshlrev_b32_e32 v0, 2, v90
	s_addc_u32 s29, s29, s34
	v_mov_b32_e32 v1, s29
	v_add_co_u32_e32 v18, vcc, s28, v0
	v_mov_b32_e32 v96, 0
	v_addc_co_u32_e32 v19, vcc, 0, v1, vcc
	s_mul_i32 s28, s16, 6
	s_lshl_b32 s16, s16, 1
	s_lshl_b32 s29, s15, 1
	s_mul_i32 s33, s15, 3
	s_lshl_b32 s34, s15, 2
	s_mul_i32 s35, s15, 5
	s_mul_i32 s36, s15, 6
	;; [unrolled: 1-line block ×3, first 2 shown]
	s_lshl_b32 s38, s15, 3
	s_mul_i32 s39, s15, 9
	s_mul_i32 s40, s15, 10
	;; [unrolled: 1-line block ×7, first 2 shown]
	s_lshl_b32 s46, s15, 4
	s_mul_i32 s47, s15, 17
	s_mul_i32 s48, s15, 18
	;; [unrolled: 1-line block ×15, first 2 shown]
	s_lshl_b32 s62, s15, 5
	s_mul_i32 s63, s15, 33
	s_mul_i32 s64, s15, 34
	;; [unrolled: 1-line block ×11, first 2 shown]
	v_mov_b32_e32 v95, s14
	s_mul_i32 s74, s15, 44
	v_mov_b32_e32 v97, s25
	v_mov_b32_e32 v12, 0
	;; [unrolled: 1-line block ×17, first 2 shown]
	s_mul_i32 s25, s15, 45
	s_mul_i32 s75, s15, 46
	s_mul_i32 s76, s15, 47
	s_mul_i32 s77, s15, 48
	s_mul_i32 s78, s15, 49
	s_mul_i32 s79, s15, 50
	s_mul_i32 s80, s15, 51
	s_mul_i32 s81, s15, 52
	s_mul_i32 s82, s15, 53
	s_mul_i32 s83, s15, 54
	s_mul_i32 s84, s15, 55
	s_mul_i32 s85, s15, 56
	s_mul_i32 s86, s15, 57
	s_mul_i32 s87, s15, 58
	s_mul_i32 s88, s15, 59
	s_mul_i32 s89, s15, 60
	s_mul_i32 s90, s15, 61
	s_mul_i32 s91, s15, 62
	s_mul_i32 s92, s15, 63
	s_mov_b64 s[14:15], 0
	s_branch .LBB115_23
.LBB115_22:                             ;   in Loop: Header=BB115_23 Depth=1
	s_waitcnt vmcnt(0)
	v_cvt_f16_f32_e32 v84, v84
	v_cvt_f16_f32_e32 v85, v85
	v_add_u32_e32 v86, 0x200, v92
	v_add_u32_e32 v87, 0x400, v92
	v_add_co_u32_e32 v18, vcc, 0x600, v18
	v_pack_b32_f16 v84, v84, v85
	ds_write2_b32 v86, v84, v96 offset0:86 offset1:152
	ds_write2_b32 v87, v96, v96 offset0:90 offset1:156
	v_add_u32_e32 v84, 0x600, v92
	ds_write2_b32 v84, v96, v96 offset0:94 offset1:160
	v_add_u32_e32 v84, 0x800, v92
	;; [unrolled: 2-line block ×4, first 2 shown]
	ds_write2_b32 v84, v96, v96 offset0:106 offset1:172
	ds_write_b32 v92, v96 offset:4024
	ds_read2_b64 v[84:87], v93 offset0:8 offset1:12
	s_waitcnt lgkmcnt(0)
	v_mfma_f32_16x16x16f16 v[8:11], v[36:37], v[84:85], v[8:11]
	v_add_u32_e32 v90, 0x180, v90
	v_addc_co_u32_e32 v19, vcc, 0, v19, vcc
	v_cmp_le_i32_e32 vcc, s12, v90
	v_add_u32_e32 v94, 0x300, v94
	s_or_b64 s[14:15], vcc, s[14:15]
	v_mfma_f32_16x16x16f16 v[4:7], v[52:53], v[84:85], v[4:7]
	v_mfma_f32_16x16x16f16 v[0:3], v[66:67], v[84:85], v[0:3]
	;; [unrolled: 1-line block ×5, first 2 shown]
	ds_read2_b64 v[50:53], v93 offset0:16 offset1:20
	v_mfma_f32_16x16x16f16 v[0:3], v[64:65], v[86:87], v[0:3]
	v_mfma_f32_16x16x16f16 v[12:15], v[80:81], v[86:87], v[12:15]
	s_waitcnt lgkmcnt(0)
	v_mfma_f32_16x16x16f16 v[8:11], v[30:31], v[50:51], v[8:11]
	v_mfma_f32_16x16x16f16 v[4:7], v[46:47], v[50:51], v[4:7]
	;; [unrolled: 1-line block ×5, first 2 shown]
	ds_read2_b64 v[28:31], v93 offset0:24 offset1:28
	v_mfma_f32_16x16x16f16 v[4:7], v[44:45], v[52:53], v[4:7]
	v_mfma_f32_16x16x16f16 v[0:3], v[60:61], v[52:53], v[0:3]
	;; [unrolled: 1-line block ×3, first 2 shown]
	s_waitcnt lgkmcnt(0)
	v_mfma_f32_16x16x16f16 v[8:11], v[26:27], v[28:29], v[8:11]
	v_mfma_f32_16x16x16f16 v[4:7], v[42:43], v[28:29], v[4:7]
	;; [unrolled: 1-line block ×5, first 2 shown]
	ds_read2_b64 v[24:27], v93 offset0:32 offset1:36
	v_mfma_f32_16x16x16f16 v[4:7], v[40:41], v[30:31], v[4:7]
	v_mfma_f32_16x16x16f16 v[0:3], v[56:57], v[30:31], v[0:3]
	;; [unrolled: 1-line block ×3, first 2 shown]
	s_waitcnt lgkmcnt(0)
	v_mfma_f32_16x16x16f16 v[8:11], v[22:23], v[24:25], v[8:11]
	v_mfma_f32_16x16x16f16 v[4:7], v[38:39], v[24:25], v[4:7]
	v_mfma_f32_16x16x16f16 v[0:3], v[54:55], v[24:25], v[0:3]
	v_mfma_f32_16x16x16f16 v[12:15], v[70:71], v[24:25], v[12:15]
	v_mfma_f32_16x16x16f16 v[8:11], v[20:21], v[26:27], v[8:11]
	v_mfma_f32_16x16x16f16 v[4:7], v[34:35], v[26:27], v[4:7]
	v_mfma_f32_16x16x16f16 v[0:3], v[48:49], v[26:27], v[0:3]
	v_mfma_f32_16x16x16f16 v[12:15], v[68:69], v[26:27], v[12:15]
	s_andn2_b64 exec, exec, s[14:15]
	s_cbranch_execz .LBB115_35
.LBB115_23:                             ; =>This Inner Loop Header: Depth=1
	v_add_co_u32_e32 v20, vcc, s24, v18
	v_addc_co_u32_e32 v21, vcc, v19, v97, vcc
	global_load_dword v32, v[18:19], off
	global_load_dword v33, v[20:21], off
	v_add_u32_e32 v20, s29, v90
	v_ashrrev_i32_e32 v21, 31, v20
	v_lshlrev_b64 v[20:21], 2, v[20:21]
	v_add_u32_e32 v22, s33, v90
	v_add_co_u32_e32 v20, vcc, s20, v20
	v_ashrrev_i32_e32 v23, 31, v22
	v_addc_co_u32_e32 v21, vcc, v95, v21, vcc
	v_lshlrev_b64 v[22:23], 2, v[22:23]
	v_add_u32_e32 v24, s34, v90
	v_add_co_u32_e32 v22, vcc, s20, v22
	v_ashrrev_i32_e32 v25, 31, v24
	v_addc_co_u32_e32 v23, vcc, v95, v23, vcc
	;; [unrolled: 5-line block ×5, first 2 shown]
	v_lshlrev_b64 v[30:31], 2, v[30:31]
	v_add_co_u32_e32 v30, vcc, s20, v30
	v_addc_co_u32_e32 v31, vcc, v95, v31, vcc
	global_load_dword v34, v[20:21], off
	global_load_dword v35, v[22:23], off
	;; [unrolled: 1-line block ×3, first 2 shown]
	s_nop 0
	global_load_dword v26, v[26:27], off
	s_nop 0
	global_load_dword v27, v[28:29], off
	s_nop 0
	global_load_dword v28, v[30:31], off
	v_add_u32_e32 v20, s38, v90
	v_ashrrev_i32_e32 v21, 31, v20
	v_add_u32_e32 v22, s39, v90
	v_lshlrev_b64 v[20:21], 2, v[20:21]
	v_ashrrev_i32_e32 v23, 31, v22
	v_add_co_u32_e32 v20, vcc, s20, v20
	v_add_u32_e32 v24, s40, v90
	v_lshlrev_b64 v[22:23], 2, v[22:23]
	v_addc_co_u32_e32 v21, vcc, v95, v21, vcc
	v_ashrrev_i32_e32 v25, 31, v24
	v_add_co_u32_e32 v22, vcc, s20, v22
	v_lshlrev_b64 v[24:25], 2, v[24:25]
	v_addc_co_u32_e32 v23, vcc, v95, v23, vcc
	global_load_dword v20, v[20:21], off
	s_nop 0
	global_load_dword v21, v[22:23], off
	v_add_u32_e32 v22, s41, v90
	v_add_co_u32_e32 v24, vcc, s20, v24
	v_ashrrev_i32_e32 v23, 31, v22
	v_addc_co_u32_e32 v25, vcc, v95, v25, vcc
	v_lshlrev_b64 v[22:23], 2, v[22:23]
	v_add_u32_e32 v60, s71, v90
	v_ashrrev_i32_e32 v61, 31, v60
	v_lshlrev_b64 v[60:61], 2, v[60:61]
	s_waitcnt vmcnt(9)
	ds_write_b32 v92, v32 offset:64
	s_waitcnt vmcnt(8)
	ds_write_b32 v92, v33 offset:328
	;; [unrolled: 2-line block ×8, first 2 shown]
	v_add_co_u32_e32 v26, vcc, s20, v22
	v_add_u32_e32 v22, s42, v90
	v_addc_co_u32_e32 v27, vcc, v95, v23, vcc
	v_ashrrev_i32_e32 v23, 31, v22
	v_lshlrev_b64 v[22:23], 2, v[22:23]
	v_add_co_u32_e32 v28, vcc, s20, v22
	v_add_u32_e32 v22, s43, v90
	v_addc_co_u32_e32 v29, vcc, v95, v23, vcc
	v_ashrrev_i32_e32 v23, 31, v22
	v_lshlrev_b64 v[22:23], 2, v[22:23]
	;; [unrolled: 5-line block ×6, first 2 shown]
	v_add_co_u32_e32 v38, vcc, s20, v22
	v_addc_co_u32_e32 v39, vcc, v95, v23, vcc
	global_load_dword v22, v[24:25], off
	global_load_dword v23, v[26:27], off
	s_nop 0
	global_load_dword v24, v[28:29], off
	global_load_dword v25, v[30:31], off
	global_load_dword v26, v[32:33], off
	global_load_dword v27, v[34:35], off
	s_nop 0
	global_load_dword v34, v[36:37], off
	global_load_dword v35, v[38:39], off
	v_add_u32_e32 v28, s48, v90
	v_ashrrev_i32_e32 v29, 31, v28
	v_lshlrev_b64 v[28:29], 2, v[28:29]
	v_add_u32_e32 v30, s49, v90
	v_add_co_u32_e32 v28, vcc, s20, v28
	v_ashrrev_i32_e32 v31, 31, v30
	v_addc_co_u32_e32 v29, vcc, v95, v29, vcc
	v_lshlrev_b64 v[30:31], 2, v[30:31]
	v_add_u32_e32 v32, s50, v90
	v_add_co_u32_e32 v30, vcc, s20, v30
	v_ashrrev_i32_e32 v33, 31, v32
	v_addc_co_u32_e32 v31, vcc, v95, v31, vcc
	;; [unrolled: 5-line block ×4, first 2 shown]
	v_lshlrev_b64 v[38:39], 2, v[38:39]
	v_add_co_u32_e32 v42, vcc, s20, v38
	v_add_u32_e32 v38, s53, v90
	v_addc_co_u32_e32 v43, vcc, v95, v39, vcc
	v_ashrrev_i32_e32 v39, 31, v38
	v_lshlrev_b64 v[38:39], 2, v[38:39]
	v_add_co_u32_e32 v44, vcc, s20, v38
	v_add_u32_e32 v38, s54, v90
	v_addc_co_u32_e32 v45, vcc, v95, v39, vcc
	v_ashrrev_i32_e32 v39, 31, v38
	;; [unrolled: 5-line block ×3, first 2 shown]
	v_lshlrev_b64 v[38:39], 2, v[38:39]
	v_add_co_u32_e32 v48, vcc, s20, v38
	v_addc_co_u32_e32 v49, vcc, v95, v39, vcc
	global_load_dword v38, v[28:29], off
	global_load_dword v39, v[30:31], off
	;; [unrolled: 1-line block ×4, first 2 shown]
	s_nop 0
	global_load_dword v42, v[42:43], off
	s_nop 0
	global_load_dword v43, v[44:45], off
	;; [unrolled: 2-line block ×3, first 2 shown]
	global_load_dword v45, v[48:49], off
	v_add_u32_e32 v28, s56, v90
	v_ashrrev_i32_e32 v29, 31, v28
	v_lshlrev_b64 v[28:29], 2, v[28:29]
	v_add_u32_e32 v30, s57, v90
	v_add_co_u32_e32 v28, vcc, s20, v28
	v_ashrrev_i32_e32 v31, 31, v30
	v_addc_co_u32_e32 v29, vcc, v95, v29, vcc
	v_lshlrev_b64 v[30:31], 2, v[30:31]
	v_add_u32_e32 v32, s58, v90
	v_add_co_u32_e32 v30, vcc, s20, v30
	v_ashrrev_i32_e32 v33, 31, v32
	v_addc_co_u32_e32 v31, vcc, v95, v31, vcc
	;; [unrolled: 5-line block ×4, first 2 shown]
	v_lshlrev_b64 v[46:47], 2, v[46:47]
	v_add_co_u32_e32 v48, vcc, s20, v46
	v_add_u32_e32 v46, s61, v90
	v_addc_co_u32_e32 v49, vcc, v95, v47, vcc
	v_ashrrev_i32_e32 v47, 31, v46
	v_lshlrev_b64 v[46:47], 2, v[46:47]
	v_add_co_u32_e32 v54, vcc, s20, v46
	v_add_u32_e32 v46, s62, v90
	v_addc_co_u32_e32 v55, vcc, v95, v47, vcc
	v_ashrrev_i32_e32 v47, 31, v46
	;; [unrolled: 5-line block ×3, first 2 shown]
	v_lshlrev_b64 v[46:47], 2, v[46:47]
	v_add_co_u32_e32 v58, vcc, s20, v46
	v_addc_co_u32_e32 v59, vcc, v95, v47, vcc
	global_load_dword v46, v[28:29], off
	global_load_dword v47, v[30:31], off
	;; [unrolled: 1-line block ×6, first 2 shown]
	s_nop 0
	global_load_dword v48, v[56:57], off
	global_load_dword v49, v[58:59], off
	v_add_u32_e32 v28, s64, v90
	v_ashrrev_i32_e32 v29, 31, v28
	v_lshlrev_b64 v[28:29], 2, v[28:29]
	v_add_u32_e32 v30, s65, v90
	v_add_co_u32_e32 v28, vcc, s20, v28
	v_ashrrev_i32_e32 v31, 31, v30
	v_addc_co_u32_e32 v29, vcc, v95, v29, vcc
	v_lshlrev_b64 v[30:31], 2, v[30:31]
	v_add_u32_e32 v32, s66, v90
	v_add_co_u32_e32 v30, vcc, s20, v30
	v_ashrrev_i32_e32 v33, 31, v32
	v_addc_co_u32_e32 v31, vcc, v95, v31, vcc
	;; [unrolled: 5-line block ×6, first 2 shown]
	v_lshlrev_b64 v[58:59], 2, v[58:59]
	v_add_co_u32_e32 v58, vcc, s20, v58
	v_addc_co_u32_e32 v59, vcc, v95, v59, vcc
	v_add_co_u32_e32 v60, vcc, s20, v60
	v_addc_co_u32_e32 v61, vcc, v95, v61, vcc
	global_load_dword v62, v[28:29], off
	global_load_dword v63, v[30:31], off
	;; [unrolled: 1-line block ×8, first 2 shown]
	v_add_u32_e32 v28, s72, v90
	v_ashrrev_i32_e32 v29, 31, v28
	v_lshlrev_b64 v[28:29], 2, v[28:29]
	v_add_u32_e32 v30, s73, v90
	v_add_co_u32_e32 v28, vcc, s20, v28
	v_ashrrev_i32_e32 v31, 31, v30
	v_addc_co_u32_e32 v29, vcc, v95, v29, vcc
	v_lshlrev_b64 v[30:31], 2, v[30:31]
	v_add_u32_e32 v32, s74, v90
	v_add_co_u32_e32 v30, vcc, s20, v30
	v_ashrrev_i32_e32 v33, 31, v32
	v_addc_co_u32_e32 v31, vcc, v95, v31, vcc
	;; [unrolled: 5-line block ×7, first 2 shown]
	v_lshlrev_b64 v[60:61], 2, v[60:61]
	v_add_co_u32_e32 v60, vcc, s20, v60
	v_addc_co_u32_e32 v61, vcc, v95, v61, vcc
	global_load_dword v70, v[28:29], off
	global_load_dword v71, v[30:31], off
	;; [unrolled: 1-line block ×8, first 2 shown]
	v_add_u32_e32 v28, s79, v90
	v_ashrrev_i32_e32 v29, 31, v28
	v_lshlrev_b64 v[28:29], 2, v[28:29]
	v_add_u32_e32 v30, s80, v90
	v_add_co_u32_e32 v28, vcc, s20, v28
	v_ashrrev_i32_e32 v31, 31, v30
	v_addc_co_u32_e32 v29, vcc, v95, v29, vcc
	v_lshlrev_b64 v[30:31], 2, v[30:31]
	v_add_u32_e32 v32, s81, v90
	v_add_co_u32_e32 v30, vcc, s20, v30
	v_ashrrev_i32_e32 v33, 31, v32
	v_addc_co_u32_e32 v31, vcc, v95, v31, vcc
	;; [unrolled: 5-line block ×7, first 2 shown]
	v_lshlrev_b64 v[60:61], 2, v[60:61]
	v_add_co_u32_e32 v60, vcc, s20, v60
	v_addc_co_u32_e32 v61, vcc, v95, v61, vcc
	global_load_dword v78, v[28:29], off
	global_load_dword v79, v[30:31], off
	;; [unrolled: 1-line block ×8, first 2 shown]
	v_add_u32_e32 v28, s87, v90
	v_ashrrev_i32_e32 v29, 31, v28
	v_lshlrev_b64 v[28:29], 2, v[28:29]
	v_add_u32_e32 v30, s88, v90
	v_add_co_u32_e32 v28, vcc, s20, v28
	v_ashrrev_i32_e32 v31, 31, v30
	v_addc_co_u32_e32 v29, vcc, v95, v29, vcc
	v_lshlrev_b64 v[30:31], 2, v[30:31]
	v_add_u32_e32 v32, s89, v90
	v_add_co_u32_e32 v30, vcc, s20, v30
	v_ashrrev_i32_e32 v33, 31, v32
	v_addc_co_u32_e32 v31, vcc, v95, v31, vcc
	;; [unrolled: 5-line block ×5, first 2 shown]
	v_lshlrev_b64 v[56:57], 2, v[56:57]
	v_add_co_u32_e32 v56, vcc, s20, v56
	v_addc_co_u32_e32 v57, vcc, v95, v57, vcc
	global_load_dword v86, v[28:29], off
	global_load_dword v87, v[30:31], off
	;; [unrolled: 1-line block ×6, first 2 shown]
	s_waitcnt vmcnt(55)
	ds_write_b32 v92, v20 offset:2176
	s_waitcnt vmcnt(54)
	ds_write_b32 v92, v21 offset:2440
	s_waitcnt vmcnt(53)
	ds_write_b32 v92, v22 offset:2704
	s_waitcnt vmcnt(52)
	ds_write_b32 v92, v23 offset:2968
	s_waitcnt vmcnt(51)
	ds_write_b32 v92, v24 offset:3232
	s_waitcnt vmcnt(50)
	ds_write_b32 v92, v25 offset:3496
	s_waitcnt vmcnt(49)
	ds_write_b32 v92, v26 offset:3760
	s_waitcnt vmcnt(48)
	ds_write_b32 v92, v27 offset:4024
	ds_read_b64 v[36:37], v93 offset:64
	ds_read_b64 v[32:33], v93 offset:96
	ds_read_b64 v[30:31], v93 offset:128
	ds_read_b64 v[28:29], v93 offset:160
	ds_read_b64 v[26:27], v93 offset:192
	ds_read_b64 v[24:25], v93 offset:224
	ds_read_b64 v[22:23], v93 offset:256
	ds_read_b64 v[20:21], v93 offset:288
	s_waitcnt vmcnt(47)
	ds_write_b32 v92, v34 offset:64
	s_waitcnt vmcnt(46)
	ds_write_b32 v92, v35 offset:328
	s_waitcnt vmcnt(45)
	ds_write_b32 v92, v38 offset:592
	s_waitcnt vmcnt(44)
	ds_write_b32 v92, v39 offset:856
	s_waitcnt vmcnt(43)
	ds_write_b32 v92, v40 offset:1120
	s_waitcnt vmcnt(42)
	ds_write_b32 v92, v41 offset:1384
	s_waitcnt vmcnt(41)
	ds_write_b32 v92, v42 offset:1648
	s_waitcnt vmcnt(40)
	ds_write_b32 v92, v43 offset:1912
	s_waitcnt vmcnt(39)
	ds_write_b32 v92, v44 offset:2176
	s_waitcnt vmcnt(38)
	ds_write_b32 v92, v45 offset:2440
	s_waitcnt vmcnt(37)
	ds_write_b32 v92, v46 offset:2704
	s_waitcnt vmcnt(36)
	ds_write_b32 v92, v47 offset:2968
	s_waitcnt vmcnt(35)
	ds_write_b32 v92, v50 offset:3232
	s_waitcnt vmcnt(34)
	ds_write_b32 v92, v51 offset:3496
	s_waitcnt vmcnt(33)
	ds_write_b32 v92, v52 offset:3760
	s_waitcnt vmcnt(32)
	ds_write_b32 v92, v53 offset:4024
	ds_read_b64 v[52:53], v93 offset:64
	ds_read_b64 v[50:51], v93 offset:96
	ds_read_b64 v[46:47], v93 offset:128
	ds_read_b64 v[44:45], v93 offset:160
	ds_read_b64 v[42:43], v93 offset:192
	ds_read_b64 v[40:41], v93 offset:224
	ds_read_b64 v[38:39], v93 offset:256
	ds_read_b64 v[34:35], v93 offset:288
	s_waitcnt vmcnt(31)
	ds_write_b32 v92, v48 offset:64
	s_waitcnt vmcnt(30)
	ds_write_b32 v92, v49 offset:328
	s_waitcnt vmcnt(29)
	ds_write_b32 v92, v62 offset:592
	s_waitcnt vmcnt(28)
	ds_write_b32 v92, v63 offset:856
	s_waitcnt vmcnt(27)
	ds_write_b32 v92, v64 offset:1120
	s_waitcnt vmcnt(26)
	ds_write_b32 v92, v65 offset:1384
	s_waitcnt vmcnt(25)
	ds_write_b32 v92, v66 offset:1648
	s_waitcnt vmcnt(24)
	ds_write_b32 v92, v67 offset:1912
	;; [unrolled: 40-line block ×3, first 2 shown]
	s_waitcnt vmcnt(7)
	ds_write_b32 v92, v84 offset:2176
	s_waitcnt vmcnt(6)
	ds_write_b32 v92, v85 offset:2440
	s_waitcnt vmcnt(5)
	ds_write_b32 v92, v86 offset:2704
	s_waitcnt vmcnt(4)
	ds_write_b32 v92, v87 offset:2968
	s_waitcnt vmcnt(3)
	ds_write_b32 v92, v98 offset:3232
	s_waitcnt vmcnt(2)
	ds_write_b32 v92, v99 offset:3496
	s_waitcnt vmcnt(1)
	ds_write_b32 v92, v100 offset:3760
	s_waitcnt vmcnt(0)
	ds_write_b32 v92, v101 offset:4024
	ds_read_b64 v[82:83], v93 offset:64
	ds_read_b64 v[80:81], v93 offset:96
	;; [unrolled: 1-line block ×8, first 2 shown]
	s_andn2_b64 vcc, exec, s[4:5]
	v_mov_b32_e32 v84, 0
	v_mov_b32_e32 v85, 0
	s_cbranch_vccnz .LBB115_26
; %bb.24:                               ;   in Loop: Header=BB115_23 Depth=1
	ds_read_b32 v86, v91
	v_mov_b32_e32 v85, 0
	v_mov_b32_e32 v84, 0
	s_waitcnt lgkmcnt(0)
	v_cmp_gt_i32_e32 vcc, 0, v86
	s_cbranch_vccnz .LBB115_26
; %bb.25:                               ;   in Loop: Header=BB115_23 Depth=1
	v_mul_lo_u32 v84, v86, s21
	v_add_u32_e32 v84, v94, v84
	v_ashrrev_i32_e32 v85, 31, v84
	v_lshlrev_b64 v[84:85], 2, v[84:85]
	v_mov_b32_e32 v86, s30
	v_add_co_u32_e32 v84, vcc, s27, v84
	v_addc_co_u32_e32 v85, vcc, v86, v85, vcc
	global_load_dwordx2 v[84:85], v[84:85], off
.LBB115_26:                             ;   in Loop: Header=BB115_23 Depth=1
	s_waitcnt vmcnt(0)
	v_cvt_f16_f32_e32 v84, v84
	v_cvt_f16_f32_e32 v85, v85
	s_andn2_b64 vcc, exec, s[6:7]
	v_mov_b32_e32 v86, 0
	v_mov_b32_e32 v87, 0
	v_pack_b32_f16 v84, v84, v85
	ds_write_b32 v92, v84 offset:64
	v_mov_b32_e32 v84, 0
	s_cbranch_vccnz .LBB115_29
; %bb.27:                               ;   in Loop: Header=BB115_23 Depth=1
	ds_read_b32 v85, v91 offset:4
	v_mov_b32_e32 v87, 0
	v_mov_b32_e32 v86, 0
	s_waitcnt lgkmcnt(0)
	v_cmp_gt_i32_e32 vcc, 0, v85
	s_cbranch_vccnz .LBB115_29
; %bb.28:                               ;   in Loop: Header=BB115_23 Depth=1
	v_mul_lo_u32 v85, v85, s21
	v_add_u32_e32 v85, s16, v85
	v_add_u32_e32 v86, v85, v94
	v_ashrrev_i32_e32 v87, 31, v86
	v_lshlrev_b64 v[86:87], 2, v[86:87]
	v_mov_b32_e32 v85, s30
	v_add_co_u32_e32 v86, vcc, s27, v86
	v_addc_co_u32_e32 v87, vcc, v85, v87, vcc
	global_load_dwordx2 v[86:87], v[86:87], off
.LBB115_29:                             ;   in Loop: Header=BB115_23 Depth=1
	s_waitcnt vmcnt(0)
	v_cvt_f16_f32_e32 v85, v86
	v_cvt_f16_f32_e32 v86, v87
	s_andn2_b64 vcc, exec, s[10:11]
	v_pack_b32_f16 v85, v85, v86
	ds_write_b32 v92, v85 offset:328
	v_mov_b32_e32 v85, 0
	s_cbranch_vccnz .LBB115_32
; %bb.30:                               ;   in Loop: Header=BB115_23 Depth=1
	ds_read_b32 v86, v91 offset:8
	v_mov_b32_e32 v85, 0
	v_mov_b32_e32 v84, 0
	s_waitcnt lgkmcnt(0)
	v_cmp_gt_i32_e32 vcc, 0, v86
	s_cbranch_vccnz .LBB115_32
; %bb.31:                               ;   in Loop: Header=BB115_23 Depth=1
	v_mul_lo_u32 v84, v86, s21
	v_add_u32_e32 v84, s31, v84
	v_add_u32_e32 v84, v84, v94
	v_ashrrev_i32_e32 v85, 31, v84
	v_lshlrev_b64 v[84:85], 2, v[84:85]
	v_mov_b32_e32 v86, s30
	v_add_co_u32_e32 v84, vcc, s27, v84
	v_addc_co_u32_e32 v85, vcc, v86, v85, vcc
	global_load_dwordx2 v[84:85], v[84:85], off
.LBB115_32:                             ;   in Loop: Header=BB115_23 Depth=1
	s_waitcnt vmcnt(0)
	v_cvt_f16_f32_e32 v84, v84
	v_cvt_f16_f32_e32 v85, v85
	s_andn2_b64 vcc, exec, s[18:19]
	v_pack_b32_f16 v84, v84, v85
	ds_write_b32 v92, v84 offset:592
	v_mov_b32_e32 v84, 0
	v_mov_b32_e32 v85, 0
	s_cbranch_vccnz .LBB115_22
; %bb.33:                               ;   in Loop: Header=BB115_23 Depth=1
	ds_read_b32 v86, v91 offset:12
	v_mov_b32_e32 v85, 0
	v_mov_b32_e32 v84, 0
	s_waitcnt lgkmcnt(0)
	v_cmp_gt_i32_e32 vcc, 0, v86
	s_cbranch_vccnz .LBB115_22
; %bb.34:                               ;   in Loop: Header=BB115_23 Depth=1
	v_mul_lo_u32 v84, v86, s21
	v_add_u32_e32 v84, s28, v84
	v_add_u32_e32 v84, v84, v94
	v_ashrrev_i32_e32 v85, 31, v84
	v_lshlrev_b64 v[84:85], 2, v[84:85]
	v_mov_b32_e32 v86, s30
	v_add_co_u32_e32 v84, vcc, s27, v84
	v_addc_co_u32_e32 v85, vcc, v86, v85, vcc
	global_load_dwordx2 v[84:85], v[84:85], off
	s_branch .LBB115_22
.LBB115_35:
	s_or_b64 exec, exec, s[14:15]
.LBB115_36:
	s_or_b64 exec, exec, s[0:1]
	v_mul_u32_u24_e32 v18, 0x608, v89
	s_movk_i32 s4, 0x100
	v_lshlrev_b32_e32 v19, 2, v88
	v_add3_u32 v18, s4, v18, v19
	v_and_b32_e32 v20, 0x3f0, v16
	v_add_u32_e32 v21, v18, v20
	s_barrier
	v_add_u32_e32 v19, 64, v18
	ds_write2_b32 v21, v8, v9 offset0:16 offset1:17
	v_or_b32_e32 v9, 12, v16
	v_add_u32_e32 v8, v19, v20
	v_and_b32_e32 v9, 0x3fc, v9
	ds_write_b32 v8, v10 offset:8
	v_add_u32_e32 v10, v18, v9
	ds_write_b32 v10, v11 offset:64
	ds_write2_b32 v8, v4, v5 offset0:16 offset1:17
	ds_write_b32 v8, v6 offset:72
	v_add_u32_e32 v4, v19, v9
	v_cmp_gt_u32_e32 vcc, 4, v17
	ds_write_b32 v4, v7 offset:64
	ds_write2_b32 v8, v0, v1 offset0:32 offset1:33
	ds_write_b32 v8, v2 offset:136
	ds_write_b32 v4, v3 offset:128
	ds_write2_b32 v8, v12, v13 offset0:48 offset1:49
	ds_write_b32 v8, v14 offset:200
	ds_write_b32 v4, v15 offset:192
	s_waitcnt lgkmcnt(0)
	s_barrier
	s_and_saveexec_b64 s[0:1], vcc
	s_cbranch_execz .LBB115_39
; %bb.37:
	v_mov_b32_e32 v0, 0x100
	v_lshl_add_u32 v0, v17, 2, v0
	ds_read_b32 v0, v0
	v_or_b32_e32 v1, s9, v17
	v_cmp_gt_i32_e64 s[0:1], s13, v1
	s_waitcnt lgkmcnt(0)
	v_cmp_lt_i32_e32 vcc, -1, v0
	s_and_b64 s[0:1], vcc, s[0:1]
	s_and_b64 exec, exec, s[0:1]
	s_cbranch_execz .LBB115_39
; %bb.38:
	v_lshlrev_b32_e32 v2, 2, v16
	v_mul_u32_u24_e32 v3, 0x608, v17
	v_add3_u32 v6, s4, v2, v3
	ds_read2_b32 v[2:3], v6 offset0:16 offset1:80
	ds_read2_b32 v[4:5], v6 offset0:144 offset1:208
	s_mul_hi_i32 s1, s26, s8
	s_mul_i32 s0, s26, s8
	v_add_u32_e32 v6, 64, v6
	s_lshl_b64 s[0:1], s[0:1], 2
	ds_read2st64_b32 v[6:7], v6 offset0:4 offset1:5
	s_mul_hi_i32 s7, s9, s17
	s_mul_i32 s6, s9, s17
	s_add_u32 s2, s2, s0
	s_waitcnt lgkmcnt(2)
	v_add_f32_e32 v2, 0, v2
	v_add_u32_e32 v1, s23, v16
	s_addc_u32 s3, s3, s1
	s_lshl_b64 s[0:1], s[6:7], 2
	v_add_f32_e32 v2, v2, v3
	v_mul_lo_u32 v0, v0, s22
	v_mul_lo_u32 v3, v17, s17
	s_add_u32 s0, s2, s0
	s_waitcnt lgkmcnt(1)
	v_add_f32_e32 v2, v2, v4
	v_add3_u32 v0, v1, v3, v0
	v_mov_b32_e32 v1, 0
	s_addc_u32 s1, s3, s1
	v_add_f32_e32 v2, v2, v5
	v_lshlrev_b64 v[0:1], 2, v[0:1]
	s_waitcnt lgkmcnt(0)
	v_add_f32_e32 v2, v2, v6
	v_mov_b32_e32 v3, s1
	v_add_co_u32_e32 v0, vcc, s0, v0
	v_add_f32_e32 v2, v2, v7
	v_addc_co_u32_e32 v1, vcc, v3, v1, vcc
	global_store_dword v[0:1], v2, off
.LBB115_39:
	s_endpgm
	.section	.rodata,"a",@progbits
	.p2align	6, 0x0
	.amdhsa_kernel _ZL9mul_mat_fI7__half2Li64ELi4ELi6ELb1EEvPKT_PKfPKiPfiiiiiiiiiiiiiiii
		.amdhsa_group_segment_fixed_size 256
		.amdhsa_private_segment_fixed_size 0
		.amdhsa_kernarg_size 352
		.amdhsa_user_sgpr_count 6
		.amdhsa_user_sgpr_private_segment_buffer 1
		.amdhsa_user_sgpr_dispatch_ptr 0
		.amdhsa_user_sgpr_queue_ptr 0
		.amdhsa_user_sgpr_kernarg_segment_ptr 1
		.amdhsa_user_sgpr_dispatch_id 0
		.amdhsa_user_sgpr_flat_scratch_init 0
		.amdhsa_user_sgpr_kernarg_preload_length 0
		.amdhsa_user_sgpr_kernarg_preload_offset 0
		.amdhsa_user_sgpr_private_segment_size 0
		.amdhsa_uses_dynamic_stack 0
		.amdhsa_system_sgpr_private_segment_wavefront_offset 0
		.amdhsa_system_sgpr_workgroup_id_x 1
		.amdhsa_system_sgpr_workgroup_id_y 1
		.amdhsa_system_sgpr_workgroup_id_z 1
		.amdhsa_system_sgpr_workgroup_info 0
		.amdhsa_system_vgpr_workitem_id 2
		.amdhsa_next_free_vgpr 102
		.amdhsa_next_free_sgpr 93
		.amdhsa_accum_offset 104
		.amdhsa_reserve_vcc 1
		.amdhsa_reserve_flat_scratch 0
		.amdhsa_float_round_mode_32 0
		.amdhsa_float_round_mode_16_64 0
		.amdhsa_float_denorm_mode_32 3
		.amdhsa_float_denorm_mode_16_64 3
		.amdhsa_dx10_clamp 1
		.amdhsa_ieee_mode 1
		.amdhsa_fp16_overflow 0
		.amdhsa_tg_split 0
		.amdhsa_exception_fp_ieee_invalid_op 0
		.amdhsa_exception_fp_denorm_src 0
		.amdhsa_exception_fp_ieee_div_zero 0
		.amdhsa_exception_fp_ieee_overflow 0
		.amdhsa_exception_fp_ieee_underflow 0
		.amdhsa_exception_fp_ieee_inexact 0
		.amdhsa_exception_int_div_zero 0
	.end_amdhsa_kernel
	.section	.text._ZL9mul_mat_fI7__half2Li64ELi4ELi6ELb1EEvPKT_PKfPKiPfiiiiiiiiiiiiiiii,"axG",@progbits,_ZL9mul_mat_fI7__half2Li64ELi4ELi6ELb1EEvPKT_PKfPKiPfiiiiiiiiiiiiiiii,comdat
.Lfunc_end115:
	.size	_ZL9mul_mat_fI7__half2Li64ELi4ELi6ELb1EEvPKT_PKfPKiPfiiiiiiiiiiiiiiii, .Lfunc_end115-_ZL9mul_mat_fI7__half2Li64ELi4ELi6ELb1EEvPKT_PKfPKiPfiiiiiiiiiiiiiiii
                                        ; -- End function
	.section	.AMDGPU.csdata,"",@progbits
; Kernel info:
; codeLenInByte = 6224
; NumSgprs: 97
; NumVgprs: 102
; NumAgprs: 0
; TotalNumVgprs: 102
; ScratchSize: 0
; MemoryBound: 0
; FloatMode: 240
; IeeeMode: 1
; LDSByteSize: 256 bytes/workgroup (compile time only)
; SGPRBlocks: 12
; VGPRBlocks: 12
; NumSGPRsForWavesPerEU: 97
; NumVGPRsForWavesPerEU: 102
; AccumOffset: 104
; Occupancy: 4
; WaveLimiterHint : 0
; COMPUTE_PGM_RSRC2:SCRATCH_EN: 0
; COMPUTE_PGM_RSRC2:USER_SGPR: 6
; COMPUTE_PGM_RSRC2:TRAP_HANDLER: 0
; COMPUTE_PGM_RSRC2:TGID_X_EN: 1
; COMPUTE_PGM_RSRC2:TGID_Y_EN: 1
; COMPUTE_PGM_RSRC2:TGID_Z_EN: 1
; COMPUTE_PGM_RSRC2:TIDIG_COMP_CNT: 2
; COMPUTE_PGM_RSRC3_GFX90A:ACCUM_OFFSET: 25
; COMPUTE_PGM_RSRC3_GFX90A:TG_SPLIT: 0
	.section	.text._ZL9mul_mat_fI7__half2Li64ELi4ELi6ELb0EEvPKT_PKfPKiPfiiiiiiiiiiiiiiii,"axG",@progbits,_ZL9mul_mat_fI7__half2Li64ELi4ELi6ELb0EEvPKT_PKfPKiPfiiiiiiiiiiiiiiii,comdat
	.globl	_ZL9mul_mat_fI7__half2Li64ELi4ELi6ELb0EEvPKT_PKfPKiPfiiiiiiiiiiiiiiii ; -- Begin function _ZL9mul_mat_fI7__half2Li64ELi4ELi6ELb0EEvPKT_PKfPKiPfiiiiiiiiiiiiiiii
	.p2align	8
	.type	_ZL9mul_mat_fI7__half2Li64ELi4ELi6ELb0EEvPKT_PKfPKiPfiiiiiiiiiiiiiiii,@function
_ZL9mul_mat_fI7__half2Li64ELi4ELi6ELb0EEvPKT_PKfPKiPfiiiiiiiiiiiiiiii: ; @_ZL9mul_mat_fI7__half2Li64ELi4ELi6ELb0EEvPKT_PKfPKiPfiiiiiiiiiiiiiiii
; %bb.0:
	s_load_dwordx8 s[12:19], s[4:5], 0x40
	s_load_dword s9, s[4:5], 0x20
	s_load_dwordx4 s[0:3], s[4:5], 0x2c
	v_bfe_u32 v84, v0, 10, 10
	v_lshlrev_b32_e32 v87, 6, v84
	v_and_b32_e32 v85, 0x3ff, v0
	s_waitcnt lgkmcnt(0)
	s_abs_i32 s27, s12
	s_abs_i32 s26, s16
	v_cvt_f32_u32_e32 v1, s27
	v_cvt_f32_u32_e32 v2, s26
	v_add_u32_e32 v89, v87, v85
	s_mov_b32 s22, 0
	v_rcp_iflag_f32_e32 v1, v1
	v_rcp_iflag_f32_e32 v2, v2
	s_ashr_i32 s28, s8, 31
	v_cmp_le_i32_e32 vcc, s9, v89
	v_mul_f32_e32 v1, 0x4f7ffffe, v1
	v_mul_f32_e32 v2, 0x4f7ffffe, v2
	v_cvt_u32_f32_e32 v1, v1
	v_cvt_u32_f32_e32 v2, v2
	v_and_b32_e32 v88, 15, v85
	v_readfirstlane_b32 s21, v1
	v_readfirstlane_b32 s20, v2
	s_and_saveexec_b64 s[10:11], vcc
	s_xor_b64 s[10:11], exec, s[10:11]
; %bb.1:
	v_and_b32_e32 v88, 15, v85
                                        ; implicit-def: $vgpr89
; %bb.2:
	s_or_saveexec_b64 s[24:25], s[10:11]
	s_load_dwordx2 s[10:11], s[4:5], 0x18
	s_lshl_b32 s3, s6, 6
	v_mov_b32_e32 v15, s22
	v_lshlrev_b32_e32 v86, 2, v85
	v_mov_b32_e32 v14, s22
	v_mov_b32_e32 v13, s22
	;; [unrolled: 1-line block ×15, first 2 shown]
	s_xor_b64 exec, exec, s[24:25]
	s_cbranch_execz .LBB116_6
; %bb.3:
	s_sub_i32 s6, 0, s27
	s_sub_i32 s22, 0, s26
	s_mul_i32 s6, s6, s21
	s_mul_i32 s22, s22, s20
	s_mul_hi_u32 s6, s21, s6
	s_mul_hi_u32 s22, s20, s22
	s_abs_i32 s29, s7
	s_add_i32 s6, s21, s6
	s_add_i32 s31, s20, s22
	s_load_dwordx4 s[20:23], s[4:5], 0x0
	s_mul_hi_u32 s4, s29, s6
	s_ashr_i32 s6, s7, 31
	s_ashr_i32 s12, s12, 31
	s_xor_b32 s6, s6, s12
	s_mul_i32 s12, s4, s27
	s_abs_i32 s30, s8
	s_sub_i32 s12, s29, s12
	s_mul_hi_u32 s5, s30, s31
	s_ashr_i32 s16, s16, 31
	s_add_i32 s29, s4, 1
	s_sub_i32 s31, s12, s27
	s_cmp_ge_u32 s12, s27
	s_cselect_b32 s4, s29, s4
	s_cselect_b32 s12, s31, s12
	s_add_i32 s29, s4, 1
	s_cmp_ge_u32 s12, s27
	s_cselect_b32 s4, s29, s4
	s_mul_i32 s12, s5, s26
	s_xor_b32 s4, s4, s6
	s_sub_i32 s12, s30, s12
	s_sub_i32 s6, s4, s6
	s_xor_b32 s4, s28, s16
	s_add_i32 s16, s5, 1
	s_sub_i32 s27, s12, s26
	s_cmp_ge_u32 s12, s26
	s_cselect_b32 s5, s16, s5
	s_cselect_b32 s12, s27, s12
	s_add_i32 s16, s5, 1
	s_cmp_ge_u32 s12, s26
	s_cselect_b32 s5, s16, s5
	s_xor_b32 s5, s5, s4
	s_sub_i32 s4, s5, s4
	s_mul_hi_i32 s5, s4, s17
	s_mul_i32 s4, s4, s17
	s_mul_i32 s12, s6, s13
	s_ashr_i32 s13, s12, 31
	s_lshl_b64 s[26:27], s[4:5], 2
	s_mul_i32 s16, s3, s0
	s_waitcnt lgkmcnt(0)
	s_add_u32 s6, s20, s26
	s_addc_u32 s29, s21, s27
	s_ashr_i32 s17, s16, 31
	s_lshl_b64 s[16:17], s[16:17], 2
	s_lshl_b64 s[12:13], s[12:13], 2
	s_mul_hi_i32 s5, s18, s8
	s_mul_i32 s4, s18, s8
	s_add_u32 s18, s12, s16
	s_addc_u32 s30, s13, s17
	s_mul_i32 s28, s7, s14
	s_add_u32 s6, s18, s6
	s_addc_u32 s73, s30, s29
	s_ashr_i32 s29, s28, 31
	s_lshl_b64 s[16:17], s[4:5], 2
	s_lshl_b64 s[4:5], s[28:29], 2
	s_add_u32 s22, s22, s4
	s_addc_u32 s23, s23, s5
	s_add_u32 s14, s22, s16
	s_movk_i32 s4, 0x1080
	s_addc_u32 s74, s23, s17
	v_mad_u32_u24 v0, v84, s4, 0
	s_ashr_i32 s5, s0, 31
	s_mov_b32 s4, s0
	v_lshrrev_b32_e32 v2, 1, v85
	s_ashr_i32 s13, s1, 31
	s_lshl_b64 s[4:5], s[4:5], 2
	v_mul_u32_u24_e32 v1, 0x108, v88
	v_and_b32_e32 v2, 0x1f8, v2
	s_add_u32 s18, s18, s26
	v_add_u32_e32 v90, v0, v86
	v_add3_u32 v91, v0, v1, v2
	v_lshlrev_b32_e32 v0, 8, v84
	s_addc_u32 s26, s30, s27
	v_mov_b32_e32 v1, s26
	v_add_co_u32_e32 v0, vcc, s18, v0
	v_addc_co_u32_e32 v1, vcc, 0, v1, vcc
	v_add_co_u32_e32 v0, vcc, v0, v86
	v_addc_co_u32_e32 v1, vcc, 0, v1, vcc
	v_mov_b32_e32 v2, s21
	v_add_co_u32_e32 v16, vcc, s20, v0
	v_addc_co_u32_e32 v17, vcc, v2, v1, vcc
	v_lshlrev_b32_e32 v0, 9, v84
	v_mov_b32_e32 v1, s17
	v_add_co_u32_e32 v0, vcc, s16, v0
	v_addc_co_u32_e32 v1, vcc, 0, v1, vcc
	v_lshlrev_b32_e32 v2, 3, v85
	v_add_co_u32_e32 v0, vcc, v0, v2
	s_mov_b32 s12, s1
	v_addc_co_u32_e32 v1, vcc, 0, v1, vcc
	s_lshl_b64 s[12:13], s[12:13], 3
	v_mov_b32_e32 v2, s23
	v_add_co_u32_e32 v18, vcc, s22, v0
	v_mov_b32_e32 v94, 0
	v_addc_co_u32_e32 v19, vcc, v2, v1, vcc
	s_mul_i32 s16, s0, 63
	s_lshl_b32 s17, s1, 1
	s_mul_i32 s18, s1, 3
	s_lshl_b32 s20, s0, 1
	;; [unrolled: 2-line block ×3, first 2 shown]
	s_mul_i32 s23, s0, 5
	s_mul_i32 s26, s0, 6
	;; [unrolled: 1-line block ×3, first 2 shown]
	s_lshl_b32 s28, s0, 3
	s_mul_i32 s29, s0, 9
	s_mul_i32 s30, s0, 10
	;; [unrolled: 1-line block ×7, first 2 shown]
	s_lshl_b32 s37, s0, 4
	s_mul_i32 s38, s0, 17
	s_mul_i32 s39, s0, 18
	;; [unrolled: 1-line block ×15, first 2 shown]
	s_lshl_b32 s53, s0, 5
	s_mul_i32 s54, s0, 33
	s_mul_i32 s55, s0, 34
	s_mul_i32 s56, s0, 35
	s_mul_i32 s57, s0, 36
	s_mul_i32 s58, s0, 37
	s_mul_i32 s59, s0, 38
	s_mul_i32 s60, s0, 39
	s_mul_i32 s61, s0, 40
	s_mul_i32 s62, s0, 41
	s_mul_i32 s63, s0, 42
	s_mul_i32 s64, s0, 43
	s_mul_i32 s65, s0, 44
	s_mul_i32 s66, s0, 45
	s_mul_i32 s67, s0, 46
	s_mul_i32 s68, s0, 47
	s_mul_i32 s69, s0, 48
	s_mul_i32 s70, s0, 49
	s_mul_i32 s71, s0, 50
	s_mul_i32 s72, s0, 51
	v_mov_b32_e32 v92, s73
	s_mul_i32 s73, s0, 52
	v_mov_b32_e32 v93, s74
	s_mul_i32 s74, s0, 53
	v_mov_b32_e32 v95, s5
	v_mov_b32_e32 v96, s13
	;; [unrolled: 1-line block ×18, first 2 shown]
	s_mul_i32 s5, s0, 54
	s_mul_i32 s13, s0, 55
	;; [unrolled: 1-line block ×9, first 2 shown]
	s_mov_b64 s[0:1], 0
.LBB116_4:                              ; =>This Inner Loop Header: Depth=1
	global_load_dword v20, v[16:17], off
	v_add_u32_e32 v36, s37, v89
	v_ashrrev_i32_e32 v37, 31, v36
	v_lshlrev_b64 v[36:37], 2, v[36:37]
	v_add_u32_e32 v52, s53, v89
	v_ashrrev_i32_e32 v53, 31, v52
	v_lshlrev_b64 v[52:53], 2, v[52:53]
	;; [unrolled: 3-line block ×3, first 2 shown]
	s_waitcnt vmcnt(0)
	ds_write_b32 v90, v20
	v_add_co_u32_e32 v20, vcc, s4, v16
	v_addc_co_u32_e32 v21, vcc, v17, v95, vcc
	global_load_dword v20, v[20:21], off
	s_waitcnt vmcnt(0)
	ds_write_b32 v90, v20 offset:264
	v_add_u32_e32 v20, s20, v89
	v_ashrrev_i32_e32 v21, 31, v20
	v_lshlrev_b64 v[20:21], 2, v[20:21]
	v_add_co_u32_e32 v20, vcc, s6, v20
	v_addc_co_u32_e32 v21, vcc, v92, v21, vcc
	global_load_dword v20, v[20:21], off
	s_waitcnt vmcnt(0)
	ds_write_b32 v90, v20 offset:528
	v_add_u32_e32 v20, s21, v89
	v_ashrrev_i32_e32 v21, 31, v20
	v_lshlrev_b64 v[20:21], 2, v[20:21]
	;; [unrolled: 8-line block ×14, first 2 shown]
	v_add_co_u32_e32 v20, vcc, s6, v20
	v_addc_co_u32_e32 v21, vcc, v92, v21, vcc
	global_load_dword v20, v[20:21], off
	v_add_co_u32_e32 v36, vcc, s6, v36
	v_addc_co_u32_e32 v37, vcc, v92, v37, vcc
	s_waitcnt vmcnt(0)
	ds_write_b32 v90, v20 offset:3960
	ds_read_b64 v[34:35], v91
	ds_read_b64 v[32:33], v91 offset:32
	ds_read_b64 v[30:31], v91 offset:64
	;; [unrolled: 1-line block ×7, first 2 shown]
	global_load_dword v36, v[36:37], off
	s_waitcnt vmcnt(0)
	ds_write_b32 v90, v36
	v_add_u32_e32 v36, s38, v89
	v_ashrrev_i32_e32 v37, 31, v36
	v_lshlrev_b64 v[36:37], 2, v[36:37]
	v_add_co_u32_e32 v36, vcc, s6, v36
	v_addc_co_u32_e32 v37, vcc, v92, v37, vcc
	global_load_dword v36, v[36:37], off
	s_waitcnt vmcnt(0)
	ds_write_b32 v90, v36 offset:264
	v_add_u32_e32 v36, s39, v89
	v_ashrrev_i32_e32 v37, 31, v36
	v_lshlrev_b64 v[36:37], 2, v[36:37]
	v_add_co_u32_e32 v36, vcc, s6, v36
	v_addc_co_u32_e32 v37, vcc, v92, v37, vcc
	global_load_dword v36, v[36:37], off
	s_waitcnt vmcnt(0)
	ds_write_b32 v90, v36 offset:528
	;; [unrolled: 8-line block ×14, first 2 shown]
	v_add_u32_e32 v36, s52, v89
	v_ashrrev_i32_e32 v37, 31, v36
	v_lshlrev_b64 v[36:37], 2, v[36:37]
	v_add_co_u32_e32 v36, vcc, s6, v36
	v_addc_co_u32_e32 v37, vcc, v92, v37, vcc
	global_load_dword v36, v[36:37], off
	v_add_co_u32_e32 v52, vcc, s6, v52
	v_addc_co_u32_e32 v53, vcc, v92, v53, vcc
	s_waitcnt vmcnt(0)
	ds_write_b32 v90, v36 offset:3960
	ds_read_b64 v[50:51], v91
	ds_read_b64 v[48:49], v91 offset:32
	ds_read_b64 v[46:47], v91 offset:64
	;; [unrolled: 1-line block ×7, first 2 shown]
	global_load_dword v52, v[52:53], off
	s_waitcnt vmcnt(0)
	ds_write_b32 v90, v52
	v_add_u32_e32 v52, s54, v89
	v_ashrrev_i32_e32 v53, 31, v52
	v_lshlrev_b64 v[52:53], 2, v[52:53]
	v_add_co_u32_e32 v52, vcc, s6, v52
	v_addc_co_u32_e32 v53, vcc, v92, v53, vcc
	global_load_dword v52, v[52:53], off
	s_waitcnt vmcnt(0)
	ds_write_b32 v90, v52 offset:264
	v_add_u32_e32 v52, s55, v89
	v_ashrrev_i32_e32 v53, 31, v52
	v_lshlrev_b64 v[52:53], 2, v[52:53]
	v_add_co_u32_e32 v52, vcc, s6, v52
	v_addc_co_u32_e32 v53, vcc, v92, v53, vcc
	global_load_dword v52, v[52:53], off
	s_waitcnt vmcnt(0)
	ds_write_b32 v90, v52 offset:528
	;; [unrolled: 8-line block ×14, first 2 shown]
	v_add_u32_e32 v52, s68, v89
	v_ashrrev_i32_e32 v53, 31, v52
	v_lshlrev_b64 v[52:53], 2, v[52:53]
	v_add_co_u32_e32 v52, vcc, s6, v52
	v_addc_co_u32_e32 v53, vcc, v92, v53, vcc
	global_load_dword v52, v[52:53], off
	v_add_co_u32_e32 v68, vcc, s6, v68
	v_addc_co_u32_e32 v69, vcc, v92, v69, vcc
	s_waitcnt vmcnt(0)
	ds_write_b32 v90, v52 offset:3960
	ds_read_b64 v[66:67], v91
	ds_read_b64 v[64:65], v91 offset:32
	ds_read_b64 v[62:63], v91 offset:64
	;; [unrolled: 1-line block ×7, first 2 shown]
	global_load_dword v68, v[68:69], off
	s_waitcnt vmcnt(0)
	ds_write_b32 v90, v68
	v_add_u32_e32 v68, s70, v89
	v_ashrrev_i32_e32 v69, 31, v68
	v_lshlrev_b64 v[68:69], 2, v[68:69]
	v_add_co_u32_e32 v68, vcc, s6, v68
	v_addc_co_u32_e32 v69, vcc, v92, v69, vcc
	global_load_dword v68, v[68:69], off
	s_waitcnt vmcnt(0)
	ds_write_b32 v90, v68 offset:264
	v_add_u32_e32 v68, s71, v89
	v_ashrrev_i32_e32 v69, 31, v68
	v_lshlrev_b64 v[68:69], 2, v[68:69]
	v_add_co_u32_e32 v68, vcc, s6, v68
	v_addc_co_u32_e32 v69, vcc, v92, v69, vcc
	global_load_dword v68, v[68:69], off
	s_waitcnt vmcnt(0)
	ds_write_b32 v90, v68 offset:528
	;; [unrolled: 8-line block ×15, first 2 shown]
	ds_read_b64 v[82:83], v91
	ds_read_b64 v[80:81], v91 offset:32
	ds_read_b64 v[78:79], v91 offset:64
	;; [unrolled: 1-line block ×7, first 2 shown]
	global_load_dwordx2 v[98:99], v[18:19], off
	s_waitcnt vmcnt(0)
	v_cvt_f16_f32_e32 v97, v98
	v_cvt_f16_f32_e32 v98, v99
	v_pack_b32_f16 v97, v97, v98
	v_add_co_u32_e32 v98, vcc, s12, v18
	v_addc_co_u32_e32 v99, vcc, v19, v96, vcc
	global_load_dwordx2 v[98:99], v[98:99], off
	ds_write_b32 v90, v97
	s_waitcnt vmcnt(0)
	v_cvt_f16_f32_e32 v97, v98
	v_cvt_f16_f32_e32 v98, v99
	v_pack_b32_f16 v97, v97, v98
	v_add_u32_e32 v98, s17, v89
	v_ashrrev_i32_e32 v99, 31, v98
	v_lshlrev_b64 v[98:99], 3, v[98:99]
	v_add_co_u32_e32 v98, vcc, s14, v98
	v_addc_co_u32_e32 v99, vcc, v93, v99, vcc
	global_load_dwordx2 v[98:99], v[98:99], off
	ds_write_b32 v90, v97 offset:264
	s_waitcnt vmcnt(0)
	v_cvt_f16_f32_e32 v97, v98
	v_cvt_f16_f32_e32 v98, v99
	v_pack_b32_f16 v97, v97, v98
	v_add_u32_e32 v98, s18, v89
	v_ashrrev_i32_e32 v99, 31, v98
	v_lshlrev_b64 v[98:99], 3, v[98:99]
	v_add_co_u32_e32 v98, vcc, s14, v98
	v_addc_co_u32_e32 v99, vcc, v93, v99, vcc
	global_load_dwordx2 v[98:99], v[98:99], off
	ds_write_b32 v90, v97 offset:528
	v_add_co_u32_e32 v16, vcc, 0x600, v16
	v_addc_co_u32_e32 v17, vcc, 0, v17, vcc
	v_add_co_u32_e32 v18, vcc, 0xc00, v18
	v_add_u32_e32 v89, 0x180, v89
	v_addc_co_u32_e32 v19, vcc, 0, v19, vcc
	v_cmp_le_i32_e32 vcc, s9, v89
	s_or_b64 s[0:1], vcc, s[0:1]
	s_waitcnt vmcnt(0)
	v_cvt_f16_f32_e32 v97, v98
	v_cvt_f16_f32_e32 v98, v99
	v_pack_b32_f16 v97, v97, v98
	ds_write_b32 v90, v97 offset:792
	ds_write_b32 v90, v94 offset:1056
	ds_write_b32 v90, v94 offset:1320
	ds_write_b32 v90, v94 offset:1584
	ds_write_b32 v90, v94 offset:1848
	ds_write_b32 v90, v94 offset:2112
	ds_write_b32 v90, v94 offset:2376
	ds_write_b32 v90, v94 offset:2640
	ds_write_b32 v90, v94 offset:2904
	ds_write_b32 v90, v94 offset:3168
	ds_write_b32 v90, v94 offset:3432
	ds_write_b32 v90, v94 offset:3696
	ds_write_b32 v90, v94 offset:3960
	ds_read_b64 v[98:99], v91
	ds_read_b64 v[100:101], v91 offset:32
	s_waitcnt lgkmcnt(1)
	v_mfma_f32_16x16x16f16 v[12:15], v[34:35], v[98:99], v[12:15]
	v_mfma_f32_16x16x16f16 v[8:11], v[50:51], v[98:99], v[8:11]
	;; [unrolled: 1-line block ×4, first 2 shown]
	s_waitcnt lgkmcnt(0)
	v_mfma_f32_16x16x16f16 v[12:15], v[32:33], v[100:101], v[12:15]
	ds_read_b64 v[32:33], v91 offset:64
	v_mfma_f32_16x16x16f16 v[8:11], v[48:49], v[100:101], v[8:11]
	v_mfma_f32_16x16x16f16 v[4:7], v[64:65], v[100:101], v[4:7]
	v_mfma_f32_16x16x16f16 v[0:3], v[80:81], v[100:101], v[0:3]
	s_waitcnt lgkmcnt(0)
	v_mfma_f32_16x16x16f16 v[12:15], v[30:31], v[32:33], v[12:15]
	ds_read_b64 v[30:31], v91 offset:96
	v_mfma_f32_16x16x16f16 v[8:11], v[46:47], v[32:33], v[8:11]
	v_mfma_f32_16x16x16f16 v[4:7], v[62:63], v[32:33], v[4:7]
	v_mfma_f32_16x16x16f16 v[0:3], v[78:79], v[32:33], v[0:3]
	;; [unrolled: 6-line block ×6, first 2 shown]
	s_waitcnt lgkmcnt(0)
	v_mfma_f32_16x16x16f16 v[12:15], v[20:21], v[22:23], v[12:15]
	v_mfma_f32_16x16x16f16 v[8:11], v[36:37], v[22:23], v[8:11]
	;; [unrolled: 1-line block ×4, first 2 shown]
	s_andn2_b64 exec, exec, s[0:1]
	s_cbranch_execnz .LBB116_4
; %bb.5:
	s_or_b64 exec, exec, s[0:1]
.LBB116_6:
	s_or_b64 exec, exec, s[24:25]
	v_mul_u32_u24_e32 v16, 0x608, v88
	v_lshlrev_b32_e32 v17, 2, v87
	v_add3_u32 v16, 0, v16, v17
	v_and_b32_e32 v17, 0x3f0, v85
	v_add_u32_e32 v17, v16, v17
	s_waitcnt lgkmcnt(0)
	s_barrier
	ds_write2_b32 v17, v12, v13 offset1:1
	ds_write_b32 v17, v14 offset:8
	v_or_b32_e32 v12, 12, v85
	v_and_b32_e32 v12, 0x3fc, v12
	v_add_u32_e32 v12, v16, v12
	v_cmp_gt_u32_e32 vcc, 4, v84
	ds_write_b32 v12, v15
	ds_write2_b32 v17, v8, v9 offset0:16 offset1:17
	ds_write_b32 v17, v10 offset:72
	ds_write_b32 v12, v11 offset:64
	ds_write2_b32 v17, v4, v5 offset0:32 offset1:33
	ds_write_b32 v17, v6 offset:136
	ds_write_b32 v12, v7 offset:128
	ds_write2_b32 v17, v0, v1 offset0:48 offset1:49
	ds_write_b32 v17, v2 offset:200
	ds_write_b32 v12, v3 offset:192
	s_waitcnt lgkmcnt(0)
	s_barrier
	s_and_saveexec_b64 s[0:1], vcc
	s_cbranch_execz .LBB116_8
; %bb.7:
	v_mul_u32_u24_e32 v0, 0x608, v84
	v_add3_u32 v4, 0, v86, v0
	ds_read2st64_b32 v[0:1], v4 offset1:1
	ds_read2st64_b32 v[2:3], v4 offset0:2 offset1:3
	ds_read2st64_b32 v[4:5], v4 offset0:4 offset1:5
	s_mul_hi_i32 s1, s19, s8
	s_mul_i32 s0, s19, s8
	s_waitcnt lgkmcnt(2)
	v_add_f32_e32 v0, 0, v0
	v_add_f32_e32 v0, v0, v1
	s_lshl_b64 s[0:1], s[0:1], 2
	s_waitcnt lgkmcnt(1)
	v_add_f32_e32 v0, v0, v2
	s_mul_i32 s4, s7, s15
	s_add_u32 s6, s10, s0
	v_add_f32_e32 v0, v0, v3
	s_addc_u32 s7, s11, s1
	s_ashr_i32 s5, s4, 31
	s_waitcnt lgkmcnt(0)
	v_add_f32_e32 v0, v0, v4
	s_lshl_b64 s[0:1], s[4:5], 2
	v_add_f32_e32 v2, v0, v5
	v_mul_lo_u32 v0, v84, s2
	s_add_u32 s0, s6, s0
	v_add3_u32 v0, s3, v85, v0
	v_mov_b32_e32 v1, 0
	s_addc_u32 s1, s7, s1
	v_lshlrev_b64 v[0:1], 2, v[0:1]
	v_mov_b32_e32 v3, s1
	v_add_co_u32_e32 v0, vcc, s0, v0
	v_addc_co_u32_e32 v1, vcc, v3, v1, vcc
	global_store_dword v[0:1], v2, off
.LBB116_8:
	s_endpgm
	.section	.rodata,"a",@progbits
	.p2align	6, 0x0
	.amdhsa_kernel _ZL9mul_mat_fI7__half2Li64ELi4ELi6ELb0EEvPKT_PKfPKiPfiiiiiiiiiiiiiiii
		.amdhsa_group_segment_fixed_size 0
		.amdhsa_private_segment_fixed_size 0
		.amdhsa_kernarg_size 96
		.amdhsa_user_sgpr_count 6
		.amdhsa_user_sgpr_private_segment_buffer 1
		.amdhsa_user_sgpr_dispatch_ptr 0
		.amdhsa_user_sgpr_queue_ptr 0
		.amdhsa_user_sgpr_kernarg_segment_ptr 1
		.amdhsa_user_sgpr_dispatch_id 0
		.amdhsa_user_sgpr_flat_scratch_init 0
		.amdhsa_user_sgpr_kernarg_preload_length 0
		.amdhsa_user_sgpr_kernarg_preload_offset 0
		.amdhsa_user_sgpr_private_segment_size 0
		.amdhsa_uses_dynamic_stack 0
		.amdhsa_system_sgpr_private_segment_wavefront_offset 0
		.amdhsa_system_sgpr_workgroup_id_x 1
		.amdhsa_system_sgpr_workgroup_id_y 1
		.amdhsa_system_sgpr_workgroup_id_z 1
		.amdhsa_system_sgpr_workgroup_info 0
		.amdhsa_system_vgpr_workitem_id 1
		.amdhsa_next_free_vgpr 102
		.amdhsa_next_free_sgpr 82
		.amdhsa_accum_offset 104
		.amdhsa_reserve_vcc 1
		.amdhsa_reserve_flat_scratch 0
		.amdhsa_float_round_mode_32 0
		.amdhsa_float_round_mode_16_64 0
		.amdhsa_float_denorm_mode_32 3
		.amdhsa_float_denorm_mode_16_64 3
		.amdhsa_dx10_clamp 1
		.amdhsa_ieee_mode 1
		.amdhsa_fp16_overflow 0
		.amdhsa_tg_split 0
		.amdhsa_exception_fp_ieee_invalid_op 0
		.amdhsa_exception_fp_denorm_src 0
		.amdhsa_exception_fp_ieee_div_zero 0
		.amdhsa_exception_fp_ieee_overflow 0
		.amdhsa_exception_fp_ieee_underflow 0
		.amdhsa_exception_fp_ieee_inexact 0
		.amdhsa_exception_int_div_zero 0
	.end_amdhsa_kernel
	.section	.text._ZL9mul_mat_fI7__half2Li64ELi4ELi6ELb0EEvPKT_PKfPKiPfiiiiiiiiiiiiiiii,"axG",@progbits,_ZL9mul_mat_fI7__half2Li64ELi4ELi6ELb0EEvPKT_PKfPKiPfiiiiiiiiiiiiiiii,comdat
.Lfunc_end116:
	.size	_ZL9mul_mat_fI7__half2Li64ELi4ELi6ELb0EEvPKT_PKfPKiPfiiiiiiiiiiiiiiii, .Lfunc_end116-_ZL9mul_mat_fI7__half2Li64ELi4ELi6ELb0EEvPKT_PKfPKiPfiiiiiiiiiiiiiiii
                                        ; -- End function
	.section	.AMDGPU.csdata,"",@progbits
; Kernel info:
; codeLenInByte = 5076
; NumSgprs: 86
; NumVgprs: 102
; NumAgprs: 0
; TotalNumVgprs: 102
; ScratchSize: 0
; MemoryBound: 0
; FloatMode: 240
; IeeeMode: 1
; LDSByteSize: 0 bytes/workgroup (compile time only)
; SGPRBlocks: 10
; VGPRBlocks: 12
; NumSGPRsForWavesPerEU: 86
; NumVGPRsForWavesPerEU: 102
; AccumOffset: 104
; Occupancy: 4
; WaveLimiterHint : 0
; COMPUTE_PGM_RSRC2:SCRATCH_EN: 0
; COMPUTE_PGM_RSRC2:USER_SGPR: 6
; COMPUTE_PGM_RSRC2:TRAP_HANDLER: 0
; COMPUTE_PGM_RSRC2:TGID_X_EN: 1
; COMPUTE_PGM_RSRC2:TGID_Y_EN: 1
; COMPUTE_PGM_RSRC2:TGID_Z_EN: 1
; COMPUTE_PGM_RSRC2:TIDIG_COMP_CNT: 1
; COMPUTE_PGM_RSRC3_GFX90A:ACCUM_OFFSET: 25
; COMPUTE_PGM_RSRC3_GFX90A:TG_SPLIT: 0
	.section	.text._ZL13mul_mat_f_idsI7__half2Li64ELi4ELi7EEvPKT_PKfPKiS7_S7_Pfiiiiiiiiiiiiii15HIP_vector_typeIjLj3EESA_,"axG",@progbits,_ZL13mul_mat_f_idsI7__half2Li64ELi4ELi7EEvPKT_PKfPKiS7_S7_Pfiiiiiiiiiiiiii15HIP_vector_typeIjLj3EESA_,comdat
	.globl	_ZL13mul_mat_f_idsI7__half2Li64ELi4ELi7EEvPKT_PKfPKiS7_S7_Pfiiiiiiiiiiiiii15HIP_vector_typeIjLj3EESA_ ; -- Begin function _ZL13mul_mat_f_idsI7__half2Li64ELi4ELi7EEvPKT_PKfPKiS7_S7_Pfiiiiiiiiiiiiii15HIP_vector_typeIjLj3EESA_
	.p2align	8
	.type	_ZL13mul_mat_f_idsI7__half2Li64ELi4ELi7EEvPKT_PKfPKiS7_S7_Pfiiiiiiiiiiiiii15HIP_vector_typeIjLj3EESA_,@function
_ZL13mul_mat_f_idsI7__half2Li64ELi4ELi7EEvPKT_PKfPKiS7_S7_Pfiiiiiiiiiiiiii15HIP_vector_typeIjLj3EESA_: ; @_ZL13mul_mat_f_idsI7__half2Li64ELi4ELi7EEvPKT_PKfPKiS7_S7_Pfiiiiiiiiiiiiii15HIP_vector_typeIjLj3EESA_
; %bb.0:
	s_load_dwordx2 s[0:1], s[4:5], 0x20
	s_mov_b32 s34, s7
	s_ashr_i32 s35, s7, 31
	s_lshl_b64 s[2:3], s[34:35], 2
	s_waitcnt lgkmcnt(0)
	s_add_u32 s0, s0, s2
	s_addc_u32 s1, s1, s3
	s_load_dwordx2 s[26:27], s[0:1], 0x0
	s_waitcnt lgkmcnt(0)
	s_sub_i32 s33, s27, s26
	s_add_i32 s0, s33, 3
	s_ashr_i32 s1, s0, 31
	s_lshr_b32 s1, s1, 30
	s_add_i32 s0, s0, s1
	s_ashr_i32 s0, s0, 2
	s_cmp_ge_i32 s8, s0
	s_cbranch_scc1 .LBB117_23
; %bb.1:
	v_bfe_u32 v91, v0, 10, 10
	v_lshlrev_b32_e32 v92, 6, v91
	v_and_b32_e32 v90, 0x3ff, v0
	s_load_dwordx4 s[12:15], s[4:5], 0x30
	s_load_dwordx2 s[20:21], s[4:5], 0x40
	s_load_dwordx4 s[0:3], s[4:5], 0x4c
	s_load_dwordx4 s[16:19], s[4:5], 0x68
	s_load_dwordx2 s[24:25], s[4:5], 0x78
	v_add_u32_e32 v94, v92, v90
	s_ashr_i32 s27, s26, 31
	s_waitcnt lgkmcnt(0)
	v_cmp_le_i32_e32 vcc, s12, v94
	v_and_b32_e32 v93, 15, v90
                                        ; implicit-def: $sgpr3
	s_and_saveexec_b64 s[10:11], vcc
	s_xor_b64 s[10:11], exec, s[10:11]
; %bb.2:
	v_and_b32_e32 v93, 15, v90
	s_mov_b32 s3, 0
                                        ; implicit-def: $vgpr94
; %bb.3:
	s_or_saveexec_b64 s[22:23], s[10:11]
	s_load_dwordx2 s[10:11], s[4:5], 0x18
                                        ; implicit-def: $vgpr101 : SGPR spill to VGPR lane
	s_lshl_b32 s7, s6, 6
	s_lshl_b32 s6, s8, 2
	v_mov_b32_e32 v15, s3
	v_mov_b32_e32 v14, s3
	s_waitcnt lgkmcnt(0)
	v_writelane_b32 v101, s10, 0
	v_writelane_b32 v101, s11, 1
	s_load_dwordx2 s[10:11], s[4:5], 0x28
	v_mov_b32_e32 v13, s3
	v_mov_b32_e32 v12, s3
	;; [unrolled: 1-line block ×4, first 2 shown]
	s_waitcnt lgkmcnt(0)
	v_writelane_b32 v101, s10, 2
	v_writelane_b32 v101, s11, 3
	v_mov_b32_e32 v1, s3
	v_mov_b32_e32 v0, s3
	;; [unrolled: 1-line block ×10, first 2 shown]
	v_writelane_b32 v101, s22, 4
	v_writelane_b32 v101, s23, 5
	s_xor_b64 exec, exec, s[22:23]
	s_cbranch_execz .LBB117_19
; %bb.4:
	v_writelane_b32 v101, s24, 6
	v_writelane_b32 v101, s25, 7
	s_load_dwordx4 s[8:11], s[4:5], 0x0
	s_load_dwordx2 s[22:23], s[4:5], 0x10
	s_mul_i32 s4, s34, s0
	s_mul_i32 s24, s7, s15
	s_ashr_i32 s5, s4, 31
	s_ashr_i32 s25, s24, 31
	s_lshl_b64 s[24:25], s[24:25], 2
	s_lshl_b64 s[4:5], s[4:5], 2
	s_add_u32 s3, s4, s24
	s_addc_u32 s24, s5, s25
	s_waitcnt lgkmcnt(0)
	s_add_u32 s0, s3, s8
	s_addc_u32 s31, s24, s9
	s_lshl_b64 s[4:5], s[26:27], 2
	s_add_u32 s25, s22, s4
	s_addc_u32 s28, s23, s5
	s_movk_i32 s4, 0x1080
	s_cmp_lt_i32 s6, s33
	v_writelane_b32 v101, s7, 8
	v_mad_u32_u24 v0, v91, s4, 0
	s_cselect_b64 s[4:5], -1, 0
	s_ashr_i32 s7, s6, 31
	s_lshl_b64 s[22:23], s[6:7], 2
	s_add_u32 s34, s25, s22
	v_lshrrev_b32_e32 v3, 1, v90
	s_addc_u32 s35, s28, s23
	s_or_b32 s7, s6, 1
	v_lshlrev_b32_e32 v1, 2, v90
	v_mul_u32_u24_e32 v2, 0x108, v93
	v_and_b32_e32 v3, 0x1f8, v3
	s_cmp_lt_i32 s7, s33
	v_add_u32_e32 v95, v0, v1
	v_add3_u32 v96, v0, v2, v3
	s_cselect_b64 s[36:37], -1, 0
	s_or_b32 s7, s6, 2
	v_lshlrev_b32_e32 v0, 8, v91
	s_cmp_lt_i32 s7, s33
	v_mov_b32_e32 v2, s24
	v_add_co_u32_e32 v0, vcc, s3, v0
	s_cselect_b64 s[38:39], -1, 0
	s_or_b32 s7, s6, 3
	v_addc_co_u32_e32 v2, vcc, 0, v2, vcc
	s_cmp_lt_i32 s7, s33
	v_add_co_u32_e32 v0, vcc, v0, v1
	s_cselect_b64 s[40:41], -1, 0
	s_ashr_i32 s23, s15, 31
	s_mov_b32 s22, s15
	v_addc_co_u32_e32 v1, vcc, 0, v2, vcc
	s_lshl_b64 s[42:43], s[22:23], 2
	v_mov_b32_e32 v2, s9
	v_add_co_u32_e32 v16, vcc, s8, v0
	v_mov_b32_e32 v98, 0
	v_addc_co_u32_e32 v17, vcc, v2, v1, vcc
	s_lshl_b32 s7, s15, 1
	s_mul_i32 s44, s15, 3
	s_lshl_b32 s45, s15, 2
	s_mul_i32 s46, s15, 5
	s_mul_i32 s47, s15, 6
	;; [unrolled: 1-line block ×3, first 2 shown]
	s_lshl_b32 s49, s15, 3
	s_mul_i32 s50, s15, 9
	s_mul_i32 s51, s15, 10
	;; [unrolled: 1-line block ×7, first 2 shown]
	s_lshl_b32 s57, s15, 4
	s_mul_i32 s58, s15, 17
	s_mul_i32 s59, s15, 18
	;; [unrolled: 1-line block ×15, first 2 shown]
	s_lshl_b32 s73, s15, 5
	s_mul_i32 s74, s15, 33
	s_mul_i32 s75, s15, 34
	;; [unrolled: 1-line block ×30, first 2 shown]
	v_mov_b32_e32 v97, s31
	s_mul_i32 s15, s15, 63
	v_mov_b32_e32 v99, s43
	v_mov_b32_e32 v8, 0
	;; [unrolled: 1-line block ×17, first 2 shown]
	s_mov_b64 s[8:9], 0
	s_branch .LBB117_6
.LBB117_5:                              ;   in Loop: Header=BB117_6 Depth=1
	s_waitcnt vmcnt(0)
	v_cvt_f16_f32_e32 v82, v82
	v_cvt_f16_f32_e32 v83, v83
	;; [unrolled: 1-line block ×4, first 2 shown]
	v_add_co_u32_e32 v16, vcc, 0x700, v16
	v_pack_b32_f16 v82, v82, v83
	v_cvt_f16_f32_e32 v83, v84
	v_cvt_f16_f32_e32 v84, v85
	;; [unrolled: 1-line block ×4, first 2 shown]
	v_pack_b32_f16 v86, v86, v87
	ds_write2_b32 v95, v82, v86 offset1:66
	v_pack_b32_f16 v82, v83, v84
	v_pack_b32_f16 v83, v85, v88
	ds_write2_b32 v95, v82, v83 offset0:132 offset1:198
	v_add_u32_e32 v82, 0x400, v95
	ds_write2_b32 v82, v98, v98 offset0:8 offset1:74
	ds_write2_b32 v82, v98, v98 offset0:140 offset1:206
	v_add_u32_e32 v82, 0x800, v95
	ds_write2_b32 v82, v98, v98 offset0:16 offset1:82
	;; [unrolled: 3-line block ×3, first 2 shown]
	ds_write2_b32 v82, v98, v98 offset0:156 offset1:222
	ds_read2_b64 v[82:85], v96 offset1:4
	s_waitcnt lgkmcnt(0)
	v_mfma_f32_16x16x16f16 v[8:11], v[34:35], v[82:83], v[8:11]
	v_add_u32_e32 v94, 0x1c0, v94
	v_addc_co_u32_e32 v17, vcc, 0, v17, vcc
	v_cmp_le_i32_e32 vcc, s12, v94
	s_or_b64 s[8:9], vcc, s[8:9]
	v_mfma_f32_16x16x16f16 v[4:7], v[50:51], v[82:83], v[4:7]
	v_mfma_f32_16x16x16f16 v[0:3], v[64:65], v[82:83], v[0:3]
	;; [unrolled: 1-line block ×6, first 2 shown]
	ds_read2_b64 v[62:65], v96 offset0:8 offset1:12
	v_mfma_f32_16x16x16f16 v[12:15], v[78:79], v[84:85], v[12:15]
	s_waitcnt lgkmcnt(0)
	v_mfma_f32_16x16x16f16 v[8:11], v[28:29], v[62:63], v[8:11]
	v_mfma_f32_16x16x16f16 v[4:7], v[44:45], v[62:63], v[4:7]
	;; [unrolled: 1-line block ×5, first 2 shown]
	ds_read2_b64 v[26:29], v96 offset0:16 offset1:20
	v_mfma_f32_16x16x16f16 v[4:7], v[42:43], v[64:65], v[4:7]
	v_mfma_f32_16x16x16f16 v[0:3], v[58:59], v[64:65], v[0:3]
	;; [unrolled: 1-line block ×3, first 2 shown]
	s_waitcnt lgkmcnt(0)
	v_mfma_f32_16x16x16f16 v[8:11], v[24:25], v[26:27], v[8:11]
	v_mfma_f32_16x16x16f16 v[4:7], v[40:41], v[26:27], v[4:7]
	;; [unrolled: 1-line block ×5, first 2 shown]
	ds_read2_b64 v[22:25], v96 offset0:24 offset1:28
	v_mfma_f32_16x16x16f16 v[4:7], v[38:39], v[28:29], v[4:7]
	v_mfma_f32_16x16x16f16 v[0:3], v[54:55], v[28:29], v[0:3]
	;; [unrolled: 1-line block ×3, first 2 shown]
	s_waitcnt lgkmcnt(0)
	v_mfma_f32_16x16x16f16 v[8:11], v[20:21], v[22:23], v[8:11]
	v_mfma_f32_16x16x16f16 v[4:7], v[36:37], v[22:23], v[4:7]
	;; [unrolled: 1-line block ×8, first 2 shown]
	s_andn2_b64 exec, exec, s[8:9]
	s_cbranch_execz .LBB117_18
.LBB117_6:                              ; =>This Inner Loop Header: Depth=1
	v_add_co_u32_e32 v18, vcc, s42, v16
	v_addc_co_u32_e32 v19, vcc, v17, v99, vcc
	global_load_dword v30, v[16:17], off
	global_load_dword v31, v[18:19], off
	v_add_u32_e32 v18, s7, v94
	v_ashrrev_i32_e32 v19, 31, v18
	v_lshlrev_b64 v[18:19], 2, v[18:19]
	v_add_u32_e32 v20, s44, v94
	v_add_co_u32_e32 v18, vcc, s0, v18
	v_ashrrev_i32_e32 v21, 31, v20
	v_addc_co_u32_e32 v19, vcc, v97, v19, vcc
	v_lshlrev_b64 v[20:21], 2, v[20:21]
	v_add_u32_e32 v22, s45, v94
	v_add_co_u32_e32 v20, vcc, s0, v20
	v_ashrrev_i32_e32 v23, 31, v22
	v_addc_co_u32_e32 v21, vcc, v97, v21, vcc
	;; [unrolled: 5-line block ×5, first 2 shown]
	v_lshlrev_b64 v[28:29], 2, v[28:29]
	v_add_co_u32_e32 v28, vcc, s0, v28
	v_addc_co_u32_e32 v29, vcc, v97, v29, vcc
	global_load_dword v32, v[18:19], off
	global_load_dword v33, v[20:21], off
	;; [unrolled: 1-line block ×3, first 2 shown]
	s_nop 0
	global_load_dword v24, v[24:25], off
	s_nop 0
	global_load_dword v25, v[26:27], off
	;; [unrolled: 2-line block ×3, first 2 shown]
	v_add_u32_e32 v18, s49, v94
	v_ashrrev_i32_e32 v19, 31, v18
	v_add_u32_e32 v20, s50, v94
	v_lshlrev_b64 v[18:19], 2, v[18:19]
	v_ashrrev_i32_e32 v21, 31, v20
	v_add_co_u32_e32 v18, vcc, s0, v18
	v_add_u32_e32 v22, s51, v94
	v_lshlrev_b64 v[20:21], 2, v[20:21]
	v_addc_co_u32_e32 v19, vcc, v97, v19, vcc
	v_ashrrev_i32_e32 v23, 31, v22
	v_add_co_u32_e32 v20, vcc, s0, v20
	v_lshlrev_b64 v[22:23], 2, v[22:23]
	v_addc_co_u32_e32 v21, vcc, v97, v21, vcc
	global_load_dword v18, v[18:19], off
	s_nop 0
	global_load_dword v19, v[20:21], off
	v_add_u32_e32 v20, s52, v94
	v_add_co_u32_e32 v22, vcc, s0, v22
	v_ashrrev_i32_e32 v21, 31, v20
	v_addc_co_u32_e32 v23, vcc, v97, v23, vcc
	v_lshlrev_b64 v[20:21], 2, v[20:21]
	v_add_u32_e32 v58, s82, v94
	v_ashrrev_i32_e32 v59, 31, v58
	v_lshlrev_b64 v[58:59], 2, v[58:59]
	s_waitcnt vmcnt(9)
	ds_write_b32 v95, v30
	s_waitcnt vmcnt(8)
	ds_write_b32 v95, v31 offset:264
	s_waitcnt vmcnt(7)
	ds_write_b32 v95, v32 offset:528
	;; [unrolled: 2-line block ×7, first 2 shown]
	v_add_co_u32_e32 v24, vcc, s0, v20
	v_add_u32_e32 v20, s53, v94
	v_addc_co_u32_e32 v25, vcc, v97, v21, vcc
	v_ashrrev_i32_e32 v21, 31, v20
	v_lshlrev_b64 v[20:21], 2, v[20:21]
	v_add_co_u32_e32 v26, vcc, s0, v20
	v_add_u32_e32 v20, s54, v94
	v_addc_co_u32_e32 v27, vcc, v97, v21, vcc
	v_ashrrev_i32_e32 v21, 31, v20
	v_lshlrev_b64 v[20:21], 2, v[20:21]
	v_add_co_u32_e32 v28, vcc, s0, v20
	v_add_u32_e32 v20, s55, v94
	v_addc_co_u32_e32 v29, vcc, v97, v21, vcc
	v_ashrrev_i32_e32 v21, 31, v20
	v_lshlrev_b64 v[20:21], 2, v[20:21]
	v_add_co_u32_e32 v30, vcc, s0, v20
	v_add_u32_e32 v20, s56, v94
	v_addc_co_u32_e32 v31, vcc, v97, v21, vcc
	v_ashrrev_i32_e32 v21, 31, v20
	v_lshlrev_b64 v[20:21], 2, v[20:21]
	v_add_co_u32_e32 v32, vcc, s0, v20
	v_add_u32_e32 v20, s57, v94
	v_addc_co_u32_e32 v33, vcc, v97, v21, vcc
	v_ashrrev_i32_e32 v21, 31, v20
	v_lshlrev_b64 v[20:21], 2, v[20:21]
	v_add_co_u32_e32 v34, vcc, s0, v20
	v_add_u32_e32 v20, s58, v94
	v_addc_co_u32_e32 v35, vcc, v97, v21, vcc
	v_ashrrev_i32_e32 v21, 31, v20
	v_lshlrev_b64 v[20:21], 2, v[20:21]
	v_add_co_u32_e32 v36, vcc, s0, v20
	v_addc_co_u32_e32 v37, vcc, v97, v21, vcc
	global_load_dword v20, v[22:23], off
	global_load_dword v21, v[24:25], off
	s_nop 0
	global_load_dword v22, v[26:27], off
	global_load_dword v23, v[28:29], off
	;; [unrolled: 1-line block ×4, first 2 shown]
	s_nop 0
	global_load_dword v32, v[34:35], off
	global_load_dword v33, v[36:37], off
	v_add_u32_e32 v26, s59, v94
	v_ashrrev_i32_e32 v27, 31, v26
	v_lshlrev_b64 v[26:27], 2, v[26:27]
	v_add_u32_e32 v28, s60, v94
	v_add_co_u32_e32 v26, vcc, s0, v26
	v_ashrrev_i32_e32 v29, 31, v28
	v_addc_co_u32_e32 v27, vcc, v97, v27, vcc
	v_lshlrev_b64 v[28:29], 2, v[28:29]
	v_add_u32_e32 v30, s61, v94
	v_add_co_u32_e32 v28, vcc, s0, v28
	v_ashrrev_i32_e32 v31, 31, v30
	v_addc_co_u32_e32 v29, vcc, v97, v29, vcc
	;; [unrolled: 5-line block ×4, first 2 shown]
	v_lshlrev_b64 v[36:37], 2, v[36:37]
	v_add_co_u32_e32 v40, vcc, s0, v36
	v_add_u32_e32 v36, s64, v94
	v_addc_co_u32_e32 v41, vcc, v97, v37, vcc
	v_ashrrev_i32_e32 v37, 31, v36
	v_lshlrev_b64 v[36:37], 2, v[36:37]
	v_add_co_u32_e32 v42, vcc, s0, v36
	v_add_u32_e32 v36, s65, v94
	v_addc_co_u32_e32 v43, vcc, v97, v37, vcc
	v_ashrrev_i32_e32 v37, 31, v36
	;; [unrolled: 5-line block ×3, first 2 shown]
	v_lshlrev_b64 v[36:37], 2, v[36:37]
	v_add_co_u32_e32 v46, vcc, s0, v36
	v_addc_co_u32_e32 v47, vcc, v97, v37, vcc
	global_load_dword v36, v[26:27], off
	global_load_dword v37, v[28:29], off
	;; [unrolled: 1-line block ×4, first 2 shown]
	s_nop 0
	global_load_dword v40, v[40:41], off
	s_nop 0
	global_load_dword v41, v[42:43], off
	;; [unrolled: 2-line block ×3, first 2 shown]
	global_load_dword v43, v[46:47], off
	v_add_u32_e32 v26, s67, v94
	v_ashrrev_i32_e32 v27, 31, v26
	v_lshlrev_b64 v[26:27], 2, v[26:27]
	v_add_u32_e32 v28, s68, v94
	v_add_co_u32_e32 v26, vcc, s0, v26
	v_ashrrev_i32_e32 v29, 31, v28
	v_addc_co_u32_e32 v27, vcc, v97, v27, vcc
	v_lshlrev_b64 v[28:29], 2, v[28:29]
	v_add_u32_e32 v30, s69, v94
	v_add_co_u32_e32 v28, vcc, s0, v28
	v_ashrrev_i32_e32 v31, 31, v30
	v_addc_co_u32_e32 v29, vcc, v97, v29, vcc
	;; [unrolled: 5-line block ×4, first 2 shown]
	v_lshlrev_b64 v[44:45], 2, v[44:45]
	v_add_co_u32_e32 v48, vcc, s0, v44
	v_add_u32_e32 v44, s72, v94
	v_addc_co_u32_e32 v49, vcc, v97, v45, vcc
	v_ashrrev_i32_e32 v45, 31, v44
	v_lshlrev_b64 v[44:45], 2, v[44:45]
	v_add_co_u32_e32 v52, vcc, s0, v44
	v_add_u32_e32 v44, s73, v94
	v_addc_co_u32_e32 v53, vcc, v97, v45, vcc
	v_ashrrev_i32_e32 v45, 31, v44
	;; [unrolled: 5-line block ×3, first 2 shown]
	v_lshlrev_b64 v[44:45], 2, v[44:45]
	v_add_co_u32_e32 v56, vcc, s0, v44
	v_addc_co_u32_e32 v57, vcc, v97, v45, vcc
	global_load_dword v44, v[26:27], off
	global_load_dword v45, v[28:29], off
	;; [unrolled: 1-line block ×6, first 2 shown]
	s_nop 0
	global_load_dword v48, v[54:55], off
	global_load_dword v49, v[56:57], off
	v_add_u32_e32 v26, s75, v94
	v_ashrrev_i32_e32 v27, 31, v26
	v_lshlrev_b64 v[26:27], 2, v[26:27]
	v_add_u32_e32 v28, s76, v94
	v_add_co_u32_e32 v26, vcc, s0, v26
	v_ashrrev_i32_e32 v29, 31, v28
	v_addc_co_u32_e32 v27, vcc, v97, v27, vcc
	v_lshlrev_b64 v[28:29], 2, v[28:29]
	v_add_u32_e32 v30, s77, v94
	v_add_co_u32_e32 v28, vcc, s0, v28
	v_ashrrev_i32_e32 v31, 31, v30
	v_addc_co_u32_e32 v29, vcc, v97, v29, vcc
	;; [unrolled: 5-line block ×6, first 2 shown]
	v_lshlrev_b64 v[56:57], 2, v[56:57]
	v_add_co_u32_e32 v56, vcc, s0, v56
	v_addc_co_u32_e32 v57, vcc, v97, v57, vcc
	v_add_co_u32_e32 v58, vcc, s0, v58
	v_addc_co_u32_e32 v59, vcc, v97, v59, vcc
	global_load_dword v60, v[26:27], off
	global_load_dword v61, v[28:29], off
	;; [unrolled: 1-line block ×8, first 2 shown]
	v_add_u32_e32 v26, s83, v94
	v_ashrrev_i32_e32 v27, 31, v26
	v_lshlrev_b64 v[26:27], 2, v[26:27]
	v_add_u32_e32 v28, s84, v94
	v_add_co_u32_e32 v26, vcc, s0, v26
	v_ashrrev_i32_e32 v29, 31, v28
	v_addc_co_u32_e32 v27, vcc, v97, v27, vcc
	v_lshlrev_b64 v[28:29], 2, v[28:29]
	v_add_u32_e32 v30, s85, v94
	v_add_co_u32_e32 v28, vcc, s0, v28
	v_ashrrev_i32_e32 v31, 31, v30
	v_addc_co_u32_e32 v29, vcc, v97, v29, vcc
	;; [unrolled: 5-line block ×7, first 2 shown]
	v_lshlrev_b64 v[58:59], 2, v[58:59]
	v_add_co_u32_e32 v58, vcc, s0, v58
	v_addc_co_u32_e32 v59, vcc, v97, v59, vcc
	global_load_dword v68, v[26:27], off
	global_load_dword v69, v[28:29], off
	;; [unrolled: 1-line block ×8, first 2 shown]
	v_add_u32_e32 v26, s91, v94
	v_ashrrev_i32_e32 v27, 31, v26
	v_lshlrev_b64 v[26:27], 2, v[26:27]
	v_add_u32_e32 v28, s92, v94
	v_add_co_u32_e32 v26, vcc, s0, v26
	v_ashrrev_i32_e32 v29, 31, v28
	v_addc_co_u32_e32 v27, vcc, v97, v27, vcc
	v_lshlrev_b64 v[28:29], 2, v[28:29]
	v_add_u32_e32 v30, s93, v94
	v_add_co_u32_e32 v28, vcc, s0, v28
	v_ashrrev_i32_e32 v31, 31, v30
	v_addc_co_u32_e32 v29, vcc, v97, v29, vcc
	;; [unrolled: 5-line block ×7, first 2 shown]
	v_lshlrev_b64 v[58:59], 2, v[58:59]
	v_add_co_u32_e32 v58, vcc, s0, v58
	v_addc_co_u32_e32 v59, vcc, v97, v59, vcc
	global_load_dword v76, v[26:27], off
	global_load_dword v77, v[28:29], off
	;; [unrolled: 1-line block ×8, first 2 shown]
	v_add_u32_e32 v26, s23, v94
	v_ashrrev_i32_e32 v27, 31, v26
	v_lshlrev_b64 v[26:27], 2, v[26:27]
	v_add_u32_e32 v28, s28, v94
	v_add_co_u32_e32 v26, vcc, s0, v26
	v_ashrrev_i32_e32 v29, 31, v28
	v_addc_co_u32_e32 v27, vcc, v97, v27, vcc
	v_lshlrev_b64 v[28:29], 2, v[28:29]
	v_add_u32_e32 v30, s29, v94
	v_add_co_u32_e32 v28, vcc, s0, v28
	v_ashrrev_i32_e32 v31, 31, v30
	v_addc_co_u32_e32 v29, vcc, v97, v29, vcc
	;; [unrolled: 5-line block ×5, first 2 shown]
	v_lshlrev_b64 v[54:55], 2, v[54:55]
	v_add_co_u32_e32 v54, vcc, s0, v54
	v_addc_co_u32_e32 v55, vcc, v97, v55, vcc
	global_load_dword v84, v[26:27], off
	global_load_dword v85, v[28:29], off
	;; [unrolled: 1-line block ×6, first 2 shown]
	s_waitcnt vmcnt(55)
	ds_write_b32 v95, v18 offset:2112
	s_waitcnt vmcnt(54)
	ds_write_b32 v95, v19 offset:2376
	s_waitcnt vmcnt(53)
	ds_write_b32 v95, v20 offset:2640
	s_waitcnt vmcnt(52)
	ds_write_b32 v95, v21 offset:2904
	s_waitcnt vmcnt(51)
	ds_write_b32 v95, v22 offset:3168
	s_waitcnt vmcnt(50)
	ds_write_b32 v95, v23 offset:3432
	s_waitcnt vmcnt(49)
	ds_write_b32 v95, v24 offset:3696
	s_waitcnt vmcnt(48)
	ds_write_b32 v95, v25 offset:3960
	ds_read_b64 v[34:35], v96
	ds_read_b64 v[30:31], v96 offset:32
	ds_read_b64 v[28:29], v96 offset:64
	ds_read_b64 v[26:27], v96 offset:96
	ds_read_b64 v[24:25], v96 offset:128
	ds_read_b64 v[22:23], v96 offset:160
	ds_read_b64 v[20:21], v96 offset:192
	ds_read_b64 v[18:19], v96 offset:224
	s_waitcnt vmcnt(47)
	ds_write_b32 v95, v32
	s_waitcnt vmcnt(46)
	ds_write_b32 v95, v33 offset:264
	s_waitcnt vmcnt(45)
	ds_write_b32 v95, v36 offset:528
	s_waitcnt vmcnt(44)
	ds_write_b32 v95, v37 offset:792
	s_waitcnt vmcnt(43)
	ds_write_b32 v95, v38 offset:1056
	s_waitcnt vmcnt(42)
	ds_write_b32 v95, v39 offset:1320
	s_waitcnt vmcnt(41)
	ds_write_b32 v95, v40 offset:1584
	s_waitcnt vmcnt(40)
	ds_write_b32 v95, v41 offset:1848
	s_waitcnt vmcnt(39)
	ds_write_b32 v95, v42 offset:2112
	s_waitcnt vmcnt(38)
	ds_write_b32 v95, v43 offset:2376
	s_waitcnt vmcnt(37)
	ds_write_b32 v95, v44 offset:2640
	s_waitcnt vmcnt(36)
	ds_write_b32 v95, v45 offset:2904
	s_waitcnt vmcnt(35)
	ds_write_b32 v95, v46 offset:3168
	s_waitcnt vmcnt(34)
	ds_write_b32 v95, v47 offset:3432
	s_waitcnt vmcnt(33)
	ds_write_b32 v95, v50 offset:3696
	s_waitcnt vmcnt(32)
	ds_write_b32 v95, v51 offset:3960
	ds_read_b64 v[50:51], v96
	ds_read_b64 v[46:47], v96 offset:32
	ds_read_b64 v[44:45], v96 offset:64
	ds_read_b64 v[42:43], v96 offset:96
	ds_read_b64 v[40:41], v96 offset:128
	ds_read_b64 v[38:39], v96 offset:160
	ds_read_b64 v[36:37], v96 offset:192
	ds_read_b64 v[32:33], v96 offset:224
	s_waitcnt vmcnt(31)
	ds_write_b32 v95, v48
	s_waitcnt vmcnt(30)
	ds_write_b32 v95, v49 offset:264
	s_waitcnt vmcnt(29)
	ds_write_b32 v95, v60 offset:528
	s_waitcnt vmcnt(28)
	ds_write_b32 v95, v61 offset:792
	s_waitcnt vmcnt(27)
	ds_write_b32 v95, v62 offset:1056
	s_waitcnt vmcnt(26)
	ds_write_b32 v95, v63 offset:1320
	s_waitcnt vmcnt(25)
	ds_write_b32 v95, v64 offset:1584
	s_waitcnt vmcnt(24)
	ds_write_b32 v95, v65 offset:1848
	;; [unrolled: 40-line block ×3, first 2 shown]
	s_waitcnt vmcnt(7)
	ds_write_b32 v95, v82 offset:2112
	s_waitcnt vmcnt(6)
	ds_write_b32 v95, v83 offset:2376
	;; [unrolled: 2-line block ×8, first 2 shown]
	ds_read_b64 v[80:81], v96
	ds_read_b64 v[78:79], v96 offset:32
	ds_read_b64 v[76:77], v96 offset:64
	ds_read_b64 v[74:75], v96 offset:96
	ds_read_b64 v[72:73], v96 offset:128
	ds_read_b64 v[70:71], v96 offset:160
	ds_read_b64 v[68:69], v96 offset:192
	ds_read_b64 v[66:67], v96 offset:224
	s_andn2_b64 vcc, exec, s[4:5]
	v_mov_b32_e32 v82, 0
	v_mov_b32_e32 v83, 0
	s_cbranch_vccnz .LBB117_9
; %bb.7:                                ;   in Loop: Header=BB117_6 Depth=1
	s_load_dword s31, s[34:35], 0x0
	v_mov_b32_e32 v83, 0
	v_mov_b32_e32 v82, 0
	s_waitcnt lgkmcnt(0)
	s_mul_hi_u32 s43, s31, s16
	s_add_i32 s43, s31, s43
	s_lshr_b32 s43, s43, s17
	s_cmp_ge_i32 s43, s13
	s_cbranch_scc1 .LBB117_9
; %bb.8:                                ;   in Loop: Header=BB117_6 Depth=1
	s_mul_i32 vcc_lo, s43, s18
	s_sub_i32 s31, s31, vcc_lo
	s_mul_i32 s43, s43, s20
	s_mul_i32 s31, s31, s1
	v_add_u32_e32 v82, s43, v94
	v_lshl_add_u32 v82, v82, 1, s31
	v_ashrrev_i32_e32 v83, 31, v82
	v_lshlrev_b64 v[82:83], 2, v[82:83]
	v_mov_b32_e32 v84, s11
	v_add_co_u32_e32 v82, vcc, s10, v82
	v_addc_co_u32_e32 v83, vcc, v84, v83, vcc
	global_load_dwordx2 v[82:83], v[82:83], off
.LBB117_9:                              ;   in Loop: Header=BB117_6 Depth=1
	s_andn2_b64 vcc, exec, s[36:37]
	v_mov_b32_e32 v84, 0
	v_mov_b32_e32 v86, 0
	v_mov_b32_e32 v87, 0
	s_cbranch_vccnz .LBB117_12
; %bb.10:                               ;   in Loop: Header=BB117_6 Depth=1
	s_load_dword s31, s[34:35], 0x4
	v_mov_b32_e32 v87, 0
	v_mov_b32_e32 v86, 0
	s_waitcnt lgkmcnt(0)
	s_mul_hi_u32 s43, s31, s16
	s_add_i32 s43, s31, s43
	s_lshr_b32 s43, s43, s17
	s_cmp_ge_i32 s43, s13
	s_cbranch_scc1 .LBB117_12
; %bb.11:                               ;   in Loop: Header=BB117_6 Depth=1
	s_mul_i32 vcc_lo, s43, s18
	s_sub_i32 s31, s31, vcc_lo
	s_mul_i32 s43, s43, s20
	s_mul_i32 s31, s31, s1
	v_add_u32_e32 v85, s43, v94
	v_lshl_add_u32 v86, v85, 1, s31
	v_ashrrev_i32_e32 v87, 31, v86
	v_lshlrev_b64 v[86:87], 2, v[86:87]
	v_mov_b32_e32 v85, s11
	v_add_co_u32_e32 v86, vcc, s10, v86
	v_addc_co_u32_e32 v87, vcc, v85, v87, vcc
	global_load_dwordx2 v[86:87], v[86:87], off
.LBB117_12:                             ;   in Loop: Header=BB117_6 Depth=1
	s_andn2_b64 vcc, exec, s[38:39]
	v_mov_b32_e32 v85, 0
	s_cbranch_vccnz .LBB117_15
; %bb.13:                               ;   in Loop: Header=BB117_6 Depth=1
	s_load_dword s31, s[34:35], 0x8
	v_mov_b32_e32 v85, 0
	v_mov_b32_e32 v84, 0
	s_waitcnt lgkmcnt(0)
	s_mul_hi_u32 s43, s31, s16
	s_add_i32 s43, s31, s43
	s_lshr_b32 s43, s43, s17
	s_cmp_ge_i32 s43, s13
	s_cbranch_scc1 .LBB117_15
; %bb.14:                               ;   in Loop: Header=BB117_6 Depth=1
	s_mul_i32 vcc_lo, s43, s18
	s_sub_i32 s31, s31, vcc_lo
	s_mul_i32 s43, s43, s20
	s_mul_i32 s31, s31, s1
	v_add_u32_e32 v84, s43, v94
	v_lshl_add_u32 v84, v84, 1, s31
	v_ashrrev_i32_e32 v85, 31, v84
	v_lshlrev_b64 v[84:85], 2, v[84:85]
	v_mov_b32_e32 v88, s11
	v_add_co_u32_e32 v84, vcc, s10, v84
	v_addc_co_u32_e32 v85, vcc, v88, v85, vcc
	global_load_dwordx2 v[84:85], v[84:85], off
.LBB117_15:                             ;   in Loop: Header=BB117_6 Depth=1
	s_andn2_b64 vcc, exec, s[40:41]
	v_mov_b32_e32 v88, 0
	v_mov_b32_e32 v89, 0
	s_cbranch_vccnz .LBB117_5
; %bb.16:                               ;   in Loop: Header=BB117_6 Depth=1
	s_load_dword s31, s[34:35], 0xc
	v_mov_b32_e32 v89, 0
	v_mov_b32_e32 v88, 0
	s_waitcnt lgkmcnt(0)
	s_mul_hi_u32 s43, s31, s16
	s_add_i32 s43, s31, s43
	s_lshr_b32 s43, s43, s17
	s_cmp_ge_i32 s43, s13
	s_cbranch_scc1 .LBB117_5
; %bb.17:                               ;   in Loop: Header=BB117_6 Depth=1
	s_mul_i32 vcc_lo, s43, s18
	s_sub_i32 s31, s31, vcc_lo
	s_mul_i32 s43, s43, s20
	s_mul_i32 s31, s31, s1
	v_add_u32_e32 v88, s43, v94
	v_lshl_add_u32 v88, v88, 1, s31
	v_ashrrev_i32_e32 v89, 31, v88
	v_lshlrev_b64 v[88:89], 2, v[88:89]
	v_mov_b32_e32 v100, s11
	v_add_co_u32_e32 v88, vcc, s10, v88
	v_addc_co_u32_e32 v89, vcc, v100, v89, vcc
	global_load_dwordx2 v[88:89], v[88:89], off
	s_branch .LBB117_5
.LBB117_18:
	s_or_b64 exec, exec, s[8:9]
	v_readlane_b32 s24, v101, 6
	v_readlane_b32 s25, v101, 7
	;; [unrolled: 1-line block ×3, first 2 shown]
.LBB117_19:
	v_readlane_b32 s0, v101, 4
	v_readlane_b32 s1, v101, 5
	s_or_b64 exec, exec, s[0:1]
	v_mul_u32_u24_e32 v16, 0x708, v93
	v_lshlrev_b32_e32 v17, 2, v92
	v_add3_u32 v16, 0, v16, v17
	v_and_b32_e32 v17, 0x3f0, v90
	v_add_u32_e32 v17, v16, v17
	s_barrier
	ds_write2_b32 v17, v8, v9 offset1:1
	ds_write_b32 v17, v10 offset:8
	v_or_b32_e32 v8, 12, v90
	v_and_b32_e32 v8, 0x3fc, v8
	v_add_u32_e32 v8, v16, v8
	v_cmp_gt_u32_e32 vcc, 4, v91
	ds_write_b32 v8, v11
	ds_write2_b32 v17, v4, v5 offset0:16 offset1:17
	ds_write_b32 v17, v6 offset:72
	ds_write_b32 v8, v7 offset:64
	ds_write2_b32 v17, v0, v1 offset0:32 offset1:33
	ds_write_b32 v17, v2 offset:136
	ds_write_b32 v8, v3 offset:128
	ds_write2_b32 v17, v12, v13 offset0:48 offset1:49
	ds_write_b32 v17, v14 offset:200
	ds_write_b32 v8, v15 offset:192
	s_waitcnt lgkmcnt(0)
	s_barrier
	s_and_saveexec_b64 s[0:1], vcc
	s_cbranch_execz .LBB117_23
; %bb.20:
	s_cmp_gt_i32 s14, 0
	v_or_b32_e32 v0, s6, v91
	s_cselect_b64 s[0:1], -1, 0
	v_cmp_gt_i32_e32 vcc, s33, v0
	s_and_b64 s[0:1], s[0:1], vcc
	s_and_b64 exec, exec, s[0:1]
	s_cbranch_execz .LBB117_23
; %bb.21:
	s_lshl_b64 s[0:1], s[26:27], 2
	v_readlane_b32 s4, v101, 0
	v_readlane_b32 s5, v101, 1
	s_add_u32 s0, s4, s0
	v_ashrrev_i32_e32 v1, 31, v0
	s_addc_u32 s1, s5, s1
	v_lshlrev_b64 v[0:1], 2, v[0:1]
	v_mov_b32_e32 v2, s1
	v_add_co_u32_e32 v0, vcc, s0, v0
	v_addc_co_u32_e32 v1, vcc, v2, v1, vcc
	global_load_dword v0, v[0:1], off
	s_waitcnt vmcnt(0)
	v_mul_hi_u32 v1, v0, s19
	v_add_u32_e32 v1, v0, v1
	v_lshrrev_b32_e32 v1, s24, v1
	v_cmp_gt_i32_e32 vcc, s13, v1
	s_and_b64 exec, exec, vcc
	s_cbranch_execz .LBB117_23
; %bb.22:
	v_lshlrev_b32_e32 v2, 2, v90
	v_mul_u32_u24_e32 v3, 0x708, v91
	v_add3_u32 v8, 0, v2, v3
	ds_read2st64_b32 v[2:3], v8 offset1:1
	ds_read2st64_b32 v[4:5], v8 offset0:2 offset1:3
	ds_read2st64_b32 v[6:7], v8 offset0:4 offset1:5
	ds_read_b32 v8, v8 offset:1536
	v_readlane_b32 s0, v101, 2
	s_waitcnt lgkmcnt(3)
	v_add_f32_e32 v2, 0, v2
	v_add_f32_e32 v2, v2, v3
	s_waitcnt lgkmcnt(2)
	v_add_f32_e32 v2, v2, v4
	v_mul_lo_u32 v4, v1, s25
	v_sub_u32_e32 v0, v0, v4
	v_add_u32_e32 v3, s7, v90
	v_mul_lo_u32 v0, v0, s2
	v_mul_lo_u32 v1, v1, s21
	v_add_f32_e32 v2, v2, v5
	v_add3_u32 v0, v3, v1, v0
	v_mov_b32_e32 v1, 0
	s_waitcnt lgkmcnt(1)
	v_add_f32_e32 v2, v2, v6
	v_lshlrev_b64 v[0:1], 2, v[0:1]
	v_readlane_b32 s1, v101, 3
	v_add_f32_e32 v2, v2, v7
	v_mov_b32_e32 v3, s1
	v_add_co_u32_e32 v0, vcc, s0, v0
	s_waitcnt lgkmcnt(0)
	v_add_f32_e32 v2, v2, v8
	v_addc_co_u32_e32 v1, vcc, v3, v1, vcc
	global_store_dword v[0:1], v2, off
.LBB117_23:
	s_endpgm
	.section	.rodata,"a",@progbits
	.p2align	6, 0x0
	.amdhsa_kernel _ZL13mul_mat_f_idsI7__half2Li64ELi4ELi7EEvPKT_PKfPKiS7_S7_Pfiiiiiiiiiiiiii15HIP_vector_typeIjLj3EESA_
		.amdhsa_group_segment_fixed_size 0
		.amdhsa_private_segment_fixed_size 0
		.amdhsa_kernarg_size 128
		.amdhsa_user_sgpr_count 6
		.amdhsa_user_sgpr_private_segment_buffer 1
		.amdhsa_user_sgpr_dispatch_ptr 0
		.amdhsa_user_sgpr_queue_ptr 0
		.amdhsa_user_sgpr_kernarg_segment_ptr 1
		.amdhsa_user_sgpr_dispatch_id 0
		.amdhsa_user_sgpr_flat_scratch_init 0
		.amdhsa_user_sgpr_kernarg_preload_length 0
		.amdhsa_user_sgpr_kernarg_preload_offset 0
		.amdhsa_user_sgpr_private_segment_size 0
		.amdhsa_uses_dynamic_stack 0
		.amdhsa_system_sgpr_private_segment_wavefront_offset 0
		.amdhsa_system_sgpr_workgroup_id_x 1
		.amdhsa_system_sgpr_workgroup_id_y 1
		.amdhsa_system_sgpr_workgroup_id_z 1
		.amdhsa_system_sgpr_workgroup_info 0
		.amdhsa_system_vgpr_workitem_id 1
		.amdhsa_next_free_vgpr 102
		.amdhsa_next_free_sgpr 96
		.amdhsa_accum_offset 104
		.amdhsa_reserve_vcc 1
		.amdhsa_reserve_flat_scratch 0
		.amdhsa_float_round_mode_32 0
		.amdhsa_float_round_mode_16_64 0
		.amdhsa_float_denorm_mode_32 3
		.amdhsa_float_denorm_mode_16_64 3
		.amdhsa_dx10_clamp 1
		.amdhsa_ieee_mode 1
		.amdhsa_fp16_overflow 0
		.amdhsa_tg_split 0
		.amdhsa_exception_fp_ieee_invalid_op 0
		.amdhsa_exception_fp_denorm_src 0
		.amdhsa_exception_fp_ieee_div_zero 0
		.amdhsa_exception_fp_ieee_overflow 0
		.amdhsa_exception_fp_ieee_underflow 0
		.amdhsa_exception_fp_ieee_inexact 0
		.amdhsa_exception_int_div_zero 0
	.end_amdhsa_kernel
	.section	.text._ZL13mul_mat_f_idsI7__half2Li64ELi4ELi7EEvPKT_PKfPKiS7_S7_Pfiiiiiiiiiiiiii15HIP_vector_typeIjLj3EESA_,"axG",@progbits,_ZL13mul_mat_f_idsI7__half2Li64ELi4ELi7EEvPKT_PKfPKiS7_S7_Pfiiiiiiiiiiiiii15HIP_vector_typeIjLj3EESA_,comdat
.Lfunc_end117:
	.size	_ZL13mul_mat_f_idsI7__half2Li64ELi4ELi7EEvPKT_PKfPKiS7_S7_Pfiiiiiiiiiiiiii15HIP_vector_typeIjLj3EESA_, .Lfunc_end117-_ZL13mul_mat_f_idsI7__half2Li64ELi4ELi7EEvPKT_PKfPKiS7_S7_Pfiiiiiiiiiiiiii15HIP_vector_typeIjLj3EESA_
                                        ; -- End function
	.section	.AMDGPU.csdata,"",@progbits
; Kernel info:
; codeLenInByte = 5472
; NumSgprs: 100
; NumVgprs: 102
; NumAgprs: 0
; TotalNumVgprs: 102
; ScratchSize: 0
; MemoryBound: 0
; FloatMode: 240
; IeeeMode: 1
; LDSByteSize: 0 bytes/workgroup (compile time only)
; SGPRBlocks: 12
; VGPRBlocks: 12
; NumSGPRsForWavesPerEU: 100
; NumVGPRsForWavesPerEU: 102
; AccumOffset: 104
; Occupancy: 4
; WaveLimiterHint : 1
; COMPUTE_PGM_RSRC2:SCRATCH_EN: 0
; COMPUTE_PGM_RSRC2:USER_SGPR: 6
; COMPUTE_PGM_RSRC2:TRAP_HANDLER: 0
; COMPUTE_PGM_RSRC2:TGID_X_EN: 1
; COMPUTE_PGM_RSRC2:TGID_Y_EN: 1
; COMPUTE_PGM_RSRC2:TGID_Z_EN: 1
; COMPUTE_PGM_RSRC2:TIDIG_COMP_CNT: 1
; COMPUTE_PGM_RSRC3_GFX90A:ACCUM_OFFSET: 25
; COMPUTE_PGM_RSRC3_GFX90A:TG_SPLIT: 0
	.section	.text._ZL9mul_mat_fI7__half2Li64ELi4ELi7ELb1EEvPKT_PKfPKiPfiiiiiiiiiiiiiiii,"axG",@progbits,_ZL9mul_mat_fI7__half2Li64ELi4ELi7ELb1EEvPKT_PKfPKiPfiiiiiiiiiiiiiiii,comdat
	.globl	_ZL9mul_mat_fI7__half2Li64ELi4ELi7ELb1EEvPKT_PKfPKiPfiiiiiiiiiiiiiiii ; -- Begin function _ZL9mul_mat_fI7__half2Li64ELi4ELi7ELb1EEvPKT_PKfPKiPfiiiiiiiiiiiiiiii
	.p2align	8
	.type	_ZL9mul_mat_fI7__half2Li64ELi4ELi7ELb1EEvPKT_PKfPKiPfiiiiiiiiiiiiiiii,@function
_ZL9mul_mat_fI7__half2Li64ELi4ELi7ELb1EEvPKT_PKfPKiPfiiiiiiiiiiiiiiii: ; @_ZL9mul_mat_fI7__half2Li64ELi4ELi7ELb1EEvPKT_PKfPKiPfiiiiiiiiiiiiiiii
; %bb.0:
	s_load_dwordx8 s[12:19], s[4:5], 0x20
	v_and_b32_e32 v16, 0x3ff, v0
	v_bfe_u32 v17, v0, 10, 10
	v_cmp_eq_u32_e32 vcc, 0, v16
	s_waitcnt lgkmcnt(0)
	s_add_i32 s0, s13, 3
	s_ashr_i32 s1, s0, 31
	s_lshr_b32 s1, s1, 30
	s_add_i32 s0, s0, s1
	s_ashr_i32 s0, s0, 2
	v_cvt_f32_u32_e32 v1, s0
	s_load_dwordx4 s[20:23], s[4:5], 0x44
	s_load_dword s1, s[4:5], 0x64
	s_sub_i32 s2, 0, s0
	s_add_u32 s10, s4, 0x60
	v_rcp_iflag_f32_e32 v1, v1
	s_addc_u32 s11, s5, 0
	v_mul_f32_e32 v1, 0x4f7ffffe, v1
	v_cvt_u32_f32_e32 v1, v1
	v_readfirstlane_b32 s3, v1
	s_mul_i32 s2, s2, s3
	s_mul_hi_u32 s2, s3, s2
	s_add_i32 s3, s3, s2
	s_waitcnt lgkmcnt(0)
	s_mul_hi_u32 s2, s1, s3
	s_mul_i32 s3, s2, s0
	s_sub_i32 s1, s1, s3
	s_add_i32 s9, s2, 1
	s_sub_i32 s3, s1, s0
	s_cmp_ge_u32 s1, s0
	s_cselect_b32 s2, s9, s2
	s_cselect_b32 s1, s3, s1
	s_add_i32 s3, s2, 1
	s_cmp_ge_u32 s1, s0
	s_cselect_b32 s2, s3, s2
	v_cvt_f32_u32_e32 v1, s2
	s_abs_i32 s33, s23
	v_cvt_f32_u32_e32 v2, s33
	s_sub_i32 s0, 0, s2
	v_rcp_iflag_f32_e32 v1, v1
	s_sub_i32 s1, 0, s33
	v_rcp_iflag_f32_e32 v2, v2
	v_mul_f32_e32 v1, 0x4f7ffffe, v1
	v_cvt_u32_f32_e32 v1, v1
	v_mul_f32_e32 v2, 0x4f7ffffe, v2
	v_cvt_u32_f32_e32 v2, v2
	v_readfirstlane_b32 s3, v1
	s_mul_i32 s0, s0, s3
	v_readfirstlane_b32 s34, v2
	s_mul_hi_u32 s0, s3, s0
	s_mul_i32 s1, s1, s34
	s_add_i32 s3, s3, s0
	s_mul_hi_u32 s9, s34, s1
	s_mul_hi_u32 s3, s7, s3
	s_and_saveexec_b64 s[0:1], vcc
	s_cbranch_execz .LBB118_2
; %bb.1:
	v_mov_b32_e32 v1, 0x100
	v_lshl_add_u32 v1, v17, 2, v1
	v_mov_b32_e32 v2, -1
	ds_write_b32 v1, v2
.LBB118_2:
	s_or_b64 exec, exec, s[0:1]
	s_mul_i32 s0, s3, s2
	s_load_dwordx4 s[24:27], s[4:5], 0x54
	s_sub_i32 s0, s7, s0
	s_waitcnt lgkmcnt(0)
	s_abs_i32 s27, s8
	s_add_i32 s34, s34, s9
	s_add_i32 s1, s3, 1
	s_sub_i32 s9, s0, s2
	s_cmp_ge_u32 s0, s2
	s_cselect_b32 s1, s1, s3
	s_cselect_b32 s0, s9, s0
	s_add_i32 s3, s1, 1
	s_cmp_ge_u32 s0, s2
	s_cselect_b32 s0, s3, s1
	s_lshl_b32 s9, s0, 2
	s_mul_i32 s1, s0, s2
	v_add_u32_e32 v1, s9, v17
	s_sub_i32 s7, s7, s1
	v_cmp_gt_i32_e32 vcc, s13, v1
	v_mov_b32_e32 v1, 0
	s_and_saveexec_b64 s[2:3], vcc
	s_cbranch_execz .LBB118_10
; %bb.3:
	v_cmp_gt_i32_e32 vcc, s14, v16
	v_mov_b32_e32 v1, 0
	s_and_saveexec_b64 s[28:29], vcc
	s_cbranch_execz .LBB118_9
; %bb.4:
	s_load_dwordx2 s[0:1], s[4:5], 0x10
	s_mul_hi_i32 s31, s9, s19
	s_mul_i32 s30, s9, s19
	v_mul_lo_u32 v2, v17, s19
	s_lshl_b64 s[30:31], s[30:31], 2
	s_waitcnt lgkmcnt(0)
	s_add_u32 s0, s0, s30
	v_ashrrev_i32_e32 v3, 31, v2
	s_addc_u32 s1, s1, s31
	v_lshlrev_b64 v[2:3], 2, v[2:3]
	v_mov_b32_e32 v4, s1
	v_add_co_u32_e32 v1, vcc, s0, v2
	v_mov_b32_e32 v2, 0x100
	v_addc_co_u32_e32 v4, vcc, v4, v3, vcc
	v_lshl_add_u32 v5, v17, 2, v2
	v_mul_lo_u32 v2, v16, s18
	s_lshl_b32 s35, s18, 6
	s_mov_b64 s[18:19], 0
	v_mov_b32_e32 v6, 0
	v_mov_b32_e32 v7, v16
	s_branch .LBB118_6
.LBB118_5:                              ;   in Loop: Header=BB118_6 Depth=1
	s_or_b64 exec, exec, s[30:31]
	v_add_u32_e32 v7, 64, v7
	v_cmp_le_i32_e64 s[0:1], s14, v7
	s_xor_b64 s[30:31], vcc, -1
	s_or_b64 s[0:1], s[30:31], s[0:1]
	s_and_b64 s[0:1], exec, s[0:1]
	s_or_b64 s[18:19], s[0:1], s[18:19]
	v_add_u32_e32 v2, s35, v2
	s_andn2_b64 exec, exec, s[18:19]
	s_cbranch_execz .LBB118_8
.LBB118_6:                              ; =>This Inner Loop Header: Depth=1
	v_ashrrev_i32_e32 v3, 31, v2
	v_lshlrev_b64 v[8:9], 2, v[2:3]
	v_add_co_u32_e32 v8, vcc, v1, v8
	v_addc_co_u32_e32 v9, vcc, v4, v9, vcc
	global_load_dword v3, v[8:9], off
	s_waitcnt vmcnt(0)
	v_cmp_ne_u32_e32 vcc, s7, v3
	v_cmp_eq_u32_e64 s[0:1], s7, v3
	s_and_saveexec_b64 s[30:31], s[0:1]
	s_cbranch_execz .LBB118_5
; %bb.7:                                ;   in Loop: Header=BB118_6 Depth=1
	v_mov_b32_e32 v6, 1
	ds_write_b32 v5, v7
	s_branch .LBB118_5
.LBB118_8:
	s_or_b64 exec, exec, s[18:19]
	v_cmp_ne_u32_e32 vcc, 0, v6
	v_cndmask_b32_e64 v1, 0, 1, vcc
.LBB118_9:
	s_or_b64 exec, exec, s[28:29]
.LBB118_10:
	s_or_b64 exec, exec, s[2:3]
	s_load_dwordx2 s[0:1], s[10:11], 0xc
	s_load_dwordx4 s[28:31], s[4:5], 0x0
	s_load_dwordx2 s[2:3], s[4:5], 0x18
	v_or_b32_dpp v1, v1, v1 row_shl:1 row_mask:0xf bank_mask:0xf bound_ctrl:1
	s_mul_hi_u32 s4, s27, s34
	s_waitcnt lgkmcnt(0)
	s_and_b32 s5, s1, 0xffff
	s_lshr_b32 s1, s0, 16
	s_and_b32 s0, s0, 0xffff
	v_or_b32_dpp v1, v1, v1 row_shl:2 row_mask:0xf bank_mask:0xf bound_ctrl:1
	s_mul_i32 s10, s1, s0
	s_bfe_i32 s10, s10, 0x180000
	v_or_b32_dpp v1, v1, v1 row_shl:4 row_mask:0xf bank_mask:0xf bound_ctrl:1
	s_mul_i32 s5, s10, s5
	s_add_i32 s10, s5, 63
	v_or_b32_dpp v1, v1, v1 row_shl:8 row_mask:0xf bank_mask:0xf bound_ctrl:1
	s_bitcmp1_b32 exec_hi, 0
	s_nop 0
	v_mov_b32_dpp v2, v1 wave_shl:1 row_mask:0xf bank_mask:0xf bound_ctrl:1
	s_nop 1
	v_or_b32_dpp v1, v2, v1 row_mirror row_mask:0xf bank_mask:0xf bound_ctrl:1
	v_readlane_b32 s5, v1, 32
	s_cselect_b32 s5, s5, 0
	v_readlane_b32 s11, v1, 0
	s_or_b32 s5, s5, s11
	s_andn2_b32 s10, s10, 63
	s_cmp_lg_u32 s10, 64
	v_mov_b32_e32 v1, s5
	s_cbranch_scc0 .LBB118_17
; %bb.11:
	v_bfe_u32 v0, v0, 20, 10
	v_mbcnt_lo_u32_b32 v1, -1, 0
	v_mad_u32_u24 v0, v0, s1, v17
	v_mbcnt_hi_u32_b32 v2, -1, v1
	v_mad_u64_u32 v[0:1], s[0:1], v0, s0, v[16:17]
	v_lshrrev_b32_e32 v1, 6, v0
	v_or_b32_e32 v1, v2, v1
	v_cmp_eq_u32_e32 vcc, 0, v1
	s_and_saveexec_b64 s[0:1], vcc
	s_cbranch_execz .LBB118_13
; %bb.12:
	v_mov_b32_e32 v1, 0
	v_mov_b32_e32 v3, s5
	ds_write_b32 v1, v3
.LBB118_13:
	s_or_b64 exec, exec, s[0:1]
	v_cmp_eq_u32_e32 vcc, 0, v2
	v_cmp_lt_u32_e64 s[0:1], 63, v0
	s_and_b64 s[10:11], s[0:1], vcc
	s_waitcnt lgkmcnt(0)
	s_barrier
	s_and_saveexec_b64 s[0:1], s[10:11]
	s_cbranch_execz .LBB118_16
; %bb.14:
	v_mbcnt_lo_u32_b32 v0, exec_lo, 0
	v_mbcnt_hi_u32_b32 v0, exec_hi, v0
	v_cmp_eq_u32_e32 vcc, 0, v0
	s_and_b64 exec, exec, vcc
	s_cbranch_execz .LBB118_16
; %bb.15:
	v_mov_b32_e32 v0, 0
	v_mov_b32_e32 v1, s5
	ds_or_b32 v0, v1
.LBB118_16:
	s_or_b64 exec, exec, s[0:1]
	v_mov_b32_e32 v0, 0
	s_waitcnt lgkmcnt(0)
	s_barrier
	ds_read_b32 v1, v0
	s_waitcnt lgkmcnt(0)
	s_barrier
.LBB118_17:
	v_cmp_ne_u32_e32 vcc, 0, v1
	s_ashr_i32 s5, s8, 31
	s_ashr_i32 s10, s23, 31
	s_cbranch_vccz .LBB118_39
; %bb.18:
	v_lshlrev_b32_e32 v88, 6, v17
	v_add_u32_e32 v90, v88, v16
	v_cmp_le_i32_e32 vcc, s12, v90
	v_and_b32_e32 v89, 15, v16
                                        ; implicit-def: $sgpr11
	s_and_saveexec_b64 s[0:1], vcc
	s_xor_b64 s[0:1], exec, s[0:1]
; %bb.19:
	v_and_b32_e32 v89, 15, v16
	s_mov_b32 s11, 0
                                        ; implicit-def: $vgpr90
; %bb.20:
	s_or_saveexec_b64 s[0:1], s[0:1]
	s_lshl_b32 s23, s6, 6
	v_mov_b32_e32 v11, s11
	v_mov_b32_e32 v10, s11
	;; [unrolled: 1-line block ×16, first 2 shown]
	s_xor_b64 exec, exec, s[0:1]
	s_cbranch_execz .LBB118_36
; %bb.21:
	s_mul_i32 s6, s4, s33
	s_sub_i32 s6, s27, s6
	s_xor_b32 s5, s5, s10
	s_add_i32 s10, s4, 1
	s_sub_i32 s11, s6, s33
	s_cmp_ge_u32 s6, s33
	s_cselect_b32 s4, s10, s4
	s_cselect_b32 s6, s11, s6
	s_add_i32 s10, s4, 1
	s_cmp_ge_u32 s6, s33
	s_cselect_b32 s4, s10, s4
	s_xor_b32 s4, s4, s5
	s_sub_i32 s4, s4, s5
	s_mul_hi_i32 s5, s4, s24
	s_mul_i32 s4, s4, s24
	s_mul_i32 s6, s7, s20
	s_ashr_i32 s7, s6, 31
	s_lshl_b64 s[34:35], s[4:5], 2
	s_add_u32 s4, s28, s34
	s_addc_u32 s5, s29, s35
	s_lshl_b64 s[36:37], s[6:7], 2
	s_mul_i32 s10, s23, s15
	s_add_u32 s4, s4, s36
	s_addc_u32 s5, s5, s37
	s_ashr_i32 s11, s10, 31
	s_lshl_b64 s[38:39], s[10:11], 2
	s_add_u32 s20, s4, s38
	s_movk_i32 s4, 0x1080
	v_mov_b32_e32 v91, 0x100
	s_addc_u32 s14, s5, s39
	v_mad_u32_u24 v0, v17, s4, v91
	s_mul_hi_i32 s5, s25, s8
	s_mul_i32 s4, s25, s8
	s_mul_hi_i32 s7, s16, s9
	s_mul_i32 s6, s16, s9
	s_lshl_b64 s[6:7], s[6:7], 3
	s_lshl_b64 s[4:5], s[4:5], 2
	s_add_u32 s4, s30, s4
	s_addc_u32 s5, s31, s5
	s_add_u32 s27, s4, s6
	s_addc_u32 s30, s5, s7
	s_cmp_lt_i32 s9, s13
	s_cselect_b64 s[4:5], -1, 0
	s_or_b32 s6, s9, 1
	s_cmp_lt_i32 s6, s13
	s_cselect_b64 s[6:7], -1, 0
	s_or_b32 s10, s9, 2
	s_cmp_lt_i32 s10, s13
	s_cselect_b64 s[10:11], -1, 0
	s_lshl_b32 s31, s16, 2
	s_or_b32 s18, s9, 3
	s_cmp_lt_i32 s18, s13
	s_cselect_b64 s[18:19], -1, 0
	s_ashr_i32 s25, s15, 31
	s_mov_b32 s24, s15
	s_lshl_b64 s[24:25], s[24:25], 2
	s_add_u32 s33, s34, s38
	s_addc_u32 s34, s35, s39
	v_lshrrev_b32_e32 v2, 1, v16
	s_add_u32 s33, s33, s36
	v_mul_u32_u24_e32 v1, 0x108, v89
	v_and_b32_e32 v2, 0x1f8, v2
	s_addc_u32 s34, s34, s37
	v_lshl_add_u32 v92, v16, 2, v0
	v_add3_u32 v93, v0, v1, v2
	v_lshlrev_b32_e32 v0, 1, v16
	s_add_u32 s28, s28, s33
	v_lshl_add_u32 v94, v17, 7, v0
	v_lshlrev_b32_e32 v0, 2, v90
	s_addc_u32 s29, s29, s34
	v_mov_b32_e32 v1, s29
	v_add_co_u32_e32 v18, vcc, s28, v0
	v_mov_b32_e32 v96, 0
	v_addc_co_u32_e32 v19, vcc, 0, v1, vcc
	s_mul_i32 s28, s16, 6
	s_lshl_b32 s16, s16, 1
	s_lshl_b32 s29, s15, 1
	s_mul_i32 s33, s15, 3
	s_lshl_b32 s34, s15, 2
	s_mul_i32 s35, s15, 5
	s_mul_i32 s36, s15, 6
	;; [unrolled: 1-line block ×3, first 2 shown]
	s_lshl_b32 s38, s15, 3
	s_mul_i32 s39, s15, 9
	s_mul_i32 s40, s15, 10
	;; [unrolled: 1-line block ×7, first 2 shown]
	s_lshl_b32 s46, s15, 4
	s_mul_i32 s47, s15, 17
	s_mul_i32 s48, s15, 18
	;; [unrolled: 1-line block ×15, first 2 shown]
	s_lshl_b32 s62, s15, 5
	s_mul_i32 s63, s15, 33
	s_mul_i32 s64, s15, 34
	;; [unrolled: 1-line block ×26, first 2 shown]
	v_mov_b32_e32 v95, s14
	s_mul_i32 s89, s15, 59
	v_mov_b32_e32 v97, s25
	v_mov_b32_e32 v12, 0
	;; [unrolled: 1-line block ×17, first 2 shown]
	s_mul_i32 s25, s15, 60
	s_mul_i32 s90, s15, 61
	;; [unrolled: 1-line block ×4, first 2 shown]
	s_mov_b64 s[14:15], 0
	s_branch .LBB118_23
.LBB118_22:                             ;   in Loop: Header=BB118_23 Depth=1
	s_waitcnt vmcnt(0)
	v_cvt_f16_f32_e32 v84, v84
	v_cvt_f16_f32_e32 v85, v85
	v_add_u32_e32 v86, 0x200, v92
	v_add_u32_e32 v87, 0x400, v92
	v_add_co_u32_e32 v18, vcc, 0x700, v18
	v_pack_b32_f16 v84, v84, v85
	ds_write2_b32 v86, v84, v96 offset0:86 offset1:152
	ds_write2_b32 v87, v96, v96 offset0:90 offset1:156
	v_add_u32_e32 v84, 0x600, v92
	ds_write2_b32 v84, v96, v96 offset0:94 offset1:160
	v_add_u32_e32 v84, 0x800, v92
	;; [unrolled: 2-line block ×4, first 2 shown]
	ds_write2_b32 v84, v96, v96 offset0:106 offset1:172
	ds_write_b32 v92, v96 offset:4024
	ds_read2_b64 v[84:87], v93 offset0:8 offset1:12
	s_waitcnt lgkmcnt(0)
	v_mfma_f32_16x16x16f16 v[8:11], v[36:37], v[84:85], v[8:11]
	v_add_u32_e32 v90, 0x1c0, v90
	v_addc_co_u32_e32 v19, vcc, 0, v19, vcc
	v_cmp_le_i32_e32 vcc, s12, v90
	v_add_u32_e32 v94, 0x380, v94
	s_or_b64 s[14:15], vcc, s[14:15]
	v_mfma_f32_16x16x16f16 v[4:7], v[52:53], v[84:85], v[4:7]
	v_mfma_f32_16x16x16f16 v[0:3], v[66:67], v[84:85], v[0:3]
	;; [unrolled: 1-line block ×5, first 2 shown]
	ds_read2_b64 v[50:53], v93 offset0:16 offset1:20
	v_mfma_f32_16x16x16f16 v[0:3], v[64:65], v[86:87], v[0:3]
	v_mfma_f32_16x16x16f16 v[12:15], v[80:81], v[86:87], v[12:15]
	s_waitcnt lgkmcnt(0)
	v_mfma_f32_16x16x16f16 v[8:11], v[30:31], v[50:51], v[8:11]
	v_mfma_f32_16x16x16f16 v[4:7], v[46:47], v[50:51], v[4:7]
	;; [unrolled: 1-line block ×5, first 2 shown]
	ds_read2_b64 v[28:31], v93 offset0:24 offset1:28
	v_mfma_f32_16x16x16f16 v[4:7], v[44:45], v[52:53], v[4:7]
	v_mfma_f32_16x16x16f16 v[0:3], v[60:61], v[52:53], v[0:3]
	;; [unrolled: 1-line block ×3, first 2 shown]
	s_waitcnt lgkmcnt(0)
	v_mfma_f32_16x16x16f16 v[8:11], v[26:27], v[28:29], v[8:11]
	v_mfma_f32_16x16x16f16 v[4:7], v[42:43], v[28:29], v[4:7]
	;; [unrolled: 1-line block ×5, first 2 shown]
	ds_read2_b64 v[24:27], v93 offset0:32 offset1:36
	v_mfma_f32_16x16x16f16 v[4:7], v[40:41], v[30:31], v[4:7]
	v_mfma_f32_16x16x16f16 v[0:3], v[56:57], v[30:31], v[0:3]
	;; [unrolled: 1-line block ×3, first 2 shown]
	s_waitcnt lgkmcnt(0)
	v_mfma_f32_16x16x16f16 v[8:11], v[22:23], v[24:25], v[8:11]
	v_mfma_f32_16x16x16f16 v[4:7], v[38:39], v[24:25], v[4:7]
	;; [unrolled: 1-line block ×8, first 2 shown]
	s_andn2_b64 exec, exec, s[14:15]
	s_cbranch_execz .LBB118_35
.LBB118_23:                             ; =>This Inner Loop Header: Depth=1
	v_add_co_u32_e32 v20, vcc, s24, v18
	v_addc_co_u32_e32 v21, vcc, v19, v97, vcc
	global_load_dword v32, v[18:19], off
	global_load_dword v33, v[20:21], off
	v_add_u32_e32 v20, s29, v90
	v_ashrrev_i32_e32 v21, 31, v20
	v_lshlrev_b64 v[20:21], 2, v[20:21]
	v_add_u32_e32 v22, s33, v90
	v_add_co_u32_e32 v20, vcc, s20, v20
	v_ashrrev_i32_e32 v23, 31, v22
	v_addc_co_u32_e32 v21, vcc, v95, v21, vcc
	v_lshlrev_b64 v[22:23], 2, v[22:23]
	v_add_u32_e32 v24, s34, v90
	v_add_co_u32_e32 v22, vcc, s20, v22
	v_ashrrev_i32_e32 v25, 31, v24
	v_addc_co_u32_e32 v23, vcc, v95, v23, vcc
	;; [unrolled: 5-line block ×5, first 2 shown]
	v_lshlrev_b64 v[30:31], 2, v[30:31]
	v_add_co_u32_e32 v30, vcc, s20, v30
	v_addc_co_u32_e32 v31, vcc, v95, v31, vcc
	global_load_dword v34, v[20:21], off
	global_load_dword v35, v[22:23], off
	;; [unrolled: 1-line block ×3, first 2 shown]
	s_nop 0
	global_load_dword v26, v[26:27], off
	s_nop 0
	global_load_dword v27, v[28:29], off
	s_nop 0
	global_load_dword v28, v[30:31], off
	v_add_u32_e32 v20, s38, v90
	v_ashrrev_i32_e32 v21, 31, v20
	v_add_u32_e32 v22, s39, v90
	v_lshlrev_b64 v[20:21], 2, v[20:21]
	v_ashrrev_i32_e32 v23, 31, v22
	v_add_co_u32_e32 v20, vcc, s20, v20
	v_add_u32_e32 v24, s40, v90
	v_lshlrev_b64 v[22:23], 2, v[22:23]
	v_addc_co_u32_e32 v21, vcc, v95, v21, vcc
	v_ashrrev_i32_e32 v25, 31, v24
	v_add_co_u32_e32 v22, vcc, s20, v22
	v_lshlrev_b64 v[24:25], 2, v[24:25]
	v_addc_co_u32_e32 v23, vcc, v95, v23, vcc
	global_load_dword v20, v[20:21], off
	s_nop 0
	global_load_dword v21, v[22:23], off
	v_add_u32_e32 v22, s41, v90
	v_add_co_u32_e32 v24, vcc, s20, v24
	v_ashrrev_i32_e32 v23, 31, v22
	v_addc_co_u32_e32 v25, vcc, v95, v25, vcc
	v_lshlrev_b64 v[22:23], 2, v[22:23]
	v_add_u32_e32 v60, s71, v90
	v_ashrrev_i32_e32 v61, 31, v60
	v_lshlrev_b64 v[60:61], 2, v[60:61]
	s_waitcnt vmcnt(9)
	ds_write_b32 v92, v32 offset:64
	s_waitcnt vmcnt(8)
	ds_write_b32 v92, v33 offset:328
	s_waitcnt vmcnt(7)
	ds_write_b32 v92, v34 offset:592
	s_waitcnt vmcnt(6)
	ds_write_b32 v92, v35 offset:856
	s_waitcnt vmcnt(5)
	ds_write_b32 v92, v36 offset:1120
	s_waitcnt vmcnt(4)
	ds_write_b32 v92, v26 offset:1384
	s_waitcnt vmcnt(3)
	ds_write_b32 v92, v27 offset:1648
	s_waitcnt vmcnt(2)
	ds_write_b32 v92, v28 offset:1912
	v_add_co_u32_e32 v26, vcc, s20, v22
	v_add_u32_e32 v22, s42, v90
	v_addc_co_u32_e32 v27, vcc, v95, v23, vcc
	v_ashrrev_i32_e32 v23, 31, v22
	v_lshlrev_b64 v[22:23], 2, v[22:23]
	v_add_co_u32_e32 v28, vcc, s20, v22
	v_add_u32_e32 v22, s43, v90
	v_addc_co_u32_e32 v29, vcc, v95, v23, vcc
	v_ashrrev_i32_e32 v23, 31, v22
	v_lshlrev_b64 v[22:23], 2, v[22:23]
	;; [unrolled: 5-line block ×6, first 2 shown]
	v_add_co_u32_e32 v38, vcc, s20, v22
	v_addc_co_u32_e32 v39, vcc, v95, v23, vcc
	global_load_dword v22, v[24:25], off
	global_load_dword v23, v[26:27], off
	s_nop 0
	global_load_dword v24, v[28:29], off
	global_load_dword v25, v[30:31], off
	;; [unrolled: 1-line block ×4, first 2 shown]
	s_nop 0
	global_load_dword v34, v[36:37], off
	global_load_dword v35, v[38:39], off
	v_add_u32_e32 v28, s48, v90
	v_ashrrev_i32_e32 v29, 31, v28
	v_lshlrev_b64 v[28:29], 2, v[28:29]
	v_add_u32_e32 v30, s49, v90
	v_add_co_u32_e32 v28, vcc, s20, v28
	v_ashrrev_i32_e32 v31, 31, v30
	v_addc_co_u32_e32 v29, vcc, v95, v29, vcc
	v_lshlrev_b64 v[30:31], 2, v[30:31]
	v_add_u32_e32 v32, s50, v90
	v_add_co_u32_e32 v30, vcc, s20, v30
	v_ashrrev_i32_e32 v33, 31, v32
	v_addc_co_u32_e32 v31, vcc, v95, v31, vcc
	;; [unrolled: 5-line block ×4, first 2 shown]
	v_lshlrev_b64 v[38:39], 2, v[38:39]
	v_add_co_u32_e32 v42, vcc, s20, v38
	v_add_u32_e32 v38, s53, v90
	v_addc_co_u32_e32 v43, vcc, v95, v39, vcc
	v_ashrrev_i32_e32 v39, 31, v38
	v_lshlrev_b64 v[38:39], 2, v[38:39]
	v_add_co_u32_e32 v44, vcc, s20, v38
	v_add_u32_e32 v38, s54, v90
	v_addc_co_u32_e32 v45, vcc, v95, v39, vcc
	v_ashrrev_i32_e32 v39, 31, v38
	v_lshlrev_b64 v[38:39], 2, v[38:39]
	v_add_co_u32_e32 v46, vcc, s20, v38
	v_add_u32_e32 v38, s55, v90
	v_addc_co_u32_e32 v47, vcc, v95, v39, vcc
	v_ashrrev_i32_e32 v39, 31, v38
	v_lshlrev_b64 v[38:39], 2, v[38:39]
	v_add_co_u32_e32 v48, vcc, s20, v38
	v_addc_co_u32_e32 v49, vcc, v95, v39, vcc
	global_load_dword v38, v[28:29], off
	global_load_dword v39, v[30:31], off
	;; [unrolled: 1-line block ×4, first 2 shown]
	s_nop 0
	global_load_dword v42, v[42:43], off
	s_nop 0
	global_load_dword v43, v[44:45], off
	;; [unrolled: 2-line block ×3, first 2 shown]
	global_load_dword v45, v[48:49], off
	v_add_u32_e32 v28, s56, v90
	v_ashrrev_i32_e32 v29, 31, v28
	v_lshlrev_b64 v[28:29], 2, v[28:29]
	v_add_u32_e32 v30, s57, v90
	v_add_co_u32_e32 v28, vcc, s20, v28
	v_ashrrev_i32_e32 v31, 31, v30
	v_addc_co_u32_e32 v29, vcc, v95, v29, vcc
	v_lshlrev_b64 v[30:31], 2, v[30:31]
	v_add_u32_e32 v32, s58, v90
	v_add_co_u32_e32 v30, vcc, s20, v30
	v_ashrrev_i32_e32 v33, 31, v32
	v_addc_co_u32_e32 v31, vcc, v95, v31, vcc
	;; [unrolled: 5-line block ×4, first 2 shown]
	v_lshlrev_b64 v[46:47], 2, v[46:47]
	v_add_co_u32_e32 v48, vcc, s20, v46
	v_add_u32_e32 v46, s61, v90
	v_addc_co_u32_e32 v49, vcc, v95, v47, vcc
	v_ashrrev_i32_e32 v47, 31, v46
	v_lshlrev_b64 v[46:47], 2, v[46:47]
	v_add_co_u32_e32 v54, vcc, s20, v46
	v_add_u32_e32 v46, s62, v90
	v_addc_co_u32_e32 v55, vcc, v95, v47, vcc
	v_ashrrev_i32_e32 v47, 31, v46
	;; [unrolled: 5-line block ×3, first 2 shown]
	v_lshlrev_b64 v[46:47], 2, v[46:47]
	v_add_co_u32_e32 v58, vcc, s20, v46
	v_addc_co_u32_e32 v59, vcc, v95, v47, vcc
	global_load_dword v46, v[28:29], off
	global_load_dword v47, v[30:31], off
	;; [unrolled: 1-line block ×6, first 2 shown]
	s_nop 0
	global_load_dword v48, v[56:57], off
	global_load_dword v49, v[58:59], off
	v_add_u32_e32 v28, s64, v90
	v_ashrrev_i32_e32 v29, 31, v28
	v_lshlrev_b64 v[28:29], 2, v[28:29]
	v_add_u32_e32 v30, s65, v90
	v_add_co_u32_e32 v28, vcc, s20, v28
	v_ashrrev_i32_e32 v31, 31, v30
	v_addc_co_u32_e32 v29, vcc, v95, v29, vcc
	v_lshlrev_b64 v[30:31], 2, v[30:31]
	v_add_u32_e32 v32, s66, v90
	v_add_co_u32_e32 v30, vcc, s20, v30
	v_ashrrev_i32_e32 v33, 31, v32
	v_addc_co_u32_e32 v31, vcc, v95, v31, vcc
	;; [unrolled: 5-line block ×6, first 2 shown]
	v_lshlrev_b64 v[58:59], 2, v[58:59]
	v_add_co_u32_e32 v58, vcc, s20, v58
	v_addc_co_u32_e32 v59, vcc, v95, v59, vcc
	v_add_co_u32_e32 v60, vcc, s20, v60
	v_addc_co_u32_e32 v61, vcc, v95, v61, vcc
	global_load_dword v62, v[28:29], off
	global_load_dword v63, v[30:31], off
	;; [unrolled: 1-line block ×8, first 2 shown]
	v_add_u32_e32 v28, s72, v90
	v_ashrrev_i32_e32 v29, 31, v28
	v_lshlrev_b64 v[28:29], 2, v[28:29]
	v_add_u32_e32 v30, s73, v90
	v_add_co_u32_e32 v28, vcc, s20, v28
	v_ashrrev_i32_e32 v31, 31, v30
	v_addc_co_u32_e32 v29, vcc, v95, v29, vcc
	v_lshlrev_b64 v[30:31], 2, v[30:31]
	v_add_u32_e32 v32, s74, v90
	v_add_co_u32_e32 v30, vcc, s20, v30
	v_ashrrev_i32_e32 v33, 31, v32
	v_addc_co_u32_e32 v31, vcc, v95, v31, vcc
	;; [unrolled: 5-line block ×7, first 2 shown]
	v_lshlrev_b64 v[60:61], 2, v[60:61]
	v_add_co_u32_e32 v60, vcc, s20, v60
	v_addc_co_u32_e32 v61, vcc, v95, v61, vcc
	global_load_dword v70, v[28:29], off
	global_load_dword v71, v[30:31], off
	;; [unrolled: 1-line block ×8, first 2 shown]
	v_add_u32_e32 v28, s80, v90
	v_ashrrev_i32_e32 v29, 31, v28
	v_lshlrev_b64 v[28:29], 2, v[28:29]
	v_add_u32_e32 v30, s81, v90
	v_add_co_u32_e32 v28, vcc, s20, v28
	v_ashrrev_i32_e32 v31, 31, v30
	v_addc_co_u32_e32 v29, vcc, v95, v29, vcc
	v_lshlrev_b64 v[30:31], 2, v[30:31]
	v_add_u32_e32 v32, s82, v90
	v_add_co_u32_e32 v30, vcc, s20, v30
	v_ashrrev_i32_e32 v33, 31, v32
	v_addc_co_u32_e32 v31, vcc, v95, v31, vcc
	;; [unrolled: 5-line block ×7, first 2 shown]
	v_lshlrev_b64 v[60:61], 2, v[60:61]
	v_add_co_u32_e32 v60, vcc, s20, v60
	v_addc_co_u32_e32 v61, vcc, v95, v61, vcc
	global_load_dword v78, v[28:29], off
	global_load_dword v79, v[30:31], off
	;; [unrolled: 1-line block ×8, first 2 shown]
	v_add_u32_e32 v28, s88, v90
	v_ashrrev_i32_e32 v29, 31, v28
	v_lshlrev_b64 v[28:29], 2, v[28:29]
	v_add_u32_e32 v30, s89, v90
	v_add_co_u32_e32 v28, vcc, s20, v28
	v_ashrrev_i32_e32 v31, 31, v30
	v_addc_co_u32_e32 v29, vcc, v95, v29, vcc
	v_lshlrev_b64 v[30:31], 2, v[30:31]
	v_add_u32_e32 v32, s25, v90
	v_add_co_u32_e32 v30, vcc, s20, v30
	v_ashrrev_i32_e32 v33, 31, v32
	v_addc_co_u32_e32 v31, vcc, v95, v31, vcc
	;; [unrolled: 5-line block ×5, first 2 shown]
	v_lshlrev_b64 v[56:57], 2, v[56:57]
	v_add_co_u32_e32 v56, vcc, s20, v56
	v_addc_co_u32_e32 v57, vcc, v95, v57, vcc
	global_load_dword v86, v[28:29], off
	global_load_dword v87, v[30:31], off
	;; [unrolled: 1-line block ×6, first 2 shown]
	s_waitcnt vmcnt(55)
	ds_write_b32 v92, v20 offset:2176
	s_waitcnt vmcnt(54)
	ds_write_b32 v92, v21 offset:2440
	s_waitcnt vmcnt(53)
	ds_write_b32 v92, v22 offset:2704
	s_waitcnt vmcnt(52)
	ds_write_b32 v92, v23 offset:2968
	s_waitcnt vmcnt(51)
	ds_write_b32 v92, v24 offset:3232
	s_waitcnt vmcnt(50)
	ds_write_b32 v92, v25 offset:3496
	s_waitcnt vmcnt(49)
	ds_write_b32 v92, v26 offset:3760
	s_waitcnt vmcnt(48)
	ds_write_b32 v92, v27 offset:4024
	ds_read_b64 v[36:37], v93 offset:64
	ds_read_b64 v[32:33], v93 offset:96
	ds_read_b64 v[30:31], v93 offset:128
	ds_read_b64 v[28:29], v93 offset:160
	ds_read_b64 v[26:27], v93 offset:192
	ds_read_b64 v[24:25], v93 offset:224
	ds_read_b64 v[22:23], v93 offset:256
	ds_read_b64 v[20:21], v93 offset:288
	s_waitcnt vmcnt(47)
	ds_write_b32 v92, v34 offset:64
	s_waitcnt vmcnt(46)
	ds_write_b32 v92, v35 offset:328
	s_waitcnt vmcnt(45)
	ds_write_b32 v92, v38 offset:592
	s_waitcnt vmcnt(44)
	ds_write_b32 v92, v39 offset:856
	s_waitcnt vmcnt(43)
	ds_write_b32 v92, v40 offset:1120
	s_waitcnt vmcnt(42)
	ds_write_b32 v92, v41 offset:1384
	s_waitcnt vmcnt(41)
	ds_write_b32 v92, v42 offset:1648
	s_waitcnt vmcnt(40)
	ds_write_b32 v92, v43 offset:1912
	s_waitcnt vmcnt(39)
	ds_write_b32 v92, v44 offset:2176
	s_waitcnt vmcnt(38)
	ds_write_b32 v92, v45 offset:2440
	s_waitcnt vmcnt(37)
	ds_write_b32 v92, v46 offset:2704
	s_waitcnt vmcnt(36)
	ds_write_b32 v92, v47 offset:2968
	s_waitcnt vmcnt(35)
	ds_write_b32 v92, v50 offset:3232
	s_waitcnt vmcnt(34)
	ds_write_b32 v92, v51 offset:3496
	s_waitcnt vmcnt(33)
	ds_write_b32 v92, v52 offset:3760
	s_waitcnt vmcnt(32)
	ds_write_b32 v92, v53 offset:4024
	ds_read_b64 v[52:53], v93 offset:64
	ds_read_b64 v[50:51], v93 offset:96
	ds_read_b64 v[46:47], v93 offset:128
	ds_read_b64 v[44:45], v93 offset:160
	ds_read_b64 v[42:43], v93 offset:192
	ds_read_b64 v[40:41], v93 offset:224
	ds_read_b64 v[38:39], v93 offset:256
	ds_read_b64 v[34:35], v93 offset:288
	s_waitcnt vmcnt(31)
	ds_write_b32 v92, v48 offset:64
	s_waitcnt vmcnt(30)
	ds_write_b32 v92, v49 offset:328
	s_waitcnt vmcnt(29)
	ds_write_b32 v92, v62 offset:592
	s_waitcnt vmcnt(28)
	ds_write_b32 v92, v63 offset:856
	s_waitcnt vmcnt(27)
	ds_write_b32 v92, v64 offset:1120
	s_waitcnt vmcnt(26)
	ds_write_b32 v92, v65 offset:1384
	s_waitcnt vmcnt(25)
	ds_write_b32 v92, v66 offset:1648
	s_waitcnt vmcnt(24)
	ds_write_b32 v92, v67 offset:1912
	;; [unrolled: 40-line block ×3, first 2 shown]
	s_waitcnt vmcnt(7)
	ds_write_b32 v92, v84 offset:2176
	s_waitcnt vmcnt(6)
	ds_write_b32 v92, v85 offset:2440
	;; [unrolled: 2-line block ×8, first 2 shown]
	ds_read_b64 v[82:83], v93 offset:64
	ds_read_b64 v[80:81], v93 offset:96
	;; [unrolled: 1-line block ×8, first 2 shown]
	s_andn2_b64 vcc, exec, s[4:5]
	v_mov_b32_e32 v84, 0
	v_mov_b32_e32 v85, 0
	s_cbranch_vccnz .LBB118_26
; %bb.24:                               ;   in Loop: Header=BB118_23 Depth=1
	ds_read_b32 v86, v91
	v_mov_b32_e32 v85, 0
	v_mov_b32_e32 v84, 0
	s_waitcnt lgkmcnt(0)
	v_cmp_gt_i32_e32 vcc, 0, v86
	s_cbranch_vccnz .LBB118_26
; %bb.25:                               ;   in Loop: Header=BB118_23 Depth=1
	v_mul_lo_u32 v84, v86, s21
	v_add_u32_e32 v84, v94, v84
	v_ashrrev_i32_e32 v85, 31, v84
	v_lshlrev_b64 v[84:85], 2, v[84:85]
	v_mov_b32_e32 v86, s30
	v_add_co_u32_e32 v84, vcc, s27, v84
	v_addc_co_u32_e32 v85, vcc, v86, v85, vcc
	global_load_dwordx2 v[84:85], v[84:85], off
.LBB118_26:                             ;   in Loop: Header=BB118_23 Depth=1
	s_waitcnt vmcnt(0)
	v_cvt_f16_f32_e32 v84, v84
	v_cvt_f16_f32_e32 v85, v85
	s_andn2_b64 vcc, exec, s[6:7]
	v_mov_b32_e32 v86, 0
	v_mov_b32_e32 v87, 0
	v_pack_b32_f16 v84, v84, v85
	ds_write_b32 v92, v84 offset:64
	v_mov_b32_e32 v84, 0
	s_cbranch_vccnz .LBB118_29
; %bb.27:                               ;   in Loop: Header=BB118_23 Depth=1
	ds_read_b32 v85, v91 offset:4
	v_mov_b32_e32 v87, 0
	v_mov_b32_e32 v86, 0
	s_waitcnt lgkmcnt(0)
	v_cmp_gt_i32_e32 vcc, 0, v85
	s_cbranch_vccnz .LBB118_29
; %bb.28:                               ;   in Loop: Header=BB118_23 Depth=1
	v_mul_lo_u32 v85, v85, s21
	v_add_u32_e32 v85, s16, v85
	v_add_u32_e32 v86, v85, v94
	v_ashrrev_i32_e32 v87, 31, v86
	v_lshlrev_b64 v[86:87], 2, v[86:87]
	v_mov_b32_e32 v85, s30
	v_add_co_u32_e32 v86, vcc, s27, v86
	v_addc_co_u32_e32 v87, vcc, v85, v87, vcc
	global_load_dwordx2 v[86:87], v[86:87], off
.LBB118_29:                             ;   in Loop: Header=BB118_23 Depth=1
	s_waitcnt vmcnt(0)
	v_cvt_f16_f32_e32 v85, v86
	v_cvt_f16_f32_e32 v86, v87
	s_andn2_b64 vcc, exec, s[10:11]
	v_pack_b32_f16 v85, v85, v86
	ds_write_b32 v92, v85 offset:328
	v_mov_b32_e32 v85, 0
	s_cbranch_vccnz .LBB118_32
; %bb.30:                               ;   in Loop: Header=BB118_23 Depth=1
	ds_read_b32 v86, v91 offset:8
	v_mov_b32_e32 v85, 0
	v_mov_b32_e32 v84, 0
	s_waitcnt lgkmcnt(0)
	v_cmp_gt_i32_e32 vcc, 0, v86
	s_cbranch_vccnz .LBB118_32
; %bb.31:                               ;   in Loop: Header=BB118_23 Depth=1
	v_mul_lo_u32 v84, v86, s21
	v_add_u32_e32 v84, s31, v84
	v_add_u32_e32 v84, v84, v94
	v_ashrrev_i32_e32 v85, 31, v84
	v_lshlrev_b64 v[84:85], 2, v[84:85]
	v_mov_b32_e32 v86, s30
	v_add_co_u32_e32 v84, vcc, s27, v84
	v_addc_co_u32_e32 v85, vcc, v86, v85, vcc
	global_load_dwordx2 v[84:85], v[84:85], off
.LBB118_32:                             ;   in Loop: Header=BB118_23 Depth=1
	s_waitcnt vmcnt(0)
	v_cvt_f16_f32_e32 v84, v84
	v_cvt_f16_f32_e32 v85, v85
	s_andn2_b64 vcc, exec, s[18:19]
	v_pack_b32_f16 v84, v84, v85
	ds_write_b32 v92, v84 offset:592
	v_mov_b32_e32 v84, 0
	v_mov_b32_e32 v85, 0
	s_cbranch_vccnz .LBB118_22
; %bb.33:                               ;   in Loop: Header=BB118_23 Depth=1
	ds_read_b32 v86, v91 offset:12
	v_mov_b32_e32 v85, 0
	v_mov_b32_e32 v84, 0
	s_waitcnt lgkmcnt(0)
	v_cmp_gt_i32_e32 vcc, 0, v86
	s_cbranch_vccnz .LBB118_22
; %bb.34:                               ;   in Loop: Header=BB118_23 Depth=1
	v_mul_lo_u32 v84, v86, s21
	v_add_u32_e32 v84, s28, v84
	v_add_u32_e32 v84, v84, v94
	v_ashrrev_i32_e32 v85, 31, v84
	v_lshlrev_b64 v[84:85], 2, v[84:85]
	v_mov_b32_e32 v86, s30
	v_add_co_u32_e32 v84, vcc, s27, v84
	v_addc_co_u32_e32 v85, vcc, v86, v85, vcc
	global_load_dwordx2 v[84:85], v[84:85], off
	s_branch .LBB118_22
.LBB118_35:
	s_or_b64 exec, exec, s[14:15]
.LBB118_36:
	s_or_b64 exec, exec, s[0:1]
	v_mul_u32_u24_e32 v18, 0x708, v89
	s_movk_i32 s4, 0x100
	v_lshlrev_b32_e32 v19, 2, v88
	v_add3_u32 v18, s4, v18, v19
	v_and_b32_e32 v20, 0x3f0, v16
	v_add_u32_e32 v21, v18, v20
	s_barrier
	v_add_u32_e32 v19, 64, v18
	ds_write2_b32 v21, v8, v9 offset0:16 offset1:17
	v_or_b32_e32 v9, 12, v16
	v_add_u32_e32 v8, v19, v20
	v_and_b32_e32 v9, 0x3fc, v9
	ds_write_b32 v8, v10 offset:8
	v_add_u32_e32 v10, v18, v9
	ds_write_b32 v10, v11 offset:64
	ds_write2_b32 v8, v4, v5 offset0:16 offset1:17
	ds_write_b32 v8, v6 offset:72
	v_add_u32_e32 v4, v19, v9
	v_cmp_gt_u32_e32 vcc, 4, v17
	ds_write_b32 v4, v7 offset:64
	ds_write2_b32 v8, v0, v1 offset0:32 offset1:33
	ds_write_b32 v8, v2 offset:136
	ds_write_b32 v4, v3 offset:128
	ds_write2_b32 v8, v12, v13 offset0:48 offset1:49
	ds_write_b32 v8, v14 offset:200
	ds_write_b32 v4, v15 offset:192
	s_waitcnt lgkmcnt(0)
	s_barrier
	s_and_saveexec_b64 s[0:1], vcc
	s_cbranch_execz .LBB118_39
; %bb.37:
	v_mov_b32_e32 v0, 0x100
	v_lshl_add_u32 v0, v17, 2, v0
	ds_read_b32 v0, v0
	v_or_b32_e32 v1, s9, v17
	v_cmp_gt_i32_e64 s[0:1], s13, v1
	s_waitcnt lgkmcnt(0)
	v_cmp_lt_i32_e32 vcc, -1, v0
	s_and_b64 s[0:1], vcc, s[0:1]
	s_and_b64 exec, exec, s[0:1]
	s_cbranch_execz .LBB118_39
; %bb.38:
	v_lshlrev_b32_e32 v2, 2, v16
	v_mul_u32_u24_e32 v3, 0x708, v17
	v_add3_u32 v8, s4, v2, v3
	ds_read2_b32 v[2:3], v8 offset0:16 offset1:80
	ds_read2_b32 v[4:5], v8 offset0:144 offset1:208
	v_add_u32_e32 v6, 64, v8
	ds_read2st64_b32 v[6:7], v6 offset0:4 offset1:5
	s_mul_hi_i32 s1, s26, s8
	s_waitcnt lgkmcnt(2)
	v_add_f32_e32 v2, 0, v2
	v_add_f32_e32 v2, v2, v3
	ds_read_b32 v3, v8 offset:1600
	s_waitcnt lgkmcnt(2)
	v_add_f32_e32 v2, v2, v4
	s_mul_i32 s0, s26, s8
	v_add_f32_e32 v2, v2, v5
	s_lshl_b64 s[0:1], s[0:1], 2
	s_waitcnt lgkmcnt(1)
	v_add_f32_e32 v2, v2, v6
	s_mul_hi_i32 s7, s9, s17
	s_mul_i32 s6, s9, s17
	s_add_u32 s2, s2, s0
	v_add_f32_e32 v2, v2, v7
	v_add_u32_e32 v1, s23, v16
	s_addc_u32 s3, s3, s1
	s_lshl_b64 s[0:1], s[6:7], 2
	s_waitcnt lgkmcnt(0)
	v_add_f32_e32 v2, v2, v3
	v_mul_lo_u32 v0, v0, s22
	v_mul_lo_u32 v3, v17, s17
	s_add_u32 s0, s2, s0
	v_add3_u32 v0, v1, v3, v0
	v_mov_b32_e32 v1, 0
	s_addc_u32 s1, s3, s1
	v_lshlrev_b64 v[0:1], 2, v[0:1]
	v_mov_b32_e32 v3, s1
	v_add_co_u32_e32 v0, vcc, s0, v0
	v_addc_co_u32_e32 v1, vcc, v3, v1, vcc
	global_store_dword v[0:1], v2, off
.LBB118_39:
	s_endpgm
	.section	.rodata,"a",@progbits
	.p2align	6, 0x0
	.amdhsa_kernel _ZL9mul_mat_fI7__half2Li64ELi4ELi7ELb1EEvPKT_PKfPKiPfiiiiiiiiiiiiiiii
		.amdhsa_group_segment_fixed_size 256
		.amdhsa_private_segment_fixed_size 0
		.amdhsa_kernarg_size 352
		.amdhsa_user_sgpr_count 6
		.amdhsa_user_sgpr_private_segment_buffer 1
		.amdhsa_user_sgpr_dispatch_ptr 0
		.amdhsa_user_sgpr_queue_ptr 0
		.amdhsa_user_sgpr_kernarg_segment_ptr 1
		.amdhsa_user_sgpr_dispatch_id 0
		.amdhsa_user_sgpr_flat_scratch_init 0
		.amdhsa_user_sgpr_kernarg_preload_length 0
		.amdhsa_user_sgpr_kernarg_preload_offset 0
		.amdhsa_user_sgpr_private_segment_size 0
		.amdhsa_uses_dynamic_stack 0
		.amdhsa_system_sgpr_private_segment_wavefront_offset 0
		.amdhsa_system_sgpr_workgroup_id_x 1
		.amdhsa_system_sgpr_workgroup_id_y 1
		.amdhsa_system_sgpr_workgroup_id_z 1
		.amdhsa_system_sgpr_workgroup_info 0
		.amdhsa_system_vgpr_workitem_id 2
		.amdhsa_next_free_vgpr 102
		.amdhsa_next_free_sgpr 93
		.amdhsa_accum_offset 104
		.amdhsa_reserve_vcc 1
		.amdhsa_reserve_flat_scratch 0
		.amdhsa_float_round_mode_32 0
		.amdhsa_float_round_mode_16_64 0
		.amdhsa_float_denorm_mode_32 3
		.amdhsa_float_denorm_mode_16_64 3
		.amdhsa_dx10_clamp 1
		.amdhsa_ieee_mode 1
		.amdhsa_fp16_overflow 0
		.amdhsa_tg_split 0
		.amdhsa_exception_fp_ieee_invalid_op 0
		.amdhsa_exception_fp_denorm_src 0
		.amdhsa_exception_fp_ieee_div_zero 0
		.amdhsa_exception_fp_ieee_overflow 0
		.amdhsa_exception_fp_ieee_underflow 0
		.amdhsa_exception_fp_ieee_inexact 0
		.amdhsa_exception_int_div_zero 0
	.end_amdhsa_kernel
	.section	.text._ZL9mul_mat_fI7__half2Li64ELi4ELi7ELb1EEvPKT_PKfPKiPfiiiiiiiiiiiiiiii,"axG",@progbits,_ZL9mul_mat_fI7__half2Li64ELi4ELi7ELb1EEvPKT_PKfPKiPfiiiiiiiiiiiiiiii,comdat
.Lfunc_end118:
	.size	_ZL9mul_mat_fI7__half2Li64ELi4ELi7ELb1EEvPKT_PKfPKiPfiiiiiiiiiiiiiiii, .Lfunc_end118-_ZL9mul_mat_fI7__half2Li64ELi4ELi7ELb1EEvPKT_PKfPKiPfiiiiiiiiiiiiiiii
                                        ; -- End function
	.section	.AMDGPU.csdata,"",@progbits
; Kernel info:
; codeLenInByte = 6240
; NumSgprs: 97
; NumVgprs: 102
; NumAgprs: 0
; TotalNumVgprs: 102
; ScratchSize: 0
; MemoryBound: 0
; FloatMode: 240
; IeeeMode: 1
; LDSByteSize: 256 bytes/workgroup (compile time only)
; SGPRBlocks: 12
; VGPRBlocks: 12
; NumSGPRsForWavesPerEU: 97
; NumVGPRsForWavesPerEU: 102
; AccumOffset: 104
; Occupancy: 4
; WaveLimiterHint : 0
; COMPUTE_PGM_RSRC2:SCRATCH_EN: 0
; COMPUTE_PGM_RSRC2:USER_SGPR: 6
; COMPUTE_PGM_RSRC2:TRAP_HANDLER: 0
; COMPUTE_PGM_RSRC2:TGID_X_EN: 1
; COMPUTE_PGM_RSRC2:TGID_Y_EN: 1
; COMPUTE_PGM_RSRC2:TGID_Z_EN: 1
; COMPUTE_PGM_RSRC2:TIDIG_COMP_CNT: 2
; COMPUTE_PGM_RSRC3_GFX90A:ACCUM_OFFSET: 25
; COMPUTE_PGM_RSRC3_GFX90A:TG_SPLIT: 0
	.section	.text._ZL9mul_mat_fI7__half2Li64ELi4ELi7ELb0EEvPKT_PKfPKiPfiiiiiiiiiiiiiiii,"axG",@progbits,_ZL9mul_mat_fI7__half2Li64ELi4ELi7ELb0EEvPKT_PKfPKiPfiiiiiiiiiiiiiiii,comdat
	.globl	_ZL9mul_mat_fI7__half2Li64ELi4ELi7ELb0EEvPKT_PKfPKiPfiiiiiiiiiiiiiiii ; -- Begin function _ZL9mul_mat_fI7__half2Li64ELi4ELi7ELb0EEvPKT_PKfPKiPfiiiiiiiiiiiiiiii
	.p2align	8
	.type	_ZL9mul_mat_fI7__half2Li64ELi4ELi7ELb0EEvPKT_PKfPKiPfiiiiiiiiiiiiiiii,@function
_ZL9mul_mat_fI7__half2Li64ELi4ELi7ELb0EEvPKT_PKfPKiPfiiiiiiiiiiiiiiii: ; @_ZL9mul_mat_fI7__half2Li64ELi4ELi7ELb0EEvPKT_PKfPKiPfiiiiiiiiiiiiiiii
; %bb.0:
	s_load_dwordx8 s[12:19], s[4:5], 0x40
	s_load_dword s9, s[4:5], 0x20
	s_load_dwordx4 s[0:3], s[4:5], 0x2c
	v_bfe_u32 v84, v0, 10, 10
	v_lshlrev_b32_e32 v87, 6, v84
	v_and_b32_e32 v85, 0x3ff, v0
	s_waitcnt lgkmcnt(0)
	s_abs_i32 s27, s12
	s_abs_i32 s26, s16
	v_cvt_f32_u32_e32 v1, s27
	v_cvt_f32_u32_e32 v2, s26
	v_add_u32_e32 v89, v87, v85
	s_mov_b32 s22, 0
	v_rcp_iflag_f32_e32 v1, v1
	v_rcp_iflag_f32_e32 v2, v2
	s_ashr_i32 s28, s8, 31
	v_cmp_le_i32_e32 vcc, s9, v89
	v_mul_f32_e32 v1, 0x4f7ffffe, v1
	v_mul_f32_e32 v2, 0x4f7ffffe, v2
	v_cvt_u32_f32_e32 v1, v1
	v_cvt_u32_f32_e32 v2, v2
	v_and_b32_e32 v88, 15, v85
	v_readfirstlane_b32 s21, v1
	v_readfirstlane_b32 s20, v2
	s_and_saveexec_b64 s[10:11], vcc
	s_xor_b64 s[10:11], exec, s[10:11]
; %bb.1:
	v_and_b32_e32 v88, 15, v85
                                        ; implicit-def: $vgpr89
; %bb.2:
	s_or_saveexec_b64 s[24:25], s[10:11]
	s_load_dwordx2 s[10:11], s[4:5], 0x18
	s_lshl_b32 s3, s6, 6
	v_mov_b32_e32 v15, s22
	v_lshlrev_b32_e32 v86, 2, v85
	v_mov_b32_e32 v14, s22
	v_mov_b32_e32 v13, s22
	;; [unrolled: 1-line block ×15, first 2 shown]
	s_xor_b64 exec, exec, s[24:25]
	s_cbranch_execz .LBB119_6
; %bb.3:
	s_sub_i32 s6, 0, s27
	s_sub_i32 s22, 0, s26
	s_mul_i32 s6, s6, s21
	s_mul_i32 s22, s22, s20
	s_mul_hi_u32 s6, s21, s6
	s_mul_hi_u32 s22, s20, s22
	s_abs_i32 s29, s7
	s_add_i32 s6, s21, s6
	s_add_i32 s31, s20, s22
	s_load_dwordx4 s[20:23], s[4:5], 0x0
	s_mul_hi_u32 s4, s29, s6
	s_ashr_i32 s6, s7, 31
	s_ashr_i32 s12, s12, 31
	s_xor_b32 s6, s6, s12
	s_mul_i32 s12, s4, s27
	s_abs_i32 s30, s8
	s_sub_i32 s12, s29, s12
	s_mul_hi_u32 s5, s30, s31
	s_ashr_i32 s16, s16, 31
	s_add_i32 s29, s4, 1
	s_sub_i32 s31, s12, s27
	s_cmp_ge_u32 s12, s27
	s_cselect_b32 s4, s29, s4
	s_cselect_b32 s12, s31, s12
	s_add_i32 s29, s4, 1
	s_cmp_ge_u32 s12, s27
	s_cselect_b32 s4, s29, s4
	s_mul_i32 s12, s5, s26
	s_xor_b32 s4, s4, s6
	s_sub_i32 s12, s30, s12
	s_sub_i32 s6, s4, s6
	s_xor_b32 s4, s28, s16
	s_add_i32 s16, s5, 1
	s_sub_i32 s27, s12, s26
	s_cmp_ge_u32 s12, s26
	s_cselect_b32 s5, s16, s5
	s_cselect_b32 s12, s27, s12
	s_add_i32 s16, s5, 1
	s_cmp_ge_u32 s12, s26
	s_cselect_b32 s5, s16, s5
	s_xor_b32 s5, s5, s4
	s_sub_i32 s4, s5, s4
	s_mul_hi_i32 s5, s4, s17
	s_mul_i32 s4, s4, s17
	s_mul_i32 s12, s6, s13
	s_ashr_i32 s13, s12, 31
	s_lshl_b64 s[26:27], s[4:5], 2
	s_mul_i32 s16, s3, s0
	s_waitcnt lgkmcnt(0)
	s_add_u32 s6, s20, s26
	s_addc_u32 s29, s21, s27
	s_ashr_i32 s17, s16, 31
	s_lshl_b64 s[16:17], s[16:17], 2
	s_lshl_b64 s[12:13], s[12:13], 2
	s_mul_hi_i32 s5, s18, s8
	s_mul_i32 s4, s18, s8
	s_add_u32 s18, s12, s16
	s_addc_u32 s30, s13, s17
	s_mul_i32 s28, s7, s14
	s_add_u32 s6, s18, s6
	s_addc_u32 s84, s30, s29
	s_ashr_i32 s29, s28, 31
	s_lshl_b64 s[16:17], s[4:5], 2
	s_lshl_b64 s[4:5], s[28:29], 2
	s_add_u32 s22, s22, s4
	s_addc_u32 s23, s23, s5
	s_add_u32 s14, s22, s16
	s_movk_i32 s4, 0x1080
	s_addc_u32 s85, s23, s17
	v_mad_u32_u24 v0, v84, s4, 0
	s_ashr_i32 s5, s0, 31
	s_mov_b32 s4, s0
	v_lshrrev_b32_e32 v2, 1, v85
	s_ashr_i32 s13, s1, 31
	s_lshl_b64 s[4:5], s[4:5], 2
	v_mul_u32_u24_e32 v1, 0x108, v88
	v_and_b32_e32 v2, 0x1f8, v2
	s_add_u32 s18, s18, s26
	v_add_u32_e32 v90, v0, v86
	v_add3_u32 v91, v0, v1, v2
	v_lshlrev_b32_e32 v0, 8, v84
	s_addc_u32 s26, s30, s27
	v_mov_b32_e32 v1, s26
	v_add_co_u32_e32 v0, vcc, s18, v0
	v_addc_co_u32_e32 v1, vcc, 0, v1, vcc
	v_add_co_u32_e32 v0, vcc, v0, v86
	v_addc_co_u32_e32 v1, vcc, 0, v1, vcc
	v_mov_b32_e32 v2, s21
	v_add_co_u32_e32 v16, vcc, s20, v0
	v_addc_co_u32_e32 v17, vcc, v2, v1, vcc
	v_lshlrev_b32_e32 v0, 9, v84
	v_mov_b32_e32 v1, s17
	v_add_co_u32_e32 v0, vcc, s16, v0
	v_addc_co_u32_e32 v1, vcc, 0, v1, vcc
	v_lshlrev_b32_e32 v2, 3, v85
	v_add_co_u32_e32 v0, vcc, v0, v2
	s_mov_b32 s12, s1
	v_addc_co_u32_e32 v1, vcc, 0, v1, vcc
	s_lshl_b64 s[12:13], s[12:13], 3
	v_mov_b32_e32 v2, s23
	v_add_co_u32_e32 v18, vcc, s22, v0
	v_mov_b32_e32 v92, 0
	v_addc_co_u32_e32 v19, vcc, v2, v1, vcc
	s_mul_i32 s16, s0, 63
	s_lshl_b32 s17, s1, 1
	s_mul_i32 s18, s1, 3
	s_lshl_b32 s20, s0, 1
	;; [unrolled: 2-line block ×3, first 2 shown]
	s_mul_i32 s23, s0, 5
	s_mul_i32 s26, s0, 6
	;; [unrolled: 1-line block ×3, first 2 shown]
	s_lshl_b32 s28, s0, 3
	s_mul_i32 s29, s0, 9
	s_mul_i32 s30, s0, 10
	;; [unrolled: 1-line block ×7, first 2 shown]
	s_lshl_b32 s37, s0, 4
	s_mul_i32 s38, s0, 17
	s_mul_i32 s39, s0, 18
	;; [unrolled: 1-line block ×15, first 2 shown]
	s_lshl_b32 s53, s0, 5
	s_mul_i32 s54, s0, 33
	s_mul_i32 s55, s0, 34
	;; [unrolled: 1-line block ×30, first 2 shown]
	s_mov_b64 s[0:1], 0
	v_mov_b32_e32 v93, s5
	v_mov_b32_e32 v94, s84
	;; [unrolled: 1-line block ×20, first 2 shown]
.LBB119_4:                              ; =>This Inner Loop Header: Depth=1
	global_load_dword v20, v[16:17], off
	v_add_u32_e32 v36, s37, v89
	v_ashrrev_i32_e32 v37, 31, v36
	v_lshlrev_b64 v[36:37], 2, v[36:37]
	v_add_u32_e32 v52, s53, v89
	v_ashrrev_i32_e32 v53, 31, v52
	v_lshlrev_b64 v[52:53], 2, v[52:53]
	;; [unrolled: 3-line block ×3, first 2 shown]
	s_waitcnt vmcnt(0)
	ds_write_b32 v90, v20
	v_add_co_u32_e32 v20, vcc, s4, v16
	v_addc_co_u32_e32 v21, vcc, v17, v93, vcc
	global_load_dword v20, v[20:21], off
	s_waitcnt vmcnt(0)
	ds_write_b32 v90, v20 offset:264
	v_add_u32_e32 v20, s20, v89
	v_ashrrev_i32_e32 v21, 31, v20
	v_lshlrev_b64 v[20:21], 2, v[20:21]
	v_add_co_u32_e32 v20, vcc, s6, v20
	v_addc_co_u32_e32 v21, vcc, v94, v21, vcc
	global_load_dword v20, v[20:21], off
	s_waitcnt vmcnt(0)
	ds_write_b32 v90, v20 offset:528
	v_add_u32_e32 v20, s21, v89
	v_ashrrev_i32_e32 v21, 31, v20
	v_lshlrev_b64 v[20:21], 2, v[20:21]
	;; [unrolled: 8-line block ×14, first 2 shown]
	v_add_co_u32_e32 v20, vcc, s6, v20
	v_addc_co_u32_e32 v21, vcc, v94, v21, vcc
	global_load_dword v20, v[20:21], off
	v_add_co_u32_e32 v36, vcc, s6, v36
	v_addc_co_u32_e32 v37, vcc, v94, v37, vcc
	s_waitcnt vmcnt(0)
	ds_write_b32 v90, v20 offset:3960
	ds_read_b64 v[34:35], v91
	ds_read_b64 v[32:33], v91 offset:32
	ds_read_b64 v[30:31], v91 offset:64
	ds_read_b64 v[28:29], v91 offset:96
	ds_read_b64 v[26:27], v91 offset:128
	ds_read_b64 v[24:25], v91 offset:160
	ds_read_b64 v[22:23], v91 offset:192
	ds_read_b64 v[20:21], v91 offset:224
	global_load_dword v36, v[36:37], off
	s_waitcnt vmcnt(0)
	ds_write_b32 v90, v36
	v_add_u32_e32 v36, s38, v89
	v_ashrrev_i32_e32 v37, 31, v36
	v_lshlrev_b64 v[36:37], 2, v[36:37]
	v_add_co_u32_e32 v36, vcc, s6, v36
	v_addc_co_u32_e32 v37, vcc, v94, v37, vcc
	global_load_dword v36, v[36:37], off
	s_waitcnt vmcnt(0)
	ds_write_b32 v90, v36 offset:264
	v_add_u32_e32 v36, s39, v89
	v_ashrrev_i32_e32 v37, 31, v36
	v_lshlrev_b64 v[36:37], 2, v[36:37]
	v_add_co_u32_e32 v36, vcc, s6, v36
	v_addc_co_u32_e32 v37, vcc, v94, v37, vcc
	global_load_dword v36, v[36:37], off
	s_waitcnt vmcnt(0)
	ds_write_b32 v90, v36 offset:528
	;; [unrolled: 8-line block ×14, first 2 shown]
	v_add_u32_e32 v36, s52, v89
	v_ashrrev_i32_e32 v37, 31, v36
	v_lshlrev_b64 v[36:37], 2, v[36:37]
	v_add_co_u32_e32 v36, vcc, s6, v36
	v_addc_co_u32_e32 v37, vcc, v94, v37, vcc
	global_load_dword v36, v[36:37], off
	v_add_co_u32_e32 v52, vcc, s6, v52
	v_addc_co_u32_e32 v53, vcc, v94, v53, vcc
	s_waitcnt vmcnt(0)
	ds_write_b32 v90, v36 offset:3960
	ds_read_b64 v[50:51], v91
	ds_read_b64 v[48:49], v91 offset:32
	ds_read_b64 v[46:47], v91 offset:64
	;; [unrolled: 1-line block ×7, first 2 shown]
	global_load_dword v52, v[52:53], off
	s_waitcnt vmcnt(0)
	ds_write_b32 v90, v52
	v_add_u32_e32 v52, s54, v89
	v_ashrrev_i32_e32 v53, 31, v52
	v_lshlrev_b64 v[52:53], 2, v[52:53]
	v_add_co_u32_e32 v52, vcc, s6, v52
	v_addc_co_u32_e32 v53, vcc, v94, v53, vcc
	global_load_dword v52, v[52:53], off
	s_waitcnt vmcnt(0)
	ds_write_b32 v90, v52 offset:264
	v_add_u32_e32 v52, s55, v89
	v_ashrrev_i32_e32 v53, 31, v52
	v_lshlrev_b64 v[52:53], 2, v[52:53]
	v_add_co_u32_e32 v52, vcc, s6, v52
	v_addc_co_u32_e32 v53, vcc, v94, v53, vcc
	global_load_dword v52, v[52:53], off
	s_waitcnt vmcnt(0)
	ds_write_b32 v90, v52 offset:528
	;; [unrolled: 8-line block ×14, first 2 shown]
	v_add_u32_e32 v52, s68, v89
	v_ashrrev_i32_e32 v53, 31, v52
	v_lshlrev_b64 v[52:53], 2, v[52:53]
	v_add_co_u32_e32 v52, vcc, s6, v52
	v_addc_co_u32_e32 v53, vcc, v94, v53, vcc
	global_load_dword v52, v[52:53], off
	v_add_co_u32_e32 v68, vcc, s6, v68
	v_addc_co_u32_e32 v69, vcc, v94, v69, vcc
	s_waitcnt vmcnt(0)
	ds_write_b32 v90, v52 offset:3960
	ds_read_b64 v[66:67], v91
	ds_read_b64 v[64:65], v91 offset:32
	ds_read_b64 v[62:63], v91 offset:64
	;; [unrolled: 1-line block ×7, first 2 shown]
	global_load_dword v68, v[68:69], off
	s_waitcnt vmcnt(0)
	ds_write_b32 v90, v68
	v_add_u32_e32 v68, s70, v89
	v_ashrrev_i32_e32 v69, 31, v68
	v_lshlrev_b64 v[68:69], 2, v[68:69]
	v_add_co_u32_e32 v68, vcc, s6, v68
	v_addc_co_u32_e32 v69, vcc, v94, v69, vcc
	global_load_dword v68, v[68:69], off
	s_waitcnt vmcnt(0)
	ds_write_b32 v90, v68 offset:264
	v_add_u32_e32 v68, s71, v89
	v_ashrrev_i32_e32 v69, 31, v68
	v_lshlrev_b64 v[68:69], 2, v[68:69]
	v_add_co_u32_e32 v68, vcc, s6, v68
	v_addc_co_u32_e32 v69, vcc, v94, v69, vcc
	global_load_dword v68, v[68:69], off
	s_waitcnt vmcnt(0)
	ds_write_b32 v90, v68 offset:528
	;; [unrolled: 8-line block ×15, first 2 shown]
	ds_read_b64 v[82:83], v91
	ds_read_b64 v[80:81], v91 offset:32
	ds_read_b64 v[78:79], v91 offset:64
	;; [unrolled: 1-line block ×7, first 2 shown]
	global_load_dwordx2 v[98:99], v[18:19], off
	s_waitcnt vmcnt(0)
	v_cvt_f16_f32_e32 v97, v98
	v_cvt_f16_f32_e32 v98, v99
	v_pack_b32_f16 v97, v97, v98
	v_add_co_u32_e32 v98, vcc, s12, v18
	v_addc_co_u32_e32 v99, vcc, v19, v95, vcc
	global_load_dwordx2 v[98:99], v[98:99], off
	ds_write_b32 v90, v97
	s_waitcnt vmcnt(0)
	v_cvt_f16_f32_e32 v97, v98
	v_cvt_f16_f32_e32 v98, v99
	v_pack_b32_f16 v97, v97, v98
	v_add_u32_e32 v98, s17, v89
	v_ashrrev_i32_e32 v99, 31, v98
	v_lshlrev_b64 v[98:99], 3, v[98:99]
	v_add_co_u32_e32 v98, vcc, s14, v98
	v_addc_co_u32_e32 v99, vcc, v96, v99, vcc
	global_load_dwordx2 v[98:99], v[98:99], off
	ds_write_b32 v90, v97 offset:264
	s_waitcnt vmcnt(0)
	v_cvt_f16_f32_e32 v97, v98
	v_cvt_f16_f32_e32 v98, v99
	v_pack_b32_f16 v97, v97, v98
	v_add_u32_e32 v98, s18, v89
	v_ashrrev_i32_e32 v99, 31, v98
	v_lshlrev_b64 v[98:99], 3, v[98:99]
	v_add_co_u32_e32 v98, vcc, s14, v98
	v_addc_co_u32_e32 v99, vcc, v96, v99, vcc
	global_load_dwordx2 v[98:99], v[98:99], off
	ds_write_b32 v90, v97 offset:528
	v_add_co_u32_e32 v16, vcc, 0x700, v16
	v_addc_co_u32_e32 v17, vcc, 0, v17, vcc
	v_add_co_u32_e32 v18, vcc, 0xe00, v18
	v_add_u32_e32 v89, 0x1c0, v89
	v_addc_co_u32_e32 v19, vcc, 0, v19, vcc
	v_cmp_le_i32_e32 vcc, s9, v89
	s_or_b64 s[0:1], vcc, s[0:1]
	s_waitcnt vmcnt(0)
	v_cvt_f16_f32_e32 v97, v98
	v_cvt_f16_f32_e32 v98, v99
	v_pack_b32_f16 v97, v97, v98
	ds_write_b32 v90, v97 offset:792
	ds_write_b32 v90, v92 offset:1056
	ds_write_b32 v90, v92 offset:1320
	ds_write_b32 v90, v92 offset:1584
	ds_write_b32 v90, v92 offset:1848
	ds_write_b32 v90, v92 offset:2112
	ds_write_b32 v90, v92 offset:2376
	ds_write_b32 v90, v92 offset:2640
	ds_write_b32 v90, v92 offset:2904
	ds_write_b32 v90, v92 offset:3168
	ds_write_b32 v90, v92 offset:3432
	ds_write_b32 v90, v92 offset:3696
	ds_write_b32 v90, v92 offset:3960
	ds_read_b64 v[98:99], v91
	ds_read_b64 v[100:101], v91 offset:32
	s_waitcnt lgkmcnt(1)
	v_mfma_f32_16x16x16f16 v[12:15], v[34:35], v[98:99], v[12:15]
	v_mfma_f32_16x16x16f16 v[8:11], v[50:51], v[98:99], v[8:11]
	;; [unrolled: 1-line block ×4, first 2 shown]
	s_waitcnt lgkmcnt(0)
	v_mfma_f32_16x16x16f16 v[12:15], v[32:33], v[100:101], v[12:15]
	ds_read_b64 v[32:33], v91 offset:64
	v_mfma_f32_16x16x16f16 v[8:11], v[48:49], v[100:101], v[8:11]
	v_mfma_f32_16x16x16f16 v[4:7], v[64:65], v[100:101], v[4:7]
	v_mfma_f32_16x16x16f16 v[0:3], v[80:81], v[100:101], v[0:3]
	s_waitcnt lgkmcnt(0)
	v_mfma_f32_16x16x16f16 v[12:15], v[30:31], v[32:33], v[12:15]
	ds_read_b64 v[30:31], v91 offset:96
	v_mfma_f32_16x16x16f16 v[8:11], v[46:47], v[32:33], v[8:11]
	v_mfma_f32_16x16x16f16 v[4:7], v[62:63], v[32:33], v[4:7]
	v_mfma_f32_16x16x16f16 v[0:3], v[78:79], v[32:33], v[0:3]
	;; [unrolled: 6-line block ×6, first 2 shown]
	s_waitcnt lgkmcnt(0)
	v_mfma_f32_16x16x16f16 v[12:15], v[20:21], v[22:23], v[12:15]
	v_mfma_f32_16x16x16f16 v[8:11], v[36:37], v[22:23], v[8:11]
	;; [unrolled: 1-line block ×4, first 2 shown]
	s_andn2_b64 exec, exec, s[0:1]
	s_cbranch_execnz .LBB119_4
; %bb.5:
	s_or_b64 exec, exec, s[0:1]
.LBB119_6:
	s_or_b64 exec, exec, s[24:25]
	v_mul_u32_u24_e32 v16, 0x708, v88
	v_lshlrev_b32_e32 v17, 2, v87
	v_add3_u32 v16, 0, v16, v17
	v_and_b32_e32 v17, 0x3f0, v85
	v_add_u32_e32 v17, v16, v17
	s_waitcnt lgkmcnt(0)
	s_barrier
	ds_write2_b32 v17, v12, v13 offset1:1
	ds_write_b32 v17, v14 offset:8
	v_or_b32_e32 v12, 12, v85
	v_and_b32_e32 v12, 0x3fc, v12
	v_add_u32_e32 v12, v16, v12
	v_cmp_gt_u32_e32 vcc, 4, v84
	ds_write_b32 v12, v15
	ds_write2_b32 v17, v8, v9 offset0:16 offset1:17
	ds_write_b32 v17, v10 offset:72
	ds_write_b32 v12, v11 offset:64
	ds_write2_b32 v17, v4, v5 offset0:32 offset1:33
	ds_write_b32 v17, v6 offset:136
	ds_write_b32 v12, v7 offset:128
	;; [unrolled: 3-line block ×3, first 2 shown]
	s_waitcnt lgkmcnt(0)
	s_barrier
	s_and_saveexec_b64 s[0:1], vcc
	s_cbranch_execz .LBB119_8
; %bb.7:
	v_mul_u32_u24_e32 v0, 0x708, v84
	v_add3_u32 v6, 0, v86, v0
	ds_read2st64_b32 v[0:1], v6 offset1:1
	ds_read2st64_b32 v[2:3], v6 offset0:2 offset1:3
	ds_read2st64_b32 v[4:5], v6 offset0:4 offset1:5
	ds_read_b32 v6, v6 offset:1536
	s_mul_hi_i32 s1, s19, s8
	s_mul_i32 s0, s19, s8
	s_lshl_b64 s[0:1], s[0:1], 2
	s_waitcnt lgkmcnt(3)
	v_add_f32_e32 v0, 0, v0
	v_add_f32_e32 v0, v0, v1
	s_waitcnt lgkmcnt(2)
	v_add_f32_e32 v0, v0, v2
	v_add_f32_e32 v0, v0, v3
	s_mul_i32 s4, s7, s15
	s_add_u32 s6, s10, s0
	s_waitcnt lgkmcnt(1)
	v_add_f32_e32 v0, v0, v4
	s_addc_u32 s7, s11, s1
	s_ashr_i32 s5, s4, 31
	v_add_f32_e32 v0, v0, v5
	s_lshl_b64 s[0:1], s[4:5], 2
	s_waitcnt lgkmcnt(0)
	v_add_f32_e32 v2, v0, v6
	v_mul_lo_u32 v0, v84, s2
	s_add_u32 s0, s6, s0
	v_add3_u32 v0, s3, v85, v0
	v_mov_b32_e32 v1, 0
	s_addc_u32 s1, s7, s1
	v_lshlrev_b64 v[0:1], 2, v[0:1]
	v_mov_b32_e32 v3, s1
	v_add_co_u32_e32 v0, vcc, s0, v0
	v_addc_co_u32_e32 v1, vcc, v3, v1, vcc
	global_store_dword v[0:1], v2, off
.LBB119_8:
	s_endpgm
	.section	.rodata,"a",@progbits
	.p2align	6, 0x0
	.amdhsa_kernel _ZL9mul_mat_fI7__half2Li64ELi4ELi7ELb0EEvPKT_PKfPKiPfiiiiiiiiiiiiiiii
		.amdhsa_group_segment_fixed_size 0
		.amdhsa_private_segment_fixed_size 0
		.amdhsa_kernarg_size 96
		.amdhsa_user_sgpr_count 6
		.amdhsa_user_sgpr_private_segment_buffer 1
		.amdhsa_user_sgpr_dispatch_ptr 0
		.amdhsa_user_sgpr_queue_ptr 0
		.amdhsa_user_sgpr_kernarg_segment_ptr 1
		.amdhsa_user_sgpr_dispatch_id 0
		.amdhsa_user_sgpr_flat_scratch_init 0
		.amdhsa_user_sgpr_kernarg_preload_length 0
		.amdhsa_user_sgpr_kernarg_preload_offset 0
		.amdhsa_user_sgpr_private_segment_size 0
		.amdhsa_uses_dynamic_stack 0
		.amdhsa_system_sgpr_private_segment_wavefront_offset 0
		.amdhsa_system_sgpr_workgroup_id_x 1
		.amdhsa_system_sgpr_workgroup_id_y 1
		.amdhsa_system_sgpr_workgroup_id_z 1
		.amdhsa_system_sgpr_workgroup_info 0
		.amdhsa_system_vgpr_workitem_id 1
		.amdhsa_next_free_vgpr 102
		.amdhsa_next_free_sgpr 86
		.amdhsa_accum_offset 104
		.amdhsa_reserve_vcc 1
		.amdhsa_reserve_flat_scratch 0
		.amdhsa_float_round_mode_32 0
		.amdhsa_float_round_mode_16_64 0
		.amdhsa_float_denorm_mode_32 3
		.amdhsa_float_denorm_mode_16_64 3
		.amdhsa_dx10_clamp 1
		.amdhsa_ieee_mode 1
		.amdhsa_fp16_overflow 0
		.amdhsa_tg_split 0
		.amdhsa_exception_fp_ieee_invalid_op 0
		.amdhsa_exception_fp_denorm_src 0
		.amdhsa_exception_fp_ieee_div_zero 0
		.amdhsa_exception_fp_ieee_overflow 0
		.amdhsa_exception_fp_ieee_underflow 0
		.amdhsa_exception_fp_ieee_inexact 0
		.amdhsa_exception_int_div_zero 0
	.end_amdhsa_kernel
	.section	.text._ZL9mul_mat_fI7__half2Li64ELi4ELi7ELb0EEvPKT_PKfPKiPfiiiiiiiiiiiiiiii,"axG",@progbits,_ZL9mul_mat_fI7__half2Li64ELi4ELi7ELb0EEvPKT_PKfPKiPfiiiiiiiiiiiiiiii,comdat
.Lfunc_end119:
	.size	_ZL9mul_mat_fI7__half2Li64ELi4ELi7ELb0EEvPKT_PKfPKiPfiiiiiiiiiiiiiiii, .Lfunc_end119-_ZL9mul_mat_fI7__half2Li64ELi4ELi7ELb0EEvPKT_PKfPKiPfiiiiiiiiiiiiiiii
                                        ; -- End function
	.section	.AMDGPU.csdata,"",@progbits
; Kernel info:
; codeLenInByte = 5092
; NumSgprs: 90
; NumVgprs: 102
; NumAgprs: 0
; TotalNumVgprs: 102
; ScratchSize: 0
; MemoryBound: 0
; FloatMode: 240
; IeeeMode: 1
; LDSByteSize: 0 bytes/workgroup (compile time only)
; SGPRBlocks: 11
; VGPRBlocks: 12
; NumSGPRsForWavesPerEU: 90
; NumVGPRsForWavesPerEU: 102
; AccumOffset: 104
; Occupancy: 4
; WaveLimiterHint : 0
; COMPUTE_PGM_RSRC2:SCRATCH_EN: 0
; COMPUTE_PGM_RSRC2:USER_SGPR: 6
; COMPUTE_PGM_RSRC2:TRAP_HANDLER: 0
; COMPUTE_PGM_RSRC2:TGID_X_EN: 1
; COMPUTE_PGM_RSRC2:TGID_Y_EN: 1
; COMPUTE_PGM_RSRC2:TGID_Z_EN: 1
; COMPUTE_PGM_RSRC2:TIDIG_COMP_CNT: 1
; COMPUTE_PGM_RSRC3_GFX90A:ACCUM_OFFSET: 25
; COMPUTE_PGM_RSRC3_GFX90A:TG_SPLIT: 0
	.section	.text._ZL13mul_mat_f_idsI7__half2Li64ELi4ELi8EEvPKT_PKfPKiS7_S7_Pfiiiiiiiiiiiiii15HIP_vector_typeIjLj3EESA_,"axG",@progbits,_ZL13mul_mat_f_idsI7__half2Li64ELi4ELi8EEvPKT_PKfPKiS7_S7_Pfiiiiiiiiiiiiii15HIP_vector_typeIjLj3EESA_,comdat
	.globl	_ZL13mul_mat_f_idsI7__half2Li64ELi4ELi8EEvPKT_PKfPKiS7_S7_Pfiiiiiiiiiiiiii15HIP_vector_typeIjLj3EESA_ ; -- Begin function _ZL13mul_mat_f_idsI7__half2Li64ELi4ELi8EEvPKT_PKfPKiS7_S7_Pfiiiiiiiiiiiiii15HIP_vector_typeIjLj3EESA_
	.p2align	8
	.type	_ZL13mul_mat_f_idsI7__half2Li64ELi4ELi8EEvPKT_PKfPKiS7_S7_Pfiiiiiiiiiiiiii15HIP_vector_typeIjLj3EESA_,@function
_ZL13mul_mat_f_idsI7__half2Li64ELi4ELi8EEvPKT_PKfPKiS7_S7_Pfiiiiiiiiiiiiii15HIP_vector_typeIjLj3EESA_: ; @_ZL13mul_mat_f_idsI7__half2Li64ELi4ELi8EEvPKT_PKfPKiS7_S7_Pfiiiiiiiiiiiiii15HIP_vector_typeIjLj3EESA_
; %bb.0:
	s_load_dwordx2 s[0:1], s[4:5], 0x20
	s_mov_b32 s34, s7
	s_ashr_i32 s35, s7, 31
	s_lshl_b64 s[2:3], s[34:35], 2
	s_waitcnt lgkmcnt(0)
	s_add_u32 s0, s0, s2
	s_addc_u32 s1, s1, s3
	s_load_dwordx2 s[26:27], s[0:1], 0x0
	s_waitcnt lgkmcnt(0)
	s_sub_i32 s33, s27, s26
	s_add_i32 s0, s33, 3
	s_ashr_i32 s1, s0, 31
	s_lshr_b32 s1, s1, 30
	s_add_i32 s0, s0, s1
	s_ashr_i32 s0, s0, 2
	s_cmp_ge_i32 s8, s0
	s_cbranch_scc1 .LBB120_23
; %bb.1:
	v_bfe_u32 v91, v0, 10, 10
	v_lshlrev_b32_e32 v92, 6, v91
	v_and_b32_e32 v90, 0x3ff, v0
	s_load_dwordx4 s[12:15], s[4:5], 0x30
	s_load_dwordx2 s[20:21], s[4:5], 0x40
	s_load_dwordx4 s[0:3], s[4:5], 0x4c
	s_load_dwordx4 s[16:19], s[4:5], 0x68
	s_load_dwordx2 s[24:25], s[4:5], 0x78
	v_add_u32_e32 v94, v92, v90
	s_ashr_i32 s27, s26, 31
	s_waitcnt lgkmcnt(0)
	v_cmp_le_i32_e32 vcc, s12, v94
	v_and_b32_e32 v93, 15, v90
                                        ; implicit-def: $sgpr3
	s_and_saveexec_b64 s[10:11], vcc
	s_xor_b64 s[10:11], exec, s[10:11]
; %bb.2:
	v_and_b32_e32 v93, 15, v90
	s_mov_b32 s3, 0
                                        ; implicit-def: $vgpr94
; %bb.3:
	s_or_saveexec_b64 s[22:23], s[10:11]
	s_load_dwordx2 s[10:11], s[4:5], 0x18
                                        ; implicit-def: $vgpr101 : SGPR spill to VGPR lane
	s_lshl_b32 s7, s6, 6
	s_lshl_b32 s6, s8, 2
	v_mov_b32_e32 v15, s3
	v_mov_b32_e32 v14, s3
	s_waitcnt lgkmcnt(0)
	v_writelane_b32 v101, s10, 0
	v_writelane_b32 v101, s11, 1
	s_load_dwordx2 s[10:11], s[4:5], 0x28
	v_mov_b32_e32 v13, s3
	v_mov_b32_e32 v12, s3
	v_mov_b32_e32 v3, s3
	v_mov_b32_e32 v2, s3
	s_waitcnt lgkmcnt(0)
	v_writelane_b32 v101, s10, 2
	v_writelane_b32 v101, s11, 3
	v_mov_b32_e32 v1, s3
	v_mov_b32_e32 v0, s3
	;; [unrolled: 1-line block ×10, first 2 shown]
	v_writelane_b32 v101, s22, 4
	v_writelane_b32 v101, s23, 5
	s_xor_b64 exec, exec, s[22:23]
	s_cbranch_execz .LBB120_19
; %bb.4:
	v_writelane_b32 v101, s24, 6
	v_writelane_b32 v101, s25, 7
	s_load_dwordx4 s[8:11], s[4:5], 0x0
	s_load_dwordx2 s[22:23], s[4:5], 0x10
	s_mul_i32 s4, s34, s0
	s_mul_i32 s24, s7, s15
	s_ashr_i32 s5, s4, 31
	s_ashr_i32 s25, s24, 31
	s_lshl_b64 s[24:25], s[24:25], 2
	s_lshl_b64 s[4:5], s[4:5], 2
	s_add_u32 s3, s4, s24
	s_addc_u32 s24, s5, s25
	s_waitcnt lgkmcnt(0)
	s_add_u32 s0, s3, s8
	s_addc_u32 s25, s24, s9
	s_lshl_b64 s[4:5], s[26:27], 2
	s_add_u32 s28, s22, s4
	s_addc_u32 s29, s23, s5
	s_movk_i32 s4, 0x1080
	s_cmp_lt_i32 s6, s33
	v_writelane_b32 v101, s7, 8
	v_mad_u32_u24 v0, v91, s4, 0
	s_cselect_b64 s[4:5], -1, 0
	s_ashr_i32 s7, s6, 31
	s_lshl_b64 s[22:23], s[6:7], 2
	s_add_u32 s34, s28, s22
	v_lshrrev_b32_e32 v3, 1, v90
	s_addc_u32 s35, s29, s23
	s_or_b32 s7, s6, 1
	v_lshlrev_b32_e32 v1, 2, v90
	v_mul_u32_u24_e32 v2, 0x108, v93
	v_and_b32_e32 v3, 0x1f8, v3
	s_cmp_lt_i32 s7, s33
	v_add_u32_e32 v95, v0, v1
	v_add3_u32 v96, v0, v2, v3
	s_cselect_b64 s[36:37], -1, 0
	s_or_b32 s7, s6, 2
	v_lshlrev_b32_e32 v0, 8, v91
	s_cmp_lt_i32 s7, s33
	v_mov_b32_e32 v2, s24
	v_add_co_u32_e32 v0, vcc, s3, v0
	s_cselect_b64 s[38:39], -1, 0
	s_or_b32 s7, s6, 3
	v_addc_co_u32_e32 v2, vcc, 0, v2, vcc
	s_cmp_lt_i32 s7, s33
	v_add_co_u32_e32 v0, vcc, v0, v1
	s_cselect_b64 s[40:41], -1, 0
	s_ashr_i32 s23, s15, 31
	s_mov_b32 s22, s15
	v_addc_co_u32_e32 v1, vcc, 0, v2, vcc
	s_lshl_b64 s[42:43], s[22:23], 2
	v_mov_b32_e32 v2, s9
	v_add_co_u32_e32 v16, vcc, s8, v0
	v_mov_b32_e32 v98, 0
	v_addc_co_u32_e32 v17, vcc, v2, v1, vcc
	s_lshl_b32 s7, s15, 1
	s_mul_i32 s44, s15, 3
	s_lshl_b32 s45, s15, 2
	s_mul_i32 s46, s15, 5
	s_mul_i32 s47, s15, 6
	;; [unrolled: 1-line block ×3, first 2 shown]
	s_lshl_b32 s49, s15, 3
	s_mul_i32 s50, s15, 9
	s_mul_i32 s51, s15, 10
	;; [unrolled: 1-line block ×7, first 2 shown]
	s_lshl_b32 s57, s15, 4
	s_mul_i32 s58, s15, 17
	s_mul_i32 s59, s15, 18
	;; [unrolled: 1-line block ×15, first 2 shown]
	s_lshl_b32 s73, s15, 5
	s_mul_i32 s74, s15, 33
	s_mul_i32 s75, s15, 34
	;; [unrolled: 1-line block ×15, first 2 shown]
	v_mov_b32_e32 v97, s25
	s_mul_i32 s89, s15, 48
	v_mov_b32_e32 v99, s43
	v_mov_b32_e32 v8, 0
	;; [unrolled: 1-line block ×17, first 2 shown]
	s_mul_i32 s43, s15, 49
	s_mul_i32 s90, s15, 50
	;; [unrolled: 1-line block ×15, first 2 shown]
	s_mov_b64 s[8:9], 0
	s_branch .LBB120_6
.LBB120_5:                              ;   in Loop: Header=BB120_6 Depth=1
	s_waitcnt vmcnt(0)
	v_cvt_f16_f32_e32 v82, v82
	v_cvt_f16_f32_e32 v83, v83
	;; [unrolled: 1-line block ×4, first 2 shown]
	v_add_co_u32_e32 v16, vcc, 0x800, v16
	v_pack_b32_f16 v82, v82, v83
	v_cvt_f16_f32_e32 v83, v84
	v_cvt_f16_f32_e32 v84, v85
	;; [unrolled: 1-line block ×4, first 2 shown]
	v_pack_b32_f16 v86, v86, v87
	ds_write2_b32 v95, v82, v86 offset1:66
	v_pack_b32_f16 v82, v83, v84
	v_pack_b32_f16 v83, v85, v88
	ds_write2_b32 v95, v82, v83 offset0:132 offset1:198
	v_add_u32_e32 v82, 0x400, v95
	ds_write2_b32 v82, v98, v98 offset0:8 offset1:74
	ds_write2_b32 v82, v98, v98 offset0:140 offset1:206
	v_add_u32_e32 v82, 0x800, v95
	ds_write2_b32 v82, v98, v98 offset0:16 offset1:82
	;; [unrolled: 3-line block ×3, first 2 shown]
	ds_write2_b32 v82, v98, v98 offset0:156 offset1:222
	ds_read2_b64 v[82:85], v96 offset1:4
	s_waitcnt lgkmcnt(0)
	v_mfma_f32_16x16x16f16 v[8:11], v[34:35], v[82:83], v[8:11]
	v_add_u32_e32 v94, 0x200, v94
	v_addc_co_u32_e32 v17, vcc, 0, v17, vcc
	v_cmp_le_i32_e32 vcc, s12, v94
	s_or_b64 s[8:9], vcc, s[8:9]
	v_mfma_f32_16x16x16f16 v[4:7], v[50:51], v[82:83], v[4:7]
	v_mfma_f32_16x16x16f16 v[0:3], v[64:65], v[82:83], v[0:3]
	;; [unrolled: 1-line block ×6, first 2 shown]
	ds_read2_b64 v[62:65], v96 offset0:8 offset1:12
	v_mfma_f32_16x16x16f16 v[12:15], v[78:79], v[84:85], v[12:15]
	s_waitcnt lgkmcnt(0)
	v_mfma_f32_16x16x16f16 v[8:11], v[28:29], v[62:63], v[8:11]
	v_mfma_f32_16x16x16f16 v[4:7], v[44:45], v[62:63], v[4:7]
	;; [unrolled: 1-line block ×5, first 2 shown]
	ds_read2_b64 v[26:29], v96 offset0:16 offset1:20
	v_mfma_f32_16x16x16f16 v[4:7], v[42:43], v[64:65], v[4:7]
	v_mfma_f32_16x16x16f16 v[0:3], v[58:59], v[64:65], v[0:3]
	v_mfma_f32_16x16x16f16 v[12:15], v[74:75], v[64:65], v[12:15]
	s_waitcnt lgkmcnt(0)
	v_mfma_f32_16x16x16f16 v[8:11], v[24:25], v[26:27], v[8:11]
	v_mfma_f32_16x16x16f16 v[4:7], v[40:41], v[26:27], v[4:7]
	;; [unrolled: 1-line block ×5, first 2 shown]
	ds_read2_b64 v[22:25], v96 offset0:24 offset1:28
	v_mfma_f32_16x16x16f16 v[4:7], v[38:39], v[28:29], v[4:7]
	v_mfma_f32_16x16x16f16 v[0:3], v[54:55], v[28:29], v[0:3]
	;; [unrolled: 1-line block ×3, first 2 shown]
	s_waitcnt lgkmcnt(0)
	v_mfma_f32_16x16x16f16 v[8:11], v[20:21], v[22:23], v[8:11]
	v_mfma_f32_16x16x16f16 v[4:7], v[36:37], v[22:23], v[4:7]
	;; [unrolled: 1-line block ×8, first 2 shown]
	s_andn2_b64 exec, exec, s[8:9]
	s_cbranch_execz .LBB120_18
.LBB120_6:                              ; =>This Inner Loop Header: Depth=1
	v_add_co_u32_e32 v18, vcc, s42, v16
	v_addc_co_u32_e32 v19, vcc, v17, v99, vcc
	global_load_dword v30, v[16:17], off
	global_load_dword v31, v[18:19], off
	v_add_u32_e32 v18, s7, v94
	v_ashrrev_i32_e32 v19, 31, v18
	v_lshlrev_b64 v[18:19], 2, v[18:19]
	v_add_u32_e32 v20, s44, v94
	v_add_co_u32_e32 v18, vcc, s0, v18
	v_ashrrev_i32_e32 v21, 31, v20
	v_addc_co_u32_e32 v19, vcc, v97, v19, vcc
	v_lshlrev_b64 v[20:21], 2, v[20:21]
	v_add_u32_e32 v22, s45, v94
	v_add_co_u32_e32 v20, vcc, s0, v20
	v_ashrrev_i32_e32 v23, 31, v22
	v_addc_co_u32_e32 v21, vcc, v97, v21, vcc
	;; [unrolled: 5-line block ×5, first 2 shown]
	v_lshlrev_b64 v[28:29], 2, v[28:29]
	v_add_co_u32_e32 v28, vcc, s0, v28
	v_addc_co_u32_e32 v29, vcc, v97, v29, vcc
	global_load_dword v32, v[18:19], off
	global_load_dword v33, v[20:21], off
	;; [unrolled: 1-line block ×3, first 2 shown]
	s_nop 0
	global_load_dword v24, v[24:25], off
	s_nop 0
	global_load_dword v25, v[26:27], off
	;; [unrolled: 2-line block ×3, first 2 shown]
	v_add_u32_e32 v18, s49, v94
	v_ashrrev_i32_e32 v19, 31, v18
	v_add_u32_e32 v20, s50, v94
	v_lshlrev_b64 v[18:19], 2, v[18:19]
	v_ashrrev_i32_e32 v21, 31, v20
	v_add_co_u32_e32 v18, vcc, s0, v18
	v_add_u32_e32 v22, s51, v94
	v_lshlrev_b64 v[20:21], 2, v[20:21]
	v_addc_co_u32_e32 v19, vcc, v97, v19, vcc
	v_ashrrev_i32_e32 v23, 31, v22
	v_add_co_u32_e32 v20, vcc, s0, v20
	v_lshlrev_b64 v[22:23], 2, v[22:23]
	v_addc_co_u32_e32 v21, vcc, v97, v21, vcc
	global_load_dword v18, v[18:19], off
	s_nop 0
	global_load_dword v19, v[20:21], off
	v_add_u32_e32 v20, s52, v94
	v_add_co_u32_e32 v22, vcc, s0, v22
	v_ashrrev_i32_e32 v21, 31, v20
	v_addc_co_u32_e32 v23, vcc, v97, v23, vcc
	v_lshlrev_b64 v[20:21], 2, v[20:21]
	v_add_u32_e32 v58, s82, v94
	v_ashrrev_i32_e32 v59, 31, v58
	v_lshlrev_b64 v[58:59], 2, v[58:59]
	s_waitcnt vmcnt(9)
	ds_write_b32 v95, v30
	s_waitcnt vmcnt(8)
	ds_write_b32 v95, v31 offset:264
	s_waitcnt vmcnt(7)
	ds_write_b32 v95, v32 offset:528
	;; [unrolled: 2-line block ×7, first 2 shown]
	v_add_co_u32_e32 v24, vcc, s0, v20
	v_add_u32_e32 v20, s53, v94
	v_addc_co_u32_e32 v25, vcc, v97, v21, vcc
	v_ashrrev_i32_e32 v21, 31, v20
	v_lshlrev_b64 v[20:21], 2, v[20:21]
	v_add_co_u32_e32 v26, vcc, s0, v20
	v_add_u32_e32 v20, s54, v94
	v_addc_co_u32_e32 v27, vcc, v97, v21, vcc
	v_ashrrev_i32_e32 v21, 31, v20
	v_lshlrev_b64 v[20:21], 2, v[20:21]
	;; [unrolled: 5-line block ×6, first 2 shown]
	v_add_co_u32_e32 v36, vcc, s0, v20
	v_addc_co_u32_e32 v37, vcc, v97, v21, vcc
	global_load_dword v20, v[22:23], off
	global_load_dword v21, v[24:25], off
	s_nop 0
	global_load_dword v22, v[26:27], off
	global_load_dword v23, v[28:29], off
	;; [unrolled: 1-line block ×4, first 2 shown]
	s_nop 0
	global_load_dword v32, v[34:35], off
	global_load_dword v33, v[36:37], off
	v_add_u32_e32 v26, s59, v94
	v_ashrrev_i32_e32 v27, 31, v26
	v_lshlrev_b64 v[26:27], 2, v[26:27]
	v_add_u32_e32 v28, s60, v94
	v_add_co_u32_e32 v26, vcc, s0, v26
	v_ashrrev_i32_e32 v29, 31, v28
	v_addc_co_u32_e32 v27, vcc, v97, v27, vcc
	v_lshlrev_b64 v[28:29], 2, v[28:29]
	v_add_u32_e32 v30, s61, v94
	v_add_co_u32_e32 v28, vcc, s0, v28
	v_ashrrev_i32_e32 v31, 31, v30
	v_addc_co_u32_e32 v29, vcc, v97, v29, vcc
	;; [unrolled: 5-line block ×4, first 2 shown]
	v_lshlrev_b64 v[36:37], 2, v[36:37]
	v_add_co_u32_e32 v40, vcc, s0, v36
	v_add_u32_e32 v36, s64, v94
	v_addc_co_u32_e32 v41, vcc, v97, v37, vcc
	v_ashrrev_i32_e32 v37, 31, v36
	v_lshlrev_b64 v[36:37], 2, v[36:37]
	v_add_co_u32_e32 v42, vcc, s0, v36
	v_add_u32_e32 v36, s65, v94
	v_addc_co_u32_e32 v43, vcc, v97, v37, vcc
	v_ashrrev_i32_e32 v37, 31, v36
	;; [unrolled: 5-line block ×3, first 2 shown]
	v_lshlrev_b64 v[36:37], 2, v[36:37]
	v_add_co_u32_e32 v46, vcc, s0, v36
	v_addc_co_u32_e32 v47, vcc, v97, v37, vcc
	global_load_dword v36, v[26:27], off
	global_load_dword v37, v[28:29], off
	;; [unrolled: 1-line block ×4, first 2 shown]
	s_nop 0
	global_load_dword v40, v[40:41], off
	s_nop 0
	global_load_dword v41, v[42:43], off
	s_nop 0
	global_load_dword v42, v[44:45], off
	global_load_dword v43, v[46:47], off
	v_add_u32_e32 v26, s67, v94
	v_ashrrev_i32_e32 v27, 31, v26
	v_lshlrev_b64 v[26:27], 2, v[26:27]
	v_add_u32_e32 v28, s68, v94
	v_add_co_u32_e32 v26, vcc, s0, v26
	v_ashrrev_i32_e32 v29, 31, v28
	v_addc_co_u32_e32 v27, vcc, v97, v27, vcc
	v_lshlrev_b64 v[28:29], 2, v[28:29]
	v_add_u32_e32 v30, s69, v94
	v_add_co_u32_e32 v28, vcc, s0, v28
	v_ashrrev_i32_e32 v31, 31, v30
	v_addc_co_u32_e32 v29, vcc, v97, v29, vcc
	;; [unrolled: 5-line block ×4, first 2 shown]
	v_lshlrev_b64 v[44:45], 2, v[44:45]
	v_add_co_u32_e32 v48, vcc, s0, v44
	v_add_u32_e32 v44, s72, v94
	v_addc_co_u32_e32 v49, vcc, v97, v45, vcc
	v_ashrrev_i32_e32 v45, 31, v44
	v_lshlrev_b64 v[44:45], 2, v[44:45]
	v_add_co_u32_e32 v52, vcc, s0, v44
	v_add_u32_e32 v44, s73, v94
	v_addc_co_u32_e32 v53, vcc, v97, v45, vcc
	v_ashrrev_i32_e32 v45, 31, v44
	;; [unrolled: 5-line block ×3, first 2 shown]
	v_lshlrev_b64 v[44:45], 2, v[44:45]
	v_add_co_u32_e32 v56, vcc, s0, v44
	v_addc_co_u32_e32 v57, vcc, v97, v45, vcc
	global_load_dword v44, v[26:27], off
	global_load_dword v45, v[28:29], off
	;; [unrolled: 1-line block ×6, first 2 shown]
	s_nop 0
	global_load_dword v48, v[54:55], off
	global_load_dword v49, v[56:57], off
	v_add_u32_e32 v26, s75, v94
	v_ashrrev_i32_e32 v27, 31, v26
	v_lshlrev_b64 v[26:27], 2, v[26:27]
	v_add_u32_e32 v28, s76, v94
	v_add_co_u32_e32 v26, vcc, s0, v26
	v_ashrrev_i32_e32 v29, 31, v28
	v_addc_co_u32_e32 v27, vcc, v97, v27, vcc
	v_lshlrev_b64 v[28:29], 2, v[28:29]
	v_add_u32_e32 v30, s77, v94
	v_add_co_u32_e32 v28, vcc, s0, v28
	v_ashrrev_i32_e32 v31, 31, v30
	v_addc_co_u32_e32 v29, vcc, v97, v29, vcc
	;; [unrolled: 5-line block ×6, first 2 shown]
	v_lshlrev_b64 v[56:57], 2, v[56:57]
	v_add_co_u32_e32 v56, vcc, s0, v56
	v_addc_co_u32_e32 v57, vcc, v97, v57, vcc
	v_add_co_u32_e32 v58, vcc, s0, v58
	v_addc_co_u32_e32 v59, vcc, v97, v59, vcc
	global_load_dword v60, v[26:27], off
	global_load_dword v61, v[28:29], off
	;; [unrolled: 1-line block ×8, first 2 shown]
	v_add_u32_e32 v26, s83, v94
	v_ashrrev_i32_e32 v27, 31, v26
	v_lshlrev_b64 v[26:27], 2, v[26:27]
	v_add_u32_e32 v28, s84, v94
	v_add_co_u32_e32 v26, vcc, s0, v26
	v_ashrrev_i32_e32 v29, 31, v28
	v_addc_co_u32_e32 v27, vcc, v97, v27, vcc
	v_lshlrev_b64 v[28:29], 2, v[28:29]
	v_add_u32_e32 v30, s85, v94
	v_add_co_u32_e32 v28, vcc, s0, v28
	v_ashrrev_i32_e32 v31, 31, v30
	v_addc_co_u32_e32 v29, vcc, v97, v29, vcc
	;; [unrolled: 5-line block ×7, first 2 shown]
	v_lshlrev_b64 v[58:59], 2, v[58:59]
	v_add_co_u32_e32 v58, vcc, s0, v58
	v_addc_co_u32_e32 v59, vcc, v97, v59, vcc
	global_load_dword v68, v[26:27], off
	global_load_dword v69, v[28:29], off
	global_load_dword v70, v[30:31], off
	global_load_dword v71, v[34:35], off
	global_load_dword v72, v[52:53], off
	global_load_dword v73, v[54:55], off
	global_load_dword v74, v[56:57], off
	global_load_dword v75, v[58:59], off
	v_add_u32_e32 v26, s90, v94
	v_ashrrev_i32_e32 v27, 31, v26
	v_lshlrev_b64 v[26:27], 2, v[26:27]
	v_add_u32_e32 v28, s91, v94
	v_add_co_u32_e32 v26, vcc, s0, v26
	v_ashrrev_i32_e32 v29, 31, v28
	v_addc_co_u32_e32 v27, vcc, v97, v27, vcc
	v_lshlrev_b64 v[28:29], 2, v[28:29]
	v_add_u32_e32 v30, s92, v94
	v_add_co_u32_e32 v28, vcc, s0, v28
	v_ashrrev_i32_e32 v31, 31, v30
	v_addc_co_u32_e32 v29, vcc, v97, v29, vcc
	;; [unrolled: 5-line block ×7, first 2 shown]
	v_lshlrev_b64 v[58:59], 2, v[58:59]
	v_add_co_u32_e32 v58, vcc, s0, v58
	v_addc_co_u32_e32 v59, vcc, v97, v59, vcc
	global_load_dword v76, v[26:27], off
	global_load_dword v77, v[28:29], off
	;; [unrolled: 1-line block ×8, first 2 shown]
	v_add_u32_e32 v26, s22, v94
	v_ashrrev_i32_e32 v27, 31, v26
	v_lshlrev_b64 v[26:27], 2, v[26:27]
	v_add_u32_e32 v28, s23, v94
	v_add_co_u32_e32 v26, vcc, s0, v26
	v_ashrrev_i32_e32 v29, 31, v28
	v_addc_co_u32_e32 v27, vcc, v97, v27, vcc
	v_lshlrev_b64 v[28:29], 2, v[28:29]
	v_add_u32_e32 v30, s28, v94
	v_add_co_u32_e32 v28, vcc, s0, v28
	v_ashrrev_i32_e32 v31, 31, v30
	v_addc_co_u32_e32 v29, vcc, v97, v29, vcc
	;; [unrolled: 5-line block ×5, first 2 shown]
	v_lshlrev_b64 v[54:55], 2, v[54:55]
	v_add_co_u32_e32 v54, vcc, s0, v54
	v_addc_co_u32_e32 v55, vcc, v97, v55, vcc
	global_load_dword v84, v[26:27], off
	global_load_dword v85, v[28:29], off
	global_load_dword v86, v[30:31], off
	global_load_dword v87, v[34:35], off
	global_load_dword v88, v[52:53], off
	global_load_dword v89, v[54:55], off
	s_waitcnt vmcnt(55)
	ds_write_b32 v95, v18 offset:2112
	s_waitcnt vmcnt(54)
	ds_write_b32 v95, v19 offset:2376
	s_waitcnt vmcnt(53)
	ds_write_b32 v95, v20 offset:2640
	s_waitcnt vmcnt(52)
	ds_write_b32 v95, v21 offset:2904
	s_waitcnt vmcnt(51)
	ds_write_b32 v95, v22 offset:3168
	s_waitcnt vmcnt(50)
	ds_write_b32 v95, v23 offset:3432
	s_waitcnt vmcnt(49)
	ds_write_b32 v95, v24 offset:3696
	s_waitcnt vmcnt(48)
	ds_write_b32 v95, v25 offset:3960
	ds_read_b64 v[34:35], v96
	ds_read_b64 v[30:31], v96 offset:32
	ds_read_b64 v[28:29], v96 offset:64
	ds_read_b64 v[26:27], v96 offset:96
	ds_read_b64 v[24:25], v96 offset:128
	ds_read_b64 v[22:23], v96 offset:160
	ds_read_b64 v[20:21], v96 offset:192
	ds_read_b64 v[18:19], v96 offset:224
	s_waitcnt vmcnt(47)
	ds_write_b32 v95, v32
	s_waitcnt vmcnt(46)
	ds_write_b32 v95, v33 offset:264
	s_waitcnt vmcnt(45)
	ds_write_b32 v95, v36 offset:528
	s_waitcnt vmcnt(44)
	ds_write_b32 v95, v37 offset:792
	s_waitcnt vmcnt(43)
	ds_write_b32 v95, v38 offset:1056
	s_waitcnt vmcnt(42)
	ds_write_b32 v95, v39 offset:1320
	s_waitcnt vmcnt(41)
	ds_write_b32 v95, v40 offset:1584
	s_waitcnt vmcnt(40)
	ds_write_b32 v95, v41 offset:1848
	s_waitcnt vmcnt(39)
	ds_write_b32 v95, v42 offset:2112
	s_waitcnt vmcnt(38)
	ds_write_b32 v95, v43 offset:2376
	s_waitcnt vmcnt(37)
	ds_write_b32 v95, v44 offset:2640
	s_waitcnt vmcnt(36)
	ds_write_b32 v95, v45 offset:2904
	s_waitcnt vmcnt(35)
	ds_write_b32 v95, v46 offset:3168
	s_waitcnt vmcnt(34)
	ds_write_b32 v95, v47 offset:3432
	s_waitcnt vmcnt(33)
	ds_write_b32 v95, v50 offset:3696
	s_waitcnt vmcnt(32)
	ds_write_b32 v95, v51 offset:3960
	ds_read_b64 v[50:51], v96
	ds_read_b64 v[46:47], v96 offset:32
	ds_read_b64 v[44:45], v96 offset:64
	ds_read_b64 v[42:43], v96 offset:96
	ds_read_b64 v[40:41], v96 offset:128
	ds_read_b64 v[38:39], v96 offset:160
	ds_read_b64 v[36:37], v96 offset:192
	ds_read_b64 v[32:33], v96 offset:224
	s_waitcnt vmcnt(31)
	ds_write_b32 v95, v48
	s_waitcnt vmcnt(30)
	ds_write_b32 v95, v49 offset:264
	s_waitcnt vmcnt(29)
	ds_write_b32 v95, v60 offset:528
	s_waitcnt vmcnt(28)
	ds_write_b32 v95, v61 offset:792
	s_waitcnt vmcnt(27)
	ds_write_b32 v95, v62 offset:1056
	s_waitcnt vmcnt(26)
	ds_write_b32 v95, v63 offset:1320
	s_waitcnt vmcnt(25)
	ds_write_b32 v95, v64 offset:1584
	s_waitcnt vmcnt(24)
	ds_write_b32 v95, v65 offset:1848
	;; [unrolled: 40-line block ×3, first 2 shown]
	s_waitcnt vmcnt(7)
	ds_write_b32 v95, v82 offset:2112
	s_waitcnt vmcnt(6)
	ds_write_b32 v95, v83 offset:2376
	;; [unrolled: 2-line block ×8, first 2 shown]
	ds_read_b64 v[80:81], v96
	ds_read_b64 v[78:79], v96 offset:32
	ds_read_b64 v[76:77], v96 offset:64
	;; [unrolled: 1-line block ×7, first 2 shown]
	s_andn2_b64 vcc, exec, s[4:5]
	v_mov_b32_e32 v82, 0
	v_mov_b32_e32 v83, 0
	s_cbranch_vccnz .LBB120_9
; %bb.7:                                ;   in Loop: Header=BB120_6 Depth=1
	s_load_dword vcc_lo, s[34:35], 0x0
	v_mov_b32_e32 v83, 0
	v_mov_b32_e32 v82, 0
	s_waitcnt lgkmcnt(0)
	s_mul_hi_u32 vcc_hi, vcc_lo, s16
	s_add_i32 vcc_hi, vcc_lo, vcc_hi
	s_lshr_b32 s30, vcc_hi, s17
	s_cmp_ge_i32 s30, s13
	s_cbranch_scc1 .LBB120_9
; %bb.8:                                ;   in Loop: Header=BB120_6 Depth=1
	s_mul_i32 vcc_hi, s30, s18
	s_sub_i32 s31, vcc_lo, vcc_hi
	s_mul_i32 s30, s30, s20
	s_mul_i32 s31, s31, s1
	v_add_u32_e32 v82, s30, v94
	v_lshl_add_u32 v82, v82, 1, s31
	v_ashrrev_i32_e32 v83, 31, v82
	v_lshlrev_b64 v[82:83], 2, v[82:83]
	v_mov_b32_e32 v84, s11
	v_add_co_u32_e32 v82, vcc, s10, v82
	v_addc_co_u32_e32 v83, vcc, v84, v83, vcc
	global_load_dwordx2 v[82:83], v[82:83], off
.LBB120_9:                              ;   in Loop: Header=BB120_6 Depth=1
	s_andn2_b64 vcc, exec, s[36:37]
	v_mov_b32_e32 v84, 0
	v_mov_b32_e32 v86, 0
	;; [unrolled: 1-line block ×3, first 2 shown]
	s_cbranch_vccnz .LBB120_12
; %bb.10:                               ;   in Loop: Header=BB120_6 Depth=1
	s_load_dword vcc_lo, s[34:35], 0x4
	v_mov_b32_e32 v87, 0
	v_mov_b32_e32 v86, 0
	s_waitcnt lgkmcnt(0)
	s_mul_hi_u32 s30, vcc_lo, s16
	s_add_i32 s30, vcc_lo, s30
	s_lshr_b32 vcc_hi, s30, s17
	s_cmp_ge_i32 vcc_hi, s13
	s_cbranch_scc1 .LBB120_12
; %bb.11:                               ;   in Loop: Header=BB120_6 Depth=1
	s_mul_i32 s30, vcc_hi, s18
	s_sub_i32 s30, vcc_lo, s30
	s_mul_i32 vcc_hi, vcc_hi, s20
	s_mul_i32 s30, s30, s1
	v_add_u32_e32 v85, vcc_hi, v94
	v_lshl_add_u32 v86, v85, 1, s30
	v_ashrrev_i32_e32 v87, 31, v86
	v_lshlrev_b64 v[86:87], 2, v[86:87]
	v_mov_b32_e32 v85, s11
	v_add_co_u32_e32 v86, vcc, s10, v86
	v_addc_co_u32_e32 v87, vcc, v85, v87, vcc
	global_load_dwordx2 v[86:87], v[86:87], off
.LBB120_12:                             ;   in Loop: Header=BB120_6 Depth=1
	s_andn2_b64 vcc, exec, s[38:39]
	v_mov_b32_e32 v85, 0
	s_cbranch_vccnz .LBB120_15
; %bb.13:                               ;   in Loop: Header=BB120_6 Depth=1
	s_load_dword vcc_lo, s[34:35], 0x8
	v_mov_b32_e32 v85, 0
	v_mov_b32_e32 v84, 0
	s_waitcnt lgkmcnt(0)
	s_mul_hi_u32 s30, vcc_lo, s16
	s_add_i32 s30, vcc_lo, s30
	s_lshr_b32 vcc_hi, s30, s17
	s_cmp_ge_i32 vcc_hi, s13
	s_cbranch_scc1 .LBB120_15
; %bb.14:                               ;   in Loop: Header=BB120_6 Depth=1
	s_mul_i32 s30, vcc_hi, s18
	s_sub_i32 s30, vcc_lo, s30
	s_mul_i32 vcc_hi, vcc_hi, s20
	s_mul_i32 s30, s30, s1
	v_add_u32_e32 v84, vcc_hi, v94
	v_lshl_add_u32 v84, v84, 1, s30
	v_ashrrev_i32_e32 v85, 31, v84
	v_lshlrev_b64 v[84:85], 2, v[84:85]
	v_mov_b32_e32 v88, s11
	v_add_co_u32_e32 v84, vcc, s10, v84
	v_addc_co_u32_e32 v85, vcc, v88, v85, vcc
	global_load_dwordx2 v[84:85], v[84:85], off
.LBB120_15:                             ;   in Loop: Header=BB120_6 Depth=1
	s_andn2_b64 vcc, exec, s[40:41]
	v_mov_b32_e32 v88, 0
	v_mov_b32_e32 v89, 0
	s_cbranch_vccnz .LBB120_5
; %bb.16:                               ;   in Loop: Header=BB120_6 Depth=1
	s_load_dword vcc_lo, s[34:35], 0xc
	v_mov_b32_e32 v89, 0
	v_mov_b32_e32 v88, 0
	s_waitcnt lgkmcnt(0)
	s_mul_hi_u32 s30, vcc_lo, s16
	s_add_i32 s30, vcc_lo, s30
	s_lshr_b32 vcc_hi, s30, s17
	s_cmp_ge_i32 vcc_hi, s13
	s_cbranch_scc1 .LBB120_5
; %bb.17:                               ;   in Loop: Header=BB120_6 Depth=1
	s_mul_i32 s30, vcc_hi, s18
	s_sub_i32 s30, vcc_lo, s30
	s_mul_i32 vcc_hi, vcc_hi, s20
	s_mul_i32 s30, s30, s1
	v_add_u32_e32 v88, vcc_hi, v94
	v_lshl_add_u32 v88, v88, 1, s30
	v_ashrrev_i32_e32 v89, 31, v88
	v_lshlrev_b64 v[88:89], 2, v[88:89]
	v_mov_b32_e32 v100, s11
	v_add_co_u32_e32 v88, vcc, s10, v88
	v_addc_co_u32_e32 v89, vcc, v100, v89, vcc
	global_load_dwordx2 v[88:89], v[88:89], off
	s_branch .LBB120_5
.LBB120_18:
	s_or_b64 exec, exec, s[8:9]
	v_readlane_b32 s24, v101, 6
	v_readlane_b32 s25, v101, 7
	v_readlane_b32 s7, v101, 8
.LBB120_19:
	v_readlane_b32 s0, v101, 4
	v_readlane_b32 s1, v101, 5
	s_or_b64 exec, exec, s[0:1]
	v_mul_u32_u24_e32 v16, 0x808, v93
	v_lshlrev_b32_e32 v17, 2, v92
	v_add3_u32 v16, 0, v16, v17
	v_and_b32_e32 v17, 0x3f0, v90
	v_add_u32_e32 v17, v16, v17
	s_barrier
	ds_write2_b32 v17, v8, v9 offset1:1
	ds_write_b32 v17, v10 offset:8
	v_or_b32_e32 v8, 12, v90
	v_and_b32_e32 v8, 0x3fc, v8
	v_add_u32_e32 v8, v16, v8
	v_cmp_gt_u32_e32 vcc, 4, v91
	ds_write_b32 v8, v11
	ds_write2_b32 v17, v4, v5 offset0:16 offset1:17
	ds_write_b32 v17, v6 offset:72
	ds_write_b32 v8, v7 offset:64
	ds_write2_b32 v17, v0, v1 offset0:32 offset1:33
	ds_write_b32 v17, v2 offset:136
	ds_write_b32 v8, v3 offset:128
	;; [unrolled: 3-line block ×3, first 2 shown]
	s_waitcnt lgkmcnt(0)
	s_barrier
	s_and_saveexec_b64 s[0:1], vcc
	s_cbranch_execz .LBB120_23
; %bb.20:
	v_or_b32_e32 v0, s6, v91
	s_cmp_gt_i32 s14, 0
	v_cmp_gt_i32_e32 vcc, s33, v0
	s_cselect_b64 s[0:1], -1, 0
	s_and_b64 s[0:1], s[0:1], vcc
	s_and_b64 exec, exec, s[0:1]
	s_cbranch_execz .LBB120_23
; %bb.21:
	s_lshl_b64 s[0:1], s[26:27], 2
	v_readlane_b32 s4, v101, 0
	v_readlane_b32 s5, v101, 1
	s_add_u32 s0, s4, s0
	v_ashrrev_i32_e32 v1, 31, v0
	s_addc_u32 s1, s5, s1
	v_lshlrev_b64 v[0:1], 2, v[0:1]
	v_mov_b32_e32 v2, s1
	v_add_co_u32_e32 v0, vcc, s0, v0
	v_addc_co_u32_e32 v1, vcc, v2, v1, vcc
	global_load_dword v0, v[0:1], off
	s_waitcnt vmcnt(0)
	v_mul_hi_u32 v1, v0, s19
	v_add_u32_e32 v1, v0, v1
	v_lshrrev_b32_e32 v1, s24, v1
	v_cmp_gt_i32_e32 vcc, s13, v1
	s_and_b64 exec, exec, vcc
	s_cbranch_execz .LBB120_23
; %bb.22:
	v_mul_u32_u24_e32 v2, 0x808, v91
	v_lshlrev_b32_e32 v3, 2, v90
	v_add3_u32 v8, 0, v2, v3
	ds_read2st64_b32 v[2:3], v8 offset1:1
	ds_read2st64_b32 v[4:5], v8 offset0:2 offset1:3
	ds_read2st64_b32 v[6:7], v8 offset0:4 offset1:5
	ds_read2st64_b32 v[8:9], v8 offset0:6 offset1:7
	v_readlane_b32 s0, v101, 2
	s_waitcnt lgkmcnt(3)
	v_add_f32_e32 v2, 0, v2
	v_add_f32_e32 v2, v2, v3
	v_mul_lo_u32 v3, v1, s25
	s_waitcnt lgkmcnt(2)
	v_add_f32_e32 v2, v2, v4
	v_sub_u32_e32 v0, v0, v3
	v_add_f32_e32 v2, v2, v5
	v_mul_lo_u32 v0, v0, s2
	v_mul_lo_u32 v1, v1, s21
	v_add_u32_e32 v3, s7, v90
	s_waitcnt lgkmcnt(1)
	v_add_f32_e32 v2, v2, v6
	v_add3_u32 v0, v3, v1, v0
	v_mov_b32_e32 v1, 0
	v_add_f32_e32 v2, v2, v7
	v_lshlrev_b64 v[0:1], 2, v[0:1]
	v_readlane_b32 s1, v101, 3
	s_waitcnt lgkmcnt(0)
	v_add_f32_e32 v2, v2, v8
	v_mov_b32_e32 v3, s1
	v_add_co_u32_e32 v0, vcc, s0, v0
	v_add_f32_e32 v2, v2, v9
	v_addc_co_u32_e32 v1, vcc, v3, v1, vcc
	global_store_dword v[0:1], v2, off
.LBB120_23:
	s_endpgm
	.section	.rodata,"a",@progbits
	.p2align	6, 0x0
	.amdhsa_kernel _ZL13mul_mat_f_idsI7__half2Li64ELi4ELi8EEvPKT_PKfPKiS7_S7_Pfiiiiiiiiiiiiii15HIP_vector_typeIjLj3EESA_
		.amdhsa_group_segment_fixed_size 0
		.amdhsa_private_segment_fixed_size 0
		.amdhsa_kernarg_size 128
		.amdhsa_user_sgpr_count 6
		.amdhsa_user_sgpr_private_segment_buffer 1
		.amdhsa_user_sgpr_dispatch_ptr 0
		.amdhsa_user_sgpr_queue_ptr 0
		.amdhsa_user_sgpr_kernarg_segment_ptr 1
		.amdhsa_user_sgpr_dispatch_id 0
		.amdhsa_user_sgpr_flat_scratch_init 0
		.amdhsa_user_sgpr_kernarg_preload_length 0
		.amdhsa_user_sgpr_kernarg_preload_offset 0
		.amdhsa_user_sgpr_private_segment_size 0
		.amdhsa_uses_dynamic_stack 0
		.amdhsa_system_sgpr_private_segment_wavefront_offset 0
		.amdhsa_system_sgpr_workgroup_id_x 1
		.amdhsa_system_sgpr_workgroup_id_y 1
		.amdhsa_system_sgpr_workgroup_id_z 1
		.amdhsa_system_sgpr_workgroup_info 0
		.amdhsa_system_vgpr_workitem_id 1
		.amdhsa_next_free_vgpr 102
		.amdhsa_next_free_sgpr 96
		.amdhsa_accum_offset 104
		.amdhsa_reserve_vcc 1
		.amdhsa_reserve_flat_scratch 0
		.amdhsa_float_round_mode_32 0
		.amdhsa_float_round_mode_16_64 0
		.amdhsa_float_denorm_mode_32 3
		.amdhsa_float_denorm_mode_16_64 3
		.amdhsa_dx10_clamp 1
		.amdhsa_ieee_mode 1
		.amdhsa_fp16_overflow 0
		.amdhsa_tg_split 0
		.amdhsa_exception_fp_ieee_invalid_op 0
		.amdhsa_exception_fp_denorm_src 0
		.amdhsa_exception_fp_ieee_div_zero 0
		.amdhsa_exception_fp_ieee_overflow 0
		.amdhsa_exception_fp_ieee_underflow 0
		.amdhsa_exception_fp_ieee_inexact 0
		.amdhsa_exception_int_div_zero 0
	.end_amdhsa_kernel
	.section	.text._ZL13mul_mat_f_idsI7__half2Li64ELi4ELi8EEvPKT_PKfPKiS7_S7_Pfiiiiiiiiiiiiii15HIP_vector_typeIjLj3EESA_,"axG",@progbits,_ZL13mul_mat_f_idsI7__half2Li64ELi4ELi8EEvPKT_PKfPKiS7_S7_Pfiiiiiiiiiiiiii15HIP_vector_typeIjLj3EESA_,comdat
.Lfunc_end120:
	.size	_ZL13mul_mat_f_idsI7__half2Li64ELi4ELi8EEvPKT_PKfPKiS7_S7_Pfiiiiiiiiiiiiii15HIP_vector_typeIjLj3EESA_, .Lfunc_end120-_ZL13mul_mat_f_idsI7__half2Li64ELi4ELi8EEvPKT_PKfPKiS7_S7_Pfiiiiiiiiiiiiii15HIP_vector_typeIjLj3EESA_
                                        ; -- End function
	.section	.AMDGPU.csdata,"",@progbits
; Kernel info:
; codeLenInByte = 5476
; NumSgprs: 100
; NumVgprs: 102
; NumAgprs: 0
; TotalNumVgprs: 102
; ScratchSize: 0
; MemoryBound: 0
; FloatMode: 240
; IeeeMode: 1
; LDSByteSize: 0 bytes/workgroup (compile time only)
; SGPRBlocks: 12
; VGPRBlocks: 12
; NumSGPRsForWavesPerEU: 100
; NumVGPRsForWavesPerEU: 102
; AccumOffset: 104
; Occupancy: 4
; WaveLimiterHint : 1
; COMPUTE_PGM_RSRC2:SCRATCH_EN: 0
; COMPUTE_PGM_RSRC2:USER_SGPR: 6
; COMPUTE_PGM_RSRC2:TRAP_HANDLER: 0
; COMPUTE_PGM_RSRC2:TGID_X_EN: 1
; COMPUTE_PGM_RSRC2:TGID_Y_EN: 1
; COMPUTE_PGM_RSRC2:TGID_Z_EN: 1
; COMPUTE_PGM_RSRC2:TIDIG_COMP_CNT: 1
; COMPUTE_PGM_RSRC3_GFX90A:ACCUM_OFFSET: 25
; COMPUTE_PGM_RSRC3_GFX90A:TG_SPLIT: 0
	.section	.text._ZL9mul_mat_fI7__half2Li64ELi4ELi8ELb1EEvPKT_PKfPKiPfiiiiiiiiiiiiiiii,"axG",@progbits,_ZL9mul_mat_fI7__half2Li64ELi4ELi8ELb1EEvPKT_PKfPKiPfiiiiiiiiiiiiiiii,comdat
	.globl	_ZL9mul_mat_fI7__half2Li64ELi4ELi8ELb1EEvPKT_PKfPKiPfiiiiiiiiiiiiiiii ; -- Begin function _ZL9mul_mat_fI7__half2Li64ELi4ELi8ELb1EEvPKT_PKfPKiPfiiiiiiiiiiiiiiii
	.p2align	8
	.type	_ZL9mul_mat_fI7__half2Li64ELi4ELi8ELb1EEvPKT_PKfPKiPfiiiiiiiiiiiiiiii,@function
_ZL9mul_mat_fI7__half2Li64ELi4ELi8ELb1EEvPKT_PKfPKiPfiiiiiiiiiiiiiiii: ; @_ZL9mul_mat_fI7__half2Li64ELi4ELi8ELb1EEvPKT_PKfPKiPfiiiiiiiiiiiiiiii
; %bb.0:
	s_load_dwordx8 s[12:19], s[4:5], 0x20
	v_bfe_u32 v17, v0, 10, 10
	v_and_b32_e32 v16, 0x3ff, v0
	v_cmp_eq_u32_e32 vcc, 0, v16
	v_mul_i32_i24_e32 v89, 0xffffef84, v17
	s_waitcnt lgkmcnt(0)
	s_add_i32 s0, s13, 3
	s_ashr_i32 s1, s0, 31
	s_lshr_b32 s1, s1, 30
	s_add_i32 s0, s0, s1
	s_ashr_i32 s0, s0, 2
	v_cvt_f32_u32_e32 v1, s0
	s_load_dwordx8 s[20:27], s[4:5], 0x44
	s_load_dword s1, s[4:5], 0x64
	s_sub_i32 s2, 0, s0
	s_add_u32 s10, s4, 0x60
	v_rcp_iflag_f32_e32 v1, v1
	s_addc_u32 s11, s5, 0
	v_mul_f32_e32 v1, 0x4f7ffffe, v1
	v_cvt_u32_f32_e32 v1, v1
	v_readfirstlane_b32 s3, v1
	s_mul_i32 s2, s2, s3
	s_mul_hi_u32 s2, s3, s2
	s_add_i32 s3, s3, s2
	s_waitcnt lgkmcnt(0)
	s_mul_hi_u32 s2, s1, s3
	s_mul_i32 s3, s2, s0
	s_sub_i32 s1, s1, s3
	s_add_i32 s9, s2, 1
	s_sub_i32 s3, s1, s0
	s_cmp_ge_u32 s1, s0
	s_cselect_b32 s2, s9, s2
	s_cselect_b32 s1, s3, s1
	s_add_i32 s3, s2, 1
	s_cmp_ge_u32 s1, s0
	s_cselect_b32 s9, s3, s2
	s_abs_i32 s27, s23
	v_cvt_f32_u32_e32 v1, s9
	v_cvt_f32_u32_e32 v2, s27
	s_sub_i32 s0, 0, s9
	s_sub_i32 s1, 0, s27
	v_rcp_iflag_f32_e32 v1, v1
	v_rcp_iflag_f32_e32 v2, v2
	s_abs_i32 s33, s8
	v_mul_f32_e32 v1, 0x4f7ffffe, v1
	v_mul_f32_e32 v2, 0x4f7ffffe, v2
	v_cvt_u32_f32_e32 v1, v1
	v_cvt_u32_f32_e32 v2, v2
	v_readfirstlane_b32 s2, v1
	v_readfirstlane_b32 s35, v2
	s_mul_i32 s0, s0, s2
	s_mul_i32 s1, s1, s35
	s_mul_hi_u32 s0, s2, s0
	s_mul_hi_u32 s1, s35, s1
	s_add_i32 s2, s2, s0
	s_movk_i32 s0, 0x1080
	v_mov_b32_e32 v1, 0x100
	s_mul_hi_u32 s34, s7, s2
	s_add_i32 s35, s35, s1
	v_mad_u32_u24 v88, v17, s0, v1
	s_and_saveexec_b64 s[0:1], vcc
	s_cbranch_execz .LBB121_2
; %bb.1:
	v_add_u32_e32 v1, v88, v89
	v_mov_b32_e32 v2, -1
	ds_write_b32 v1, v2
.LBB121_2:
	s_or_b64 exec, exec, s[0:1]
	s_mul_i32 s0, s34, s9
	s_sub_i32 s0, s7, s0
	s_mul_hi_u32 s36, s33, s35
	s_add_i32 s1, s34, 1
	s_sub_i32 s35, s0, s9
	s_cmp_ge_u32 s0, s9
	s_cselect_b32 s1, s1, s34
	s_cselect_b32 s0, s35, s0
	s_add_i32 s34, s1, 1
	s_cmp_ge_u32 s0, s9
	s_load_dwordx4 s[28:31], s[4:5], 0x0
	s_load_dwordx2 s[2:3], s[4:5], 0x18
	s_cselect_b32 s0, s34, s1
	s_mul_i32 s1, s0, s9
	s_lshl_b32 s9, s0, 2
	v_add_u32_e32 v1, s9, v17
	s_sub_i32 s7, s7, s1
	v_cmp_gt_i32_e32 vcc, s13, v1
	v_cmp_gt_i32_e64 s[0:1], s14, v16
	s_and_b64 s[0:1], vcc, s[0:1]
	v_mov_b32_e32 v1, 0
	s_and_saveexec_b64 s[34:35], s[0:1]
	s_cbranch_execz .LBB121_8
; %bb.3:
	s_load_dwordx2 s[0:1], s[4:5], 0x10
	s_mul_hi_i32 s5, s9, s19
	s_mul_i32 s4, s9, s19
	v_mul_lo_u32 v2, v17, s19
	s_lshl_b64 s[4:5], s[4:5], 2
	s_waitcnt lgkmcnt(0)
	s_add_u32 s0, s0, s4
	v_ashrrev_i32_e32 v3, 31, v2
	s_addc_u32 s1, s1, s5
	v_lshlrev_b64 v[2:3], 2, v[2:3]
	v_mov_b32_e32 v4, s1
	v_add_co_u32_e32 v1, vcc, s0, v2
	v_addc_co_u32_e32 v4, vcc, v4, v3, vcc
	v_mul_lo_u32 v2, v16, s18
	s_lshl_b32 s37, s18, 6
	s_mov_b64 s[4:5], 0
	v_mov_b32_e32 v5, 0
	v_add_u32_e32 v6, v88, v89
	v_mov_b32_e32 v7, v16
	s_branch .LBB121_5
.LBB121_4:                              ;   in Loop: Header=BB121_5 Depth=1
	s_or_b64 exec, exec, s[18:19]
	v_add_u32_e32 v7, 64, v7
	v_cmp_le_i32_e64 s[0:1], s14, v7
	s_xor_b64 s[18:19], vcc, -1
	s_or_b64 s[0:1], s[18:19], s[0:1]
	s_and_b64 s[0:1], exec, s[0:1]
	s_or_b64 s[4:5], s[0:1], s[4:5]
	v_add_u32_e32 v2, s37, v2
	s_andn2_b64 exec, exec, s[4:5]
	s_cbranch_execz .LBB121_7
.LBB121_5:                              ; =>This Inner Loop Header: Depth=1
	v_ashrrev_i32_e32 v3, 31, v2
	v_lshlrev_b64 v[8:9], 2, v[2:3]
	v_add_co_u32_e32 v8, vcc, v1, v8
	v_addc_co_u32_e32 v9, vcc, v4, v9, vcc
	global_load_dword v3, v[8:9], off
	s_waitcnt vmcnt(0)
	v_cmp_ne_u32_e32 vcc, s7, v3
	v_cmp_eq_u32_e64 s[0:1], s7, v3
	s_and_saveexec_b64 s[18:19], s[0:1]
	s_cbranch_execz .LBB121_4
; %bb.6:                                ;   in Loop: Header=BB121_5 Depth=1
	v_mov_b32_e32 v5, 1
	ds_write_b32 v6, v7
	s_branch .LBB121_4
.LBB121_7:
	s_or_b64 exec, exec, s[4:5]
	v_cmp_ne_u32_e32 vcc, 0, v5
	v_cndmask_b32_e64 v1, 0, 1, vcc
.LBB121_8:
	s_or_b64 exec, exec, s[34:35]
	s_load_dwordx2 s[0:1], s[10:11], 0xc
	v_or_b32_dpp v1, v1, v1 row_shl:1 row_mask:0xf bank_mask:0xf bound_ctrl:1
	s_ashr_i32 s4, s8, 31
	s_ashr_i32 s5, s23, 31
	v_or_b32_dpp v1, v1, v1 row_shl:2 row_mask:0xf bank_mask:0xf bound_ctrl:1
	s_waitcnt lgkmcnt(0)
	s_and_b32 s10, s1, 0xffff
	s_lshr_b32 s1, s0, 16
	s_and_b32 s0, s0, 0xffff
	s_mul_i32 s11, s1, s0
	v_or_b32_dpp v1, v1, v1 row_shl:4 row_mask:0xf bank_mask:0xf bound_ctrl:1
	s_bfe_i32 s11, s11, 0x180000
	s_mul_i32 s10, s11, s10
	v_or_b32_dpp v1, v1, v1 row_shl:8 row_mask:0xf bank_mask:0xf bound_ctrl:1
	s_add_i32 s11, s10, 63
	s_bitcmp1_b32 exec_hi, 0
	v_mov_b32_dpp v2, v1 wave_shl:1 row_mask:0xf bank_mask:0xf bound_ctrl:1
	s_nop 1
	v_or_b32_dpp v1, v2, v1 row_mirror row_mask:0xf bank_mask:0xf bound_ctrl:1
	v_readlane_b32 s10, v1, 32
	s_cselect_b32 s10, s10, 0
	v_readlane_b32 s14, v1, 0
	s_or_b32 s10, s10, s14
	s_andn2_b32 s11, s11, 63
	s_cmp_lg_u32 s11, 64
	v_mov_b32_e32 v1, s10
	s_cbranch_scc0 .LBB121_15
; %bb.9:
	v_bfe_u32 v0, v0, 20, 10
	v_mbcnt_lo_u32_b32 v1, -1, 0
	v_mad_u32_u24 v0, v0, s1, v17
	v_mbcnt_hi_u32_b32 v2, -1, v1
	v_mad_u64_u32 v[0:1], s[0:1], v0, s0, v[16:17]
	v_lshrrev_b32_e32 v1, 6, v0
	v_or_b32_e32 v1, v2, v1
	v_cmp_eq_u32_e32 vcc, 0, v1
	s_and_saveexec_b64 s[0:1], vcc
	s_cbranch_execz .LBB121_11
; %bb.10:
	v_mov_b32_e32 v1, 0
	v_mov_b32_e32 v3, s10
	ds_write_b32 v1, v3
.LBB121_11:
	s_or_b64 exec, exec, s[0:1]
	v_cmp_eq_u32_e32 vcc, 0, v2
	v_cmp_lt_u32_e64 s[0:1], 63, v0
	s_and_b64 s[18:19], s[0:1], vcc
	s_waitcnt lgkmcnt(0)
	s_barrier
	s_and_saveexec_b64 s[0:1], s[18:19]
	s_cbranch_execz .LBB121_14
; %bb.12:
	v_mbcnt_lo_u32_b32 v0, exec_lo, 0
	v_mbcnt_hi_u32_b32 v0, exec_hi, v0
	v_cmp_eq_u32_e32 vcc, 0, v0
	s_and_b64 exec, exec, vcc
	s_cbranch_execz .LBB121_14
; %bb.13:
	v_mov_b32_e32 v0, 0
	v_mov_b32_e32 v1, s10
	ds_or_b32 v0, v1
.LBB121_14:
	s_or_b64 exec, exec, s[0:1]
	v_mov_b32_e32 v0, 0
	s_waitcnt lgkmcnt(0)
	s_barrier
	ds_read_b32 v1, v0
	s_waitcnt lgkmcnt(0)
	s_barrier
.LBB121_15:
	v_cmp_ne_u32_e32 vcc, 0, v1
	s_cbranch_vccz .LBB121_37
; %bb.16:
	v_lshlrev_b32_e32 v90, 6, v17
	v_add_u32_e32 v92, v90, v16
	v_cmp_le_i32_e32 vcc, s12, v92
	v_and_b32_e32 v91, 15, v16
                                        ; implicit-def: $sgpr10
	s_and_saveexec_b64 s[0:1], vcc
	s_xor_b64 s[0:1], exec, s[0:1]
; %bb.17:
	v_and_b32_e32 v91, 15, v16
	s_mov_b32 s10, 0
                                        ; implicit-def: $vgpr92
; %bb.18:
	s_or_saveexec_b64 s[0:1], s[0:1]
	s_lshl_b32 s23, s6, 6
	v_mov_b32_e32 v11, s10
	v_mov_b32_e32 v10, s10
	;; [unrolled: 1-line block ×16, first 2 shown]
	s_xor_b64 exec, exec, s[0:1]
	s_cbranch_execz .LBB121_34
; %bb.19:
	s_xor_b32 s4, s4, s5
	s_mul_i32 s5, s36, s27
	s_sub_i32 s5, s33, s5
	s_add_i32 s6, s36, 1
	s_sub_i32 s10, s5, s27
	s_cmp_ge_u32 s5, s27
	s_cselect_b32 s6, s6, s36
	s_cselect_b32 s5, s10, s5
	s_add_i32 s10, s6, 1
	s_cmp_ge_u32 s5, s27
	s_cselect_b32 s5, s10, s6
	s_xor_b32 s5, s5, s4
	s_sub_i32 s4, s5, s4
	s_mul_hi_i32 s5, s4, s24
	s_mul_i32 s4, s4, s24
	s_mul_i32 s6, s7, s20
	s_ashr_i32 s7, s6, 31
	s_lshl_b64 s[34:35], s[4:5], 2
	s_add_u32 s4, s28, s34
	s_addc_u32 s5, s29, s35
	s_lshl_b64 s[36:37], s[6:7], 2
	s_mul_i32 s10, s23, s15
	s_add_u32 s14, s4, s36
	s_addc_u32 s18, s5, s37
	s_mul_hi_i32 s7, s16, s9
	s_mul_i32 s6, s16, s9
	s_ashr_i32 s11, s10, 31
	s_lshl_b64 s[6:7], s[6:7], 3
	s_lshl_b64 s[38:39], s[10:11], 2
	s_mul_hi_i32 s5, s25, s8
	s_mul_i32 s4, s25, s8
	s_add_u32 s20, s14, s38
	s_addc_u32 s14, s18, s39
	s_lshl_b64 s[4:5], s[4:5], 2
	s_add_u32 s4, s30, s4
	s_addc_u32 s5, s31, s5
	s_add_u32 s27, s4, s6
	s_addc_u32 s30, s5, s7
	s_cmp_lt_i32 s9, s13
	s_cselect_b64 s[4:5], -1, 0
	s_or_b32 s6, s9, 1
	s_cmp_lt_i32 s6, s13
	s_cselect_b64 s[6:7], -1, 0
	s_or_b32 s10, s9, 2
	s_cmp_lt_i32 s10, s13
	s_cselect_b64 s[10:11], -1, 0
	s_lshl_b32 s31, s16, 2
	s_or_b32 s18, s9, 3
	s_cmp_lt_i32 s18, s13
	s_cselect_b64 s[18:19], -1, 0
	s_ashr_i32 s25, s15, 31
	s_mov_b32 s24, s15
	s_lshl_b64 s[24:25], s[24:25], 2
	s_add_u32 s33, s34, s38
	s_addc_u32 s34, s35, s39
	v_lshrrev_b32_e32 v1, 1, v16
	s_add_u32 s33, s33, s36
	v_mul_u32_u24_e32 v0, 0x108, v91
	v_and_b32_e32 v1, 0x1f8, v1
	s_addc_u32 s34, s34, s37
	v_add3_u32 v94, v88, v0, v1
	v_lshlrev_b32_e32 v0, 1, v16
	s_add_u32 s28, s28, s33
	v_lshl_add_u32 v95, v17, 7, v0
	v_lshlrev_b32_e32 v0, 2, v92
	s_addc_u32 s29, s29, s34
	v_mov_b32_e32 v1, s29
	v_add_co_u32_e32 v18, vcc, s28, v0
	v_mov_b32_e32 v97, 0
	v_lshl_add_u32 v93, v16, 2, v88
	v_addc_co_u32_e32 v19, vcc, 0, v1, vcc
	s_mul_i32 s28, s16, 6
	s_lshl_b32 s16, s16, 1
	s_lshl_b32 s29, s15, 1
	s_mul_i32 s33, s15, 3
	s_lshl_b32 s34, s15, 2
	s_mul_i32 s35, s15, 5
	s_mul_i32 s36, s15, 6
	;; [unrolled: 1-line block ×3, first 2 shown]
	s_lshl_b32 s38, s15, 3
	s_mul_i32 s39, s15, 9
	s_mul_i32 s40, s15, 10
	;; [unrolled: 1-line block ×7, first 2 shown]
	s_lshl_b32 s46, s15, 4
	s_mul_i32 s47, s15, 17
	s_mul_i32 s48, s15, 18
	;; [unrolled: 1-line block ×15, first 2 shown]
	s_lshl_b32 s62, s15, 5
	s_mul_i32 s63, s15, 33
	s_mul_i32 s64, s15, 34
	;; [unrolled: 1-line block ×11, first 2 shown]
	v_mov_b32_e32 v96, s14
	s_mul_i32 s74, s15, 44
	v_mov_b32_e32 v98, s25
	v_mov_b32_e32 v99, 0x100
	;; [unrolled: 1-line block ×18, first 2 shown]
	s_mul_i32 s25, s15, 45
	s_mul_i32 s75, s15, 46
	;; [unrolled: 1-line block ×19, first 2 shown]
	s_mov_b64 s[14:15], 0
	s_branch .LBB121_21
.LBB121_20:                             ;   in Loop: Header=BB121_21 Depth=1
	s_waitcnt vmcnt(0)
	v_cvt_f16_f32_e32 v84, v84
	v_cvt_f16_f32_e32 v85, v85
	v_add_u32_e32 v86, 0x200, v93
	v_add_u32_e32 v87, 0x400, v93
	v_add_co_u32_e32 v18, vcc, 0x800, v18
	v_pack_b32_f16 v84, v84, v85
	ds_write2_b32 v86, v84, v97 offset0:86 offset1:152
	ds_write2_b32 v87, v97, v97 offset0:90 offset1:156
	v_add_u32_e32 v84, 0x600, v93
	ds_write2_b32 v84, v97, v97 offset0:94 offset1:160
	v_add_u32_e32 v84, 0x800, v93
	;; [unrolled: 2-line block ×4, first 2 shown]
	ds_write2_b32 v84, v97, v97 offset0:106 offset1:172
	ds_write_b32 v93, v97 offset:4024
	ds_read2_b64 v[84:87], v94 offset0:8 offset1:12
	s_waitcnt lgkmcnt(0)
	v_mfma_f32_16x16x16f16 v[8:11], v[36:37], v[84:85], v[8:11]
	v_add_u32_e32 v92, 0x200, v92
	v_addc_co_u32_e32 v19, vcc, 0, v19, vcc
	v_cmp_le_i32_e32 vcc, s12, v92
	v_add_u32_e32 v95, 0x400, v95
	s_or_b64 s[14:15], vcc, s[14:15]
	v_mfma_f32_16x16x16f16 v[4:7], v[52:53], v[84:85], v[4:7]
	v_mfma_f32_16x16x16f16 v[0:3], v[66:67], v[84:85], v[0:3]
	;; [unrolled: 1-line block ×5, first 2 shown]
	ds_read2_b64 v[50:53], v94 offset0:16 offset1:20
	v_mfma_f32_16x16x16f16 v[0:3], v[64:65], v[86:87], v[0:3]
	v_mfma_f32_16x16x16f16 v[12:15], v[80:81], v[86:87], v[12:15]
	s_waitcnt lgkmcnt(0)
	v_mfma_f32_16x16x16f16 v[8:11], v[30:31], v[50:51], v[8:11]
	v_mfma_f32_16x16x16f16 v[4:7], v[46:47], v[50:51], v[4:7]
	;; [unrolled: 1-line block ×5, first 2 shown]
	ds_read2_b64 v[28:31], v94 offset0:24 offset1:28
	v_mfma_f32_16x16x16f16 v[4:7], v[44:45], v[52:53], v[4:7]
	v_mfma_f32_16x16x16f16 v[0:3], v[60:61], v[52:53], v[0:3]
	;; [unrolled: 1-line block ×3, first 2 shown]
	s_waitcnt lgkmcnt(0)
	v_mfma_f32_16x16x16f16 v[8:11], v[26:27], v[28:29], v[8:11]
	v_mfma_f32_16x16x16f16 v[4:7], v[42:43], v[28:29], v[4:7]
	;; [unrolled: 1-line block ×5, first 2 shown]
	ds_read2_b64 v[24:27], v94 offset0:32 offset1:36
	v_mfma_f32_16x16x16f16 v[4:7], v[40:41], v[30:31], v[4:7]
	v_mfma_f32_16x16x16f16 v[0:3], v[56:57], v[30:31], v[0:3]
	;; [unrolled: 1-line block ×3, first 2 shown]
	s_waitcnt lgkmcnt(0)
	v_mfma_f32_16x16x16f16 v[8:11], v[22:23], v[24:25], v[8:11]
	v_mfma_f32_16x16x16f16 v[4:7], v[38:39], v[24:25], v[4:7]
	v_mfma_f32_16x16x16f16 v[0:3], v[54:55], v[24:25], v[0:3]
	v_mfma_f32_16x16x16f16 v[12:15], v[70:71], v[24:25], v[12:15]
	v_mfma_f32_16x16x16f16 v[8:11], v[20:21], v[26:27], v[8:11]
	v_mfma_f32_16x16x16f16 v[4:7], v[34:35], v[26:27], v[4:7]
	v_mfma_f32_16x16x16f16 v[0:3], v[48:49], v[26:27], v[0:3]
	v_mfma_f32_16x16x16f16 v[12:15], v[68:69], v[26:27], v[12:15]
	s_andn2_b64 exec, exec, s[14:15]
	s_cbranch_execz .LBB121_33
.LBB121_21:                             ; =>This Inner Loop Header: Depth=1
	v_add_co_u32_e32 v20, vcc, s24, v18
	v_addc_co_u32_e32 v21, vcc, v19, v98, vcc
	global_load_dword v32, v[18:19], off
	global_load_dword v33, v[20:21], off
	v_add_u32_e32 v20, s29, v92
	v_ashrrev_i32_e32 v21, 31, v20
	v_lshlrev_b64 v[20:21], 2, v[20:21]
	v_add_u32_e32 v22, s33, v92
	v_add_co_u32_e32 v20, vcc, s20, v20
	v_ashrrev_i32_e32 v23, 31, v22
	v_addc_co_u32_e32 v21, vcc, v96, v21, vcc
	v_lshlrev_b64 v[22:23], 2, v[22:23]
	v_add_u32_e32 v24, s34, v92
	v_add_co_u32_e32 v22, vcc, s20, v22
	v_ashrrev_i32_e32 v25, 31, v24
	v_addc_co_u32_e32 v23, vcc, v96, v23, vcc
	;; [unrolled: 5-line block ×5, first 2 shown]
	v_lshlrev_b64 v[30:31], 2, v[30:31]
	v_add_co_u32_e32 v30, vcc, s20, v30
	v_addc_co_u32_e32 v31, vcc, v96, v31, vcc
	global_load_dword v34, v[20:21], off
	global_load_dword v35, v[22:23], off
	;; [unrolled: 1-line block ×3, first 2 shown]
	s_nop 0
	global_load_dword v26, v[26:27], off
	s_nop 0
	global_load_dword v27, v[28:29], off
	;; [unrolled: 2-line block ×3, first 2 shown]
	v_add_u32_e32 v20, s38, v92
	v_ashrrev_i32_e32 v21, 31, v20
	v_add_u32_e32 v22, s39, v92
	v_lshlrev_b64 v[20:21], 2, v[20:21]
	v_ashrrev_i32_e32 v23, 31, v22
	v_add_co_u32_e32 v20, vcc, s20, v20
	v_add_u32_e32 v24, s40, v92
	v_lshlrev_b64 v[22:23], 2, v[22:23]
	v_addc_co_u32_e32 v21, vcc, v96, v21, vcc
	v_ashrrev_i32_e32 v25, 31, v24
	v_add_co_u32_e32 v22, vcc, s20, v22
	v_lshlrev_b64 v[24:25], 2, v[24:25]
	v_addc_co_u32_e32 v23, vcc, v96, v23, vcc
	global_load_dword v20, v[20:21], off
	s_nop 0
	global_load_dword v21, v[22:23], off
	v_add_u32_e32 v22, s41, v92
	v_add_co_u32_e32 v24, vcc, s20, v24
	v_ashrrev_i32_e32 v23, 31, v22
	v_addc_co_u32_e32 v25, vcc, v96, v25, vcc
	v_lshlrev_b64 v[22:23], 2, v[22:23]
	v_add_u32_e32 v60, s71, v92
	v_ashrrev_i32_e32 v61, 31, v60
	v_lshlrev_b64 v[60:61], 2, v[60:61]
	s_waitcnt vmcnt(9)
	ds_write_b32 v93, v32 offset:64
	s_waitcnt vmcnt(8)
	ds_write_b32 v93, v33 offset:328
	;; [unrolled: 2-line block ×8, first 2 shown]
	v_add_co_u32_e32 v26, vcc, s20, v22
	v_add_u32_e32 v22, s42, v92
	v_addc_co_u32_e32 v27, vcc, v96, v23, vcc
	v_ashrrev_i32_e32 v23, 31, v22
	v_lshlrev_b64 v[22:23], 2, v[22:23]
	v_add_co_u32_e32 v28, vcc, s20, v22
	v_add_u32_e32 v22, s43, v92
	v_addc_co_u32_e32 v29, vcc, v96, v23, vcc
	v_ashrrev_i32_e32 v23, 31, v22
	v_lshlrev_b64 v[22:23], 2, v[22:23]
	;; [unrolled: 5-line block ×6, first 2 shown]
	v_add_co_u32_e32 v38, vcc, s20, v22
	v_addc_co_u32_e32 v39, vcc, v96, v23, vcc
	global_load_dword v22, v[24:25], off
	global_load_dword v23, v[26:27], off
	s_nop 0
	global_load_dword v24, v[28:29], off
	global_load_dword v25, v[30:31], off
	;; [unrolled: 1-line block ×4, first 2 shown]
	s_nop 0
	global_load_dword v34, v[36:37], off
	global_load_dword v35, v[38:39], off
	v_add_u32_e32 v28, s48, v92
	v_ashrrev_i32_e32 v29, 31, v28
	v_lshlrev_b64 v[28:29], 2, v[28:29]
	v_add_u32_e32 v30, s49, v92
	v_add_co_u32_e32 v28, vcc, s20, v28
	v_ashrrev_i32_e32 v31, 31, v30
	v_addc_co_u32_e32 v29, vcc, v96, v29, vcc
	v_lshlrev_b64 v[30:31], 2, v[30:31]
	v_add_u32_e32 v32, s50, v92
	v_add_co_u32_e32 v30, vcc, s20, v30
	v_ashrrev_i32_e32 v33, 31, v32
	v_addc_co_u32_e32 v31, vcc, v96, v31, vcc
	;; [unrolled: 5-line block ×4, first 2 shown]
	v_lshlrev_b64 v[38:39], 2, v[38:39]
	v_add_co_u32_e32 v42, vcc, s20, v38
	v_add_u32_e32 v38, s53, v92
	v_addc_co_u32_e32 v43, vcc, v96, v39, vcc
	v_ashrrev_i32_e32 v39, 31, v38
	v_lshlrev_b64 v[38:39], 2, v[38:39]
	v_add_co_u32_e32 v44, vcc, s20, v38
	v_add_u32_e32 v38, s54, v92
	v_addc_co_u32_e32 v45, vcc, v96, v39, vcc
	v_ashrrev_i32_e32 v39, 31, v38
	;; [unrolled: 5-line block ×3, first 2 shown]
	v_lshlrev_b64 v[38:39], 2, v[38:39]
	v_add_co_u32_e32 v48, vcc, s20, v38
	v_addc_co_u32_e32 v49, vcc, v96, v39, vcc
	global_load_dword v38, v[28:29], off
	global_load_dword v39, v[30:31], off
	;; [unrolled: 1-line block ×4, first 2 shown]
	s_nop 0
	global_load_dword v42, v[42:43], off
	s_nop 0
	global_load_dword v43, v[44:45], off
	;; [unrolled: 2-line block ×3, first 2 shown]
	global_load_dword v45, v[48:49], off
	v_add_u32_e32 v28, s56, v92
	v_ashrrev_i32_e32 v29, 31, v28
	v_lshlrev_b64 v[28:29], 2, v[28:29]
	v_add_u32_e32 v30, s57, v92
	v_add_co_u32_e32 v28, vcc, s20, v28
	v_ashrrev_i32_e32 v31, 31, v30
	v_addc_co_u32_e32 v29, vcc, v96, v29, vcc
	v_lshlrev_b64 v[30:31], 2, v[30:31]
	v_add_u32_e32 v32, s58, v92
	v_add_co_u32_e32 v30, vcc, s20, v30
	v_ashrrev_i32_e32 v33, 31, v32
	v_addc_co_u32_e32 v31, vcc, v96, v31, vcc
	;; [unrolled: 5-line block ×4, first 2 shown]
	v_lshlrev_b64 v[46:47], 2, v[46:47]
	v_add_co_u32_e32 v48, vcc, s20, v46
	v_add_u32_e32 v46, s61, v92
	v_addc_co_u32_e32 v49, vcc, v96, v47, vcc
	v_ashrrev_i32_e32 v47, 31, v46
	v_lshlrev_b64 v[46:47], 2, v[46:47]
	v_add_co_u32_e32 v54, vcc, s20, v46
	v_add_u32_e32 v46, s62, v92
	v_addc_co_u32_e32 v55, vcc, v96, v47, vcc
	v_ashrrev_i32_e32 v47, 31, v46
	;; [unrolled: 5-line block ×3, first 2 shown]
	v_lshlrev_b64 v[46:47], 2, v[46:47]
	v_add_co_u32_e32 v58, vcc, s20, v46
	v_addc_co_u32_e32 v59, vcc, v96, v47, vcc
	global_load_dword v46, v[28:29], off
	global_load_dword v47, v[30:31], off
	;; [unrolled: 1-line block ×6, first 2 shown]
	s_nop 0
	global_load_dword v48, v[56:57], off
	global_load_dword v49, v[58:59], off
	v_add_u32_e32 v28, s64, v92
	v_ashrrev_i32_e32 v29, 31, v28
	v_lshlrev_b64 v[28:29], 2, v[28:29]
	v_add_u32_e32 v30, s65, v92
	v_add_co_u32_e32 v28, vcc, s20, v28
	v_ashrrev_i32_e32 v31, 31, v30
	v_addc_co_u32_e32 v29, vcc, v96, v29, vcc
	v_lshlrev_b64 v[30:31], 2, v[30:31]
	v_add_u32_e32 v32, s66, v92
	v_add_co_u32_e32 v30, vcc, s20, v30
	v_ashrrev_i32_e32 v33, 31, v32
	v_addc_co_u32_e32 v31, vcc, v96, v31, vcc
	;; [unrolled: 5-line block ×6, first 2 shown]
	v_lshlrev_b64 v[58:59], 2, v[58:59]
	v_add_co_u32_e32 v58, vcc, s20, v58
	v_addc_co_u32_e32 v59, vcc, v96, v59, vcc
	v_add_co_u32_e32 v60, vcc, s20, v60
	v_addc_co_u32_e32 v61, vcc, v96, v61, vcc
	global_load_dword v62, v[28:29], off
	global_load_dword v63, v[30:31], off
	;; [unrolled: 1-line block ×8, first 2 shown]
	v_add_u32_e32 v28, s72, v92
	v_ashrrev_i32_e32 v29, 31, v28
	v_lshlrev_b64 v[28:29], 2, v[28:29]
	v_add_u32_e32 v30, s73, v92
	v_add_co_u32_e32 v28, vcc, s20, v28
	v_ashrrev_i32_e32 v31, 31, v30
	v_addc_co_u32_e32 v29, vcc, v96, v29, vcc
	v_lshlrev_b64 v[30:31], 2, v[30:31]
	v_add_u32_e32 v32, s74, v92
	v_add_co_u32_e32 v30, vcc, s20, v30
	v_ashrrev_i32_e32 v33, 31, v32
	v_addc_co_u32_e32 v31, vcc, v96, v31, vcc
	;; [unrolled: 5-line block ×7, first 2 shown]
	v_lshlrev_b64 v[60:61], 2, v[60:61]
	v_add_co_u32_e32 v60, vcc, s20, v60
	v_addc_co_u32_e32 v61, vcc, v96, v61, vcc
	global_load_dword v70, v[28:29], off
	global_load_dword v71, v[30:31], off
	;; [unrolled: 1-line block ×8, first 2 shown]
	v_add_u32_e32 v28, s79, v92
	v_ashrrev_i32_e32 v29, 31, v28
	v_lshlrev_b64 v[28:29], 2, v[28:29]
	v_add_u32_e32 v30, s80, v92
	v_add_co_u32_e32 v28, vcc, s20, v28
	v_ashrrev_i32_e32 v31, 31, v30
	v_addc_co_u32_e32 v29, vcc, v96, v29, vcc
	v_lshlrev_b64 v[30:31], 2, v[30:31]
	v_add_u32_e32 v32, s81, v92
	v_add_co_u32_e32 v30, vcc, s20, v30
	v_ashrrev_i32_e32 v33, 31, v32
	v_addc_co_u32_e32 v31, vcc, v96, v31, vcc
	;; [unrolled: 5-line block ×7, first 2 shown]
	v_lshlrev_b64 v[60:61], 2, v[60:61]
	v_add_co_u32_e32 v60, vcc, s20, v60
	v_addc_co_u32_e32 v61, vcc, v96, v61, vcc
	global_load_dword v78, v[28:29], off
	global_load_dword v79, v[30:31], off
	;; [unrolled: 1-line block ×8, first 2 shown]
	v_add_u32_e32 v28, s87, v92
	v_ashrrev_i32_e32 v29, 31, v28
	v_lshlrev_b64 v[28:29], 2, v[28:29]
	v_add_u32_e32 v30, s88, v92
	v_add_co_u32_e32 v28, vcc, s20, v28
	v_ashrrev_i32_e32 v31, 31, v30
	v_addc_co_u32_e32 v29, vcc, v96, v29, vcc
	v_lshlrev_b64 v[30:31], 2, v[30:31]
	v_add_u32_e32 v32, s89, v92
	v_add_co_u32_e32 v30, vcc, s20, v30
	v_ashrrev_i32_e32 v33, 31, v32
	v_addc_co_u32_e32 v31, vcc, v96, v31, vcc
	v_lshlrev_b64 v[32:33], 2, v[32:33]
	v_add_u32_e32 v36, s90, v92
	v_add_co_u32_e32 v32, vcc, s20, v32
	v_ashrrev_i32_e32 v37, 31, v36
	v_addc_co_u32_e32 v33, vcc, v96, v33, vcc
	v_lshlrev_b64 v[36:37], 2, v[36:37]
	v_add_u32_e32 v54, s91, v92
	v_add_co_u32_e32 v36, vcc, s20, v36
	v_ashrrev_i32_e32 v55, 31, v54
	v_addc_co_u32_e32 v37, vcc, v96, v37, vcc
	v_lshlrev_b64 v[54:55], 2, v[54:55]
	v_add_u32_e32 v56, s92, v92
	v_add_co_u32_e32 v54, vcc, s20, v54
	v_ashrrev_i32_e32 v57, 31, v56
	v_addc_co_u32_e32 v55, vcc, v96, v55, vcc
	v_lshlrev_b64 v[56:57], 2, v[56:57]
	v_add_co_u32_e32 v56, vcc, s20, v56
	v_addc_co_u32_e32 v57, vcc, v96, v57, vcc
	global_load_dword v86, v[28:29], off
	global_load_dword v87, v[30:31], off
	;; [unrolled: 1-line block ×6, first 2 shown]
	s_waitcnt vmcnt(55)
	ds_write_b32 v93, v20 offset:2176
	s_waitcnt vmcnt(54)
	ds_write_b32 v93, v21 offset:2440
	s_waitcnt vmcnt(53)
	ds_write_b32 v93, v22 offset:2704
	s_waitcnt vmcnt(52)
	ds_write_b32 v93, v23 offset:2968
	s_waitcnt vmcnt(51)
	ds_write_b32 v93, v24 offset:3232
	s_waitcnt vmcnt(50)
	ds_write_b32 v93, v25 offset:3496
	s_waitcnt vmcnt(49)
	ds_write_b32 v93, v26 offset:3760
	s_waitcnt vmcnt(48)
	ds_write_b32 v93, v27 offset:4024
	ds_read_b64 v[36:37], v94 offset:64
	ds_read_b64 v[32:33], v94 offset:96
	ds_read_b64 v[30:31], v94 offset:128
	ds_read_b64 v[28:29], v94 offset:160
	ds_read_b64 v[26:27], v94 offset:192
	ds_read_b64 v[24:25], v94 offset:224
	ds_read_b64 v[22:23], v94 offset:256
	ds_read_b64 v[20:21], v94 offset:288
	s_waitcnt vmcnt(47)
	ds_write_b32 v93, v34 offset:64
	s_waitcnt vmcnt(46)
	ds_write_b32 v93, v35 offset:328
	s_waitcnt vmcnt(45)
	ds_write_b32 v93, v38 offset:592
	s_waitcnt vmcnt(44)
	ds_write_b32 v93, v39 offset:856
	s_waitcnt vmcnt(43)
	ds_write_b32 v93, v40 offset:1120
	s_waitcnt vmcnt(42)
	ds_write_b32 v93, v41 offset:1384
	s_waitcnt vmcnt(41)
	ds_write_b32 v93, v42 offset:1648
	s_waitcnt vmcnt(40)
	ds_write_b32 v93, v43 offset:1912
	s_waitcnt vmcnt(39)
	ds_write_b32 v93, v44 offset:2176
	s_waitcnt vmcnt(38)
	ds_write_b32 v93, v45 offset:2440
	s_waitcnt vmcnt(37)
	ds_write_b32 v93, v46 offset:2704
	s_waitcnt vmcnt(36)
	ds_write_b32 v93, v47 offset:2968
	s_waitcnt vmcnt(35)
	ds_write_b32 v93, v50 offset:3232
	s_waitcnt vmcnt(34)
	ds_write_b32 v93, v51 offset:3496
	s_waitcnt vmcnt(33)
	ds_write_b32 v93, v52 offset:3760
	s_waitcnt vmcnt(32)
	ds_write_b32 v93, v53 offset:4024
	ds_read_b64 v[52:53], v94 offset:64
	ds_read_b64 v[50:51], v94 offset:96
	ds_read_b64 v[46:47], v94 offset:128
	ds_read_b64 v[44:45], v94 offset:160
	ds_read_b64 v[42:43], v94 offset:192
	ds_read_b64 v[40:41], v94 offset:224
	ds_read_b64 v[38:39], v94 offset:256
	ds_read_b64 v[34:35], v94 offset:288
	s_waitcnt vmcnt(31)
	ds_write_b32 v93, v48 offset:64
	s_waitcnt vmcnt(30)
	ds_write_b32 v93, v49 offset:328
	s_waitcnt vmcnt(29)
	ds_write_b32 v93, v62 offset:592
	s_waitcnt vmcnt(28)
	ds_write_b32 v93, v63 offset:856
	s_waitcnt vmcnt(27)
	ds_write_b32 v93, v64 offset:1120
	s_waitcnt vmcnt(26)
	ds_write_b32 v93, v65 offset:1384
	s_waitcnt vmcnt(25)
	ds_write_b32 v93, v66 offset:1648
	s_waitcnt vmcnt(24)
	ds_write_b32 v93, v67 offset:1912
	;; [unrolled: 40-line block ×3, first 2 shown]
	s_waitcnt vmcnt(7)
	ds_write_b32 v93, v84 offset:2176
	s_waitcnt vmcnt(6)
	ds_write_b32 v93, v85 offset:2440
	;; [unrolled: 2-line block ×8, first 2 shown]
	ds_read_b64 v[82:83], v94 offset:64
	ds_read_b64 v[80:81], v94 offset:96
	;; [unrolled: 1-line block ×8, first 2 shown]
	s_andn2_b64 vcc, exec, s[4:5]
	v_mov_b32_e32 v84, 0
	v_mov_b32_e32 v85, 0
	s_cbranch_vccnz .LBB121_24
; %bb.22:                               ;   in Loop: Header=BB121_21 Depth=1
	ds_read_b32 v86, v99
	v_mov_b32_e32 v85, 0
	v_mov_b32_e32 v84, 0
	s_waitcnt lgkmcnt(0)
	v_cmp_gt_i32_e32 vcc, 0, v86
	s_cbranch_vccnz .LBB121_24
; %bb.23:                               ;   in Loop: Header=BB121_21 Depth=1
	v_mul_lo_u32 v84, v86, s21
	v_add_u32_e32 v84, v95, v84
	v_ashrrev_i32_e32 v85, 31, v84
	v_lshlrev_b64 v[84:85], 2, v[84:85]
	v_mov_b32_e32 v86, s30
	v_add_co_u32_e32 v84, vcc, s27, v84
	v_addc_co_u32_e32 v85, vcc, v86, v85, vcc
	global_load_dwordx2 v[84:85], v[84:85], off
.LBB121_24:                             ;   in Loop: Header=BB121_21 Depth=1
	s_waitcnt vmcnt(0)
	v_cvt_f16_f32_e32 v84, v84
	v_cvt_f16_f32_e32 v85, v85
	s_andn2_b64 vcc, exec, s[6:7]
	v_mov_b32_e32 v86, 0
	v_mov_b32_e32 v87, 0
	v_pack_b32_f16 v84, v84, v85
	ds_write_b32 v93, v84 offset:64
	v_mov_b32_e32 v84, 0
	s_cbranch_vccnz .LBB121_27
; %bb.25:                               ;   in Loop: Header=BB121_21 Depth=1
	ds_read_b32 v85, v99 offset:4
	v_mov_b32_e32 v87, 0
	v_mov_b32_e32 v86, 0
	s_waitcnt lgkmcnt(0)
	v_cmp_gt_i32_e32 vcc, 0, v85
	s_cbranch_vccnz .LBB121_27
; %bb.26:                               ;   in Loop: Header=BB121_21 Depth=1
	v_mul_lo_u32 v85, v85, s21
	v_add_u32_e32 v85, s16, v85
	v_add_u32_e32 v86, v85, v95
	v_ashrrev_i32_e32 v87, 31, v86
	v_lshlrev_b64 v[86:87], 2, v[86:87]
	v_mov_b32_e32 v85, s30
	v_add_co_u32_e32 v86, vcc, s27, v86
	v_addc_co_u32_e32 v87, vcc, v85, v87, vcc
	global_load_dwordx2 v[86:87], v[86:87], off
.LBB121_27:                             ;   in Loop: Header=BB121_21 Depth=1
	s_waitcnt vmcnt(0)
	v_cvt_f16_f32_e32 v85, v86
	v_cvt_f16_f32_e32 v86, v87
	s_andn2_b64 vcc, exec, s[10:11]
	v_pack_b32_f16 v85, v85, v86
	ds_write_b32 v93, v85 offset:328
	v_mov_b32_e32 v85, 0
	s_cbranch_vccnz .LBB121_30
; %bb.28:                               ;   in Loop: Header=BB121_21 Depth=1
	ds_read_b32 v86, v99 offset:8
	v_mov_b32_e32 v85, 0
	v_mov_b32_e32 v84, 0
	s_waitcnt lgkmcnt(0)
	v_cmp_gt_i32_e32 vcc, 0, v86
	s_cbranch_vccnz .LBB121_30
; %bb.29:                               ;   in Loop: Header=BB121_21 Depth=1
	v_mul_lo_u32 v84, v86, s21
	v_add_u32_e32 v84, s31, v84
	v_add_u32_e32 v84, v84, v95
	v_ashrrev_i32_e32 v85, 31, v84
	v_lshlrev_b64 v[84:85], 2, v[84:85]
	v_mov_b32_e32 v86, s30
	v_add_co_u32_e32 v84, vcc, s27, v84
	v_addc_co_u32_e32 v85, vcc, v86, v85, vcc
	global_load_dwordx2 v[84:85], v[84:85], off
.LBB121_30:                             ;   in Loop: Header=BB121_21 Depth=1
	s_waitcnt vmcnt(0)
	v_cvt_f16_f32_e32 v84, v84
	v_cvt_f16_f32_e32 v85, v85
	s_andn2_b64 vcc, exec, s[18:19]
	v_pack_b32_f16 v84, v84, v85
	ds_write_b32 v93, v84 offset:592
	v_mov_b32_e32 v84, 0
	v_mov_b32_e32 v85, 0
	s_cbranch_vccnz .LBB121_20
; %bb.31:                               ;   in Loop: Header=BB121_21 Depth=1
	ds_read_b32 v86, v99 offset:12
	v_mov_b32_e32 v85, 0
	v_mov_b32_e32 v84, 0
	s_waitcnt lgkmcnt(0)
	v_cmp_gt_i32_e32 vcc, 0, v86
	s_cbranch_vccnz .LBB121_20
; %bb.32:                               ;   in Loop: Header=BB121_21 Depth=1
	v_mul_lo_u32 v84, v86, s21
	v_add_u32_e32 v84, s28, v84
	v_add_u32_e32 v84, v84, v95
	v_ashrrev_i32_e32 v85, 31, v84
	v_lshlrev_b64 v[84:85], 2, v[84:85]
	v_mov_b32_e32 v86, s30
	v_add_co_u32_e32 v84, vcc, s27, v84
	v_addc_co_u32_e32 v85, vcc, v86, v85, vcc
	global_load_dwordx2 v[84:85], v[84:85], off
	s_branch .LBB121_20
.LBB121_33:
	s_or_b64 exec, exec, s[14:15]
.LBB121_34:
	s_or_b64 exec, exec, s[0:1]
	v_mul_u32_u24_e32 v18, 0x808, v91
	s_movk_i32 s0, 0x100
	v_lshlrev_b32_e32 v19, 2, v90
	v_add3_u32 v18, s0, v18, v19
	v_and_b32_e32 v20, 0x3f0, v16
	v_add_u32_e32 v21, v18, v20
	s_barrier
	v_add_u32_e32 v19, 64, v18
	ds_write2_b32 v21, v8, v9 offset0:16 offset1:17
	v_or_b32_e32 v9, 12, v16
	v_add_u32_e32 v8, v19, v20
	v_and_b32_e32 v9, 0x3fc, v9
	ds_write_b32 v8, v10 offset:8
	v_add_u32_e32 v10, v18, v9
	ds_write_b32 v10, v11 offset:64
	ds_write2_b32 v8, v4, v5 offset0:16 offset1:17
	ds_write_b32 v8, v6 offset:72
	v_add_u32_e32 v4, v19, v9
	v_cmp_gt_u32_e32 vcc, 4, v17
	ds_write_b32 v4, v7 offset:64
	ds_write2_b32 v8, v0, v1 offset0:32 offset1:33
	ds_write_b32 v8, v2 offset:136
	ds_write_b32 v4, v3 offset:128
	ds_write2_b32 v8, v12, v13 offset0:48 offset1:49
	ds_write_b32 v8, v14 offset:200
	ds_write_b32 v4, v15 offset:192
	s_waitcnt lgkmcnt(0)
	s_barrier
	s_and_saveexec_b64 s[0:1], vcc
	s_cbranch_execz .LBB121_37
; %bb.35:
	v_add_u32_e32 v0, v88, v89
	ds_read_b32 v0, v0
	v_or_b32_e32 v1, s9, v17
	v_cmp_gt_i32_e64 s[0:1], s13, v1
	s_waitcnt lgkmcnt(0)
	v_cmp_lt_i32_e32 vcc, -1, v0
	s_and_b64 s[0:1], vcc, s[0:1]
	s_and_b64 exec, exec, s[0:1]
	s_cbranch_execz .LBB121_37
; %bb.36:
	s_mul_hi_i32 s1, s26, s8
	s_mul_i32 s0, s26, s8
	s_lshl_b64 s[0:1], s[0:1], 2
	s_add_u32 s2, s2, s0
	v_mul_u32_u24_e32 v1, 0x808, v17
	s_movk_i32 s0, 0x100
	v_lshlrev_b32_e32 v2, 2, v16
	v_add3_u32 v1, s0, v1, v2
	ds_read2_b32 v[2:3], v1 offset0:16 offset1:80
	ds_read2_b32 v[4:5], v1 offset0:144 offset1:208
	v_add_u32_e32 v1, 64, v1
	ds_read2st64_b32 v[6:7], v1 offset0:4 offset1:5
	s_mul_hi_i32 s5, s9, s17
	s_waitcnt lgkmcnt(2)
	v_add_f32_e32 v2, 0, v2
	v_add_f32_e32 v8, v2, v3
	ds_read2st64_b32 v[2:3], v1 offset0:6 offset1:7
	s_waitcnt lgkmcnt(2)
	v_add_f32_e32 v1, v8, v4
	v_add_f32_e32 v1, v1, v5
	s_waitcnt lgkmcnt(1)
	v_add_f32_e32 v1, v1, v6
	v_add_f32_e32 v1, v1, v7
	s_mul_i32 s4, s9, s17
	s_waitcnt lgkmcnt(0)
	v_add_f32_e32 v1, v1, v2
	s_addc_u32 s3, s3, s1
	s_lshl_b64 s[0:1], s[4:5], 2
	v_add_f32_e32 v2, v1, v3
	v_mul_lo_u32 v0, v0, s22
	v_mul_lo_u32 v1, v17, s17
	v_add_u32_e32 v3, s23, v16
	s_add_u32 s0, s2, s0
	v_add3_u32 v0, v3, v1, v0
	v_mov_b32_e32 v1, 0
	s_addc_u32 s1, s3, s1
	v_lshlrev_b64 v[0:1], 2, v[0:1]
	v_mov_b32_e32 v3, s1
	v_add_co_u32_e32 v0, vcc, s0, v0
	v_addc_co_u32_e32 v1, vcc, v3, v1, vcc
	global_store_dword v[0:1], v2, off
.LBB121_37:
	s_endpgm
	.section	.rodata,"a",@progbits
	.p2align	6, 0x0
	.amdhsa_kernel _ZL9mul_mat_fI7__half2Li64ELi4ELi8ELb1EEvPKT_PKfPKiPfiiiiiiiiiiiiiiii
		.amdhsa_group_segment_fixed_size 256
		.amdhsa_private_segment_fixed_size 0
		.amdhsa_kernarg_size 352
		.amdhsa_user_sgpr_count 6
		.amdhsa_user_sgpr_private_segment_buffer 1
		.amdhsa_user_sgpr_dispatch_ptr 0
		.amdhsa_user_sgpr_queue_ptr 0
		.amdhsa_user_sgpr_kernarg_segment_ptr 1
		.amdhsa_user_sgpr_dispatch_id 0
		.amdhsa_user_sgpr_flat_scratch_init 0
		.amdhsa_user_sgpr_kernarg_preload_length 0
		.amdhsa_user_sgpr_kernarg_preload_offset 0
		.amdhsa_user_sgpr_private_segment_size 0
		.amdhsa_uses_dynamic_stack 0
		.amdhsa_system_sgpr_private_segment_wavefront_offset 0
		.amdhsa_system_sgpr_workgroup_id_x 1
		.amdhsa_system_sgpr_workgroup_id_y 1
		.amdhsa_system_sgpr_workgroup_id_z 1
		.amdhsa_system_sgpr_workgroup_info 0
		.amdhsa_system_vgpr_workitem_id 2
		.amdhsa_next_free_vgpr 104
		.amdhsa_next_free_sgpr 93
		.amdhsa_accum_offset 104
		.amdhsa_reserve_vcc 1
		.amdhsa_reserve_flat_scratch 0
		.amdhsa_float_round_mode_32 0
		.amdhsa_float_round_mode_16_64 0
		.amdhsa_float_denorm_mode_32 3
		.amdhsa_float_denorm_mode_16_64 3
		.amdhsa_dx10_clamp 1
		.amdhsa_ieee_mode 1
		.amdhsa_fp16_overflow 0
		.amdhsa_tg_split 0
		.amdhsa_exception_fp_ieee_invalid_op 0
		.amdhsa_exception_fp_denorm_src 0
		.amdhsa_exception_fp_ieee_div_zero 0
		.amdhsa_exception_fp_ieee_overflow 0
		.amdhsa_exception_fp_ieee_underflow 0
		.amdhsa_exception_fp_ieee_inexact 0
		.amdhsa_exception_int_div_zero 0
	.end_amdhsa_kernel
	.section	.text._ZL9mul_mat_fI7__half2Li64ELi4ELi8ELb1EEvPKT_PKfPKiPfiiiiiiiiiiiiiiii,"axG",@progbits,_ZL9mul_mat_fI7__half2Li64ELi4ELi8ELb1EEvPKT_PKfPKiPfiiiiiiiiiiiiiiii,comdat
.Lfunc_end121:
	.size	_ZL9mul_mat_fI7__half2Li64ELi4ELi8ELb1EEvPKT_PKfPKiPfiiiiiiiiiiiiiiii, .Lfunc_end121-_ZL9mul_mat_fI7__half2Li64ELi4ELi8ELb1EEvPKT_PKfPKiPfiiiiiiiiiiiiiiii
                                        ; -- End function
	.section	.AMDGPU.csdata,"",@progbits
; Kernel info:
; codeLenInByte = 6204
; NumSgprs: 97
; NumVgprs: 104
; NumAgprs: 0
; TotalNumVgprs: 104
; ScratchSize: 0
; MemoryBound: 0
; FloatMode: 240
; IeeeMode: 1
; LDSByteSize: 256 bytes/workgroup (compile time only)
; SGPRBlocks: 12
; VGPRBlocks: 12
; NumSGPRsForWavesPerEU: 97
; NumVGPRsForWavesPerEU: 104
; AccumOffset: 104
; Occupancy: 4
; WaveLimiterHint : 0
; COMPUTE_PGM_RSRC2:SCRATCH_EN: 0
; COMPUTE_PGM_RSRC2:USER_SGPR: 6
; COMPUTE_PGM_RSRC2:TRAP_HANDLER: 0
; COMPUTE_PGM_RSRC2:TGID_X_EN: 1
; COMPUTE_PGM_RSRC2:TGID_Y_EN: 1
; COMPUTE_PGM_RSRC2:TGID_Z_EN: 1
; COMPUTE_PGM_RSRC2:TIDIG_COMP_CNT: 2
; COMPUTE_PGM_RSRC3_GFX90A:ACCUM_OFFSET: 25
; COMPUTE_PGM_RSRC3_GFX90A:TG_SPLIT: 0
	.section	.text._ZL9mul_mat_fI7__half2Li64ELi4ELi8ELb0EEvPKT_PKfPKiPfiiiiiiiiiiiiiiii,"axG",@progbits,_ZL9mul_mat_fI7__half2Li64ELi4ELi8ELb0EEvPKT_PKfPKiPfiiiiiiiiiiiiiiii,comdat
	.globl	_ZL9mul_mat_fI7__half2Li64ELi4ELi8ELb0EEvPKT_PKfPKiPfiiiiiiiiiiiiiiii ; -- Begin function _ZL9mul_mat_fI7__half2Li64ELi4ELi8ELb0EEvPKT_PKfPKiPfiiiiiiiiiiiiiiii
	.p2align	8
	.type	_ZL9mul_mat_fI7__half2Li64ELi4ELi8ELb0EEvPKT_PKfPKiPfiiiiiiiiiiiiiiii,@function
_ZL9mul_mat_fI7__half2Li64ELi4ELi8ELb0EEvPKT_PKfPKiPfiiiiiiiiiiiiiiii: ; @_ZL9mul_mat_fI7__half2Li64ELi4ELi8ELb0EEvPKT_PKfPKiPfiiiiiiiiiiiiiiii
; %bb.0:
	s_load_dwordx8 s[12:19], s[4:5], 0x40
	s_load_dword s9, s[4:5], 0x20
	s_load_dwordx4 s[0:3], s[4:5], 0x2c
	v_bfe_u32 v84, v0, 10, 10
	v_lshlrev_b32_e32 v87, 6, v84
	v_and_b32_e32 v85, 0x3ff, v0
	s_waitcnt lgkmcnt(0)
	s_abs_i32 s27, s12
	s_abs_i32 s26, s16
	v_cvt_f32_u32_e32 v1, s27
	v_cvt_f32_u32_e32 v2, s26
	v_add_u32_e32 v89, v87, v85
	s_mov_b32 s22, 0
	v_rcp_iflag_f32_e32 v1, v1
	v_rcp_iflag_f32_e32 v2, v2
	s_ashr_i32 s28, s8, 31
	v_cmp_le_i32_e32 vcc, s9, v89
	v_mul_f32_e32 v1, 0x4f7ffffe, v1
	v_mul_f32_e32 v2, 0x4f7ffffe, v2
	v_cvt_u32_f32_e32 v1, v1
	v_cvt_u32_f32_e32 v2, v2
	v_and_b32_e32 v88, 15, v85
	v_readfirstlane_b32 s21, v1
	v_readfirstlane_b32 s20, v2
	s_and_saveexec_b64 s[10:11], vcc
	s_xor_b64 s[10:11], exec, s[10:11]
; %bb.1:
	v_and_b32_e32 v88, 15, v85
                                        ; implicit-def: $vgpr89
; %bb.2:
	s_or_saveexec_b64 s[24:25], s[10:11]
	s_load_dwordx2 s[10:11], s[4:5], 0x18
	s_lshl_b32 s3, s6, 6
	v_mov_b32_e32 v15, s22
	v_lshlrev_b32_e32 v86, 2, v85
	v_mov_b32_e32 v14, s22
	v_mov_b32_e32 v13, s22
	;; [unrolled: 1-line block ×15, first 2 shown]
	s_xor_b64 exec, exec, s[24:25]
	s_cbranch_execz .LBB122_6
; %bb.3:
	s_sub_i32 s6, 0, s27
	s_sub_i32 s22, 0, s26
	s_mul_i32 s6, s6, s21
	s_mul_i32 s22, s22, s20
	s_mul_hi_u32 s6, s21, s6
	s_mul_hi_u32 s22, s20, s22
	s_abs_i32 s29, s7
	s_add_i32 s6, s21, s6
	s_add_i32 s31, s20, s22
	s_load_dwordx4 s[20:23], s[4:5], 0x0
	s_mul_hi_u32 s4, s29, s6
	s_ashr_i32 s6, s7, 31
	s_ashr_i32 s12, s12, 31
	s_xor_b32 s6, s6, s12
	s_mul_i32 s12, s4, s27
	s_abs_i32 s30, s8
	s_sub_i32 s12, s29, s12
	s_mul_hi_u32 s5, s30, s31
	s_ashr_i32 s16, s16, 31
	s_add_i32 s29, s4, 1
	s_sub_i32 s31, s12, s27
	s_cmp_ge_u32 s12, s27
	s_cselect_b32 s4, s29, s4
	s_cselect_b32 s12, s31, s12
	s_add_i32 s29, s4, 1
	s_cmp_ge_u32 s12, s27
	s_cselect_b32 s4, s29, s4
	s_mul_i32 s12, s5, s26
	s_xor_b32 s4, s4, s6
	s_sub_i32 s12, s30, s12
	s_sub_i32 s6, s4, s6
	s_xor_b32 s4, s28, s16
	s_add_i32 s16, s5, 1
	s_sub_i32 s27, s12, s26
	s_cmp_ge_u32 s12, s26
	s_cselect_b32 s5, s16, s5
	s_cselect_b32 s12, s27, s12
	s_add_i32 s16, s5, 1
	s_cmp_ge_u32 s12, s26
	s_cselect_b32 s5, s16, s5
	s_xor_b32 s5, s5, s4
	s_sub_i32 s4, s5, s4
	s_mul_hi_i32 s5, s4, s17
	s_mul_i32 s4, s4, s17
	s_mul_i32 s12, s6, s13
	s_ashr_i32 s13, s12, 31
	s_lshl_b64 s[26:27], s[4:5], 2
	s_mul_i32 s16, s3, s0
	s_waitcnt lgkmcnt(0)
	s_add_u32 s6, s20, s26
	s_addc_u32 s29, s21, s27
	s_ashr_i32 s17, s16, 31
	s_lshl_b64 s[16:17], s[16:17], 2
	s_lshl_b64 s[12:13], s[12:13], 2
	s_mul_hi_i32 s5, s18, s8
	s_mul_i32 s4, s18, s8
	s_add_u32 s18, s12, s16
	s_addc_u32 s30, s13, s17
	s_mul_i32 s28, s7, s14
	s_add_u32 s6, s18, s6
	s_addc_u32 s73, s30, s29
	s_ashr_i32 s29, s28, 31
	s_lshl_b64 s[16:17], s[4:5], 2
	s_lshl_b64 s[4:5], s[28:29], 2
	s_add_u32 s22, s22, s4
	s_addc_u32 s23, s23, s5
	s_add_u32 s14, s22, s16
	s_movk_i32 s4, 0x1080
	s_addc_u32 s74, s23, s17
	v_mad_u32_u24 v0, v84, s4, 0
	s_ashr_i32 s5, s0, 31
	s_mov_b32 s4, s0
	v_lshrrev_b32_e32 v2, 1, v85
	s_ashr_i32 s13, s1, 31
	s_lshl_b64 s[4:5], s[4:5], 2
	v_mul_u32_u24_e32 v1, 0x108, v88
	v_and_b32_e32 v2, 0x1f8, v2
	s_add_u32 s18, s18, s26
	v_add_u32_e32 v90, v0, v86
	v_add3_u32 v91, v0, v1, v2
	v_lshlrev_b32_e32 v0, 8, v84
	s_addc_u32 s26, s30, s27
	v_mov_b32_e32 v1, s26
	v_add_co_u32_e32 v0, vcc, s18, v0
	v_addc_co_u32_e32 v1, vcc, 0, v1, vcc
	v_add_co_u32_e32 v0, vcc, v0, v86
	v_addc_co_u32_e32 v1, vcc, 0, v1, vcc
	v_mov_b32_e32 v2, s21
	v_add_co_u32_e32 v16, vcc, s20, v0
	v_addc_co_u32_e32 v17, vcc, v2, v1, vcc
	v_lshlrev_b32_e32 v0, 9, v84
	v_mov_b32_e32 v1, s17
	v_add_co_u32_e32 v0, vcc, s16, v0
	v_addc_co_u32_e32 v1, vcc, 0, v1, vcc
	v_lshlrev_b32_e32 v2, 3, v85
	v_add_co_u32_e32 v0, vcc, v0, v2
	s_mov_b32 s12, s1
	v_addc_co_u32_e32 v1, vcc, 0, v1, vcc
	s_lshl_b64 s[12:13], s[12:13], 3
	v_mov_b32_e32 v2, s23
	v_add_co_u32_e32 v18, vcc, s22, v0
	v_mov_b32_e32 v94, 0
	v_addc_co_u32_e32 v19, vcc, v2, v1, vcc
	s_mul_i32 s16, s0, 63
	s_lshl_b32 s17, s1, 1
	s_mul_i32 s18, s1, 3
	s_lshl_b32 s20, s0, 1
	;; [unrolled: 2-line block ×3, first 2 shown]
	s_mul_i32 s23, s0, 5
	s_mul_i32 s26, s0, 6
	;; [unrolled: 1-line block ×3, first 2 shown]
	s_lshl_b32 s28, s0, 3
	s_mul_i32 s29, s0, 9
	s_mul_i32 s30, s0, 10
	;; [unrolled: 1-line block ×7, first 2 shown]
	s_lshl_b32 s37, s0, 4
	s_mul_i32 s38, s0, 17
	s_mul_i32 s39, s0, 18
	;; [unrolled: 1-line block ×15, first 2 shown]
	s_lshl_b32 s53, s0, 5
	s_mul_i32 s54, s0, 33
	s_mul_i32 s55, s0, 34
	;; [unrolled: 1-line block ×19, first 2 shown]
	v_mov_b32_e32 v92, s73
	s_mul_i32 s73, s0, 52
	v_mov_b32_e32 v93, s74
	s_mul_i32 s74, s0, 53
	v_mov_b32_e32 v95, s5
	v_mov_b32_e32 v96, s13
	;; [unrolled: 1-line block ×18, first 2 shown]
	s_mul_i32 s5, s0, 54
	s_mul_i32 s13, s0, 55
	;; [unrolled: 1-line block ×9, first 2 shown]
	s_mov_b64 s[0:1], 0
.LBB122_4:                              ; =>This Inner Loop Header: Depth=1
	global_load_dword v20, v[16:17], off
	v_add_u32_e32 v36, s37, v89
	v_ashrrev_i32_e32 v37, 31, v36
	v_lshlrev_b64 v[36:37], 2, v[36:37]
	v_add_u32_e32 v52, s53, v89
	v_ashrrev_i32_e32 v53, 31, v52
	v_lshlrev_b64 v[52:53], 2, v[52:53]
	;; [unrolled: 3-line block ×3, first 2 shown]
	s_waitcnt vmcnt(0)
	ds_write_b32 v90, v20
	v_add_co_u32_e32 v20, vcc, s4, v16
	v_addc_co_u32_e32 v21, vcc, v17, v95, vcc
	global_load_dword v20, v[20:21], off
	s_waitcnt vmcnt(0)
	ds_write_b32 v90, v20 offset:264
	v_add_u32_e32 v20, s20, v89
	v_ashrrev_i32_e32 v21, 31, v20
	v_lshlrev_b64 v[20:21], 2, v[20:21]
	v_add_co_u32_e32 v20, vcc, s6, v20
	v_addc_co_u32_e32 v21, vcc, v92, v21, vcc
	global_load_dword v20, v[20:21], off
	s_waitcnt vmcnt(0)
	ds_write_b32 v90, v20 offset:528
	v_add_u32_e32 v20, s21, v89
	v_ashrrev_i32_e32 v21, 31, v20
	v_lshlrev_b64 v[20:21], 2, v[20:21]
	v_add_co_u32_e32 v20, vcc, s6, v20
	v_addc_co_u32_e32 v21, vcc, v92, v21, vcc
	global_load_dword v20, v[20:21], off
	s_waitcnt vmcnt(0)
	ds_write_b32 v90, v20 offset:792
	v_add_u32_e32 v20, s22, v89
	v_ashrrev_i32_e32 v21, 31, v20
	v_lshlrev_b64 v[20:21], 2, v[20:21]
	v_add_co_u32_e32 v20, vcc, s6, v20
	v_addc_co_u32_e32 v21, vcc, v92, v21, vcc
	global_load_dword v20, v[20:21], off
	s_waitcnt vmcnt(0)
	ds_write_b32 v90, v20 offset:1056
	v_add_u32_e32 v20, s23, v89
	v_ashrrev_i32_e32 v21, 31, v20
	v_lshlrev_b64 v[20:21], 2, v[20:21]
	v_add_co_u32_e32 v20, vcc, s6, v20
	v_addc_co_u32_e32 v21, vcc, v92, v21, vcc
	global_load_dword v20, v[20:21], off
	s_waitcnt vmcnt(0)
	ds_write_b32 v90, v20 offset:1320
	v_add_u32_e32 v20, s26, v89
	v_ashrrev_i32_e32 v21, 31, v20
	v_lshlrev_b64 v[20:21], 2, v[20:21]
	v_add_co_u32_e32 v20, vcc, s6, v20
	v_addc_co_u32_e32 v21, vcc, v92, v21, vcc
	global_load_dword v20, v[20:21], off
	s_waitcnt vmcnt(0)
	ds_write_b32 v90, v20 offset:1584
	v_add_u32_e32 v20, s27, v89
	v_ashrrev_i32_e32 v21, 31, v20
	v_lshlrev_b64 v[20:21], 2, v[20:21]
	v_add_co_u32_e32 v20, vcc, s6, v20
	v_addc_co_u32_e32 v21, vcc, v92, v21, vcc
	global_load_dword v20, v[20:21], off
	s_waitcnt vmcnt(0)
	ds_write_b32 v90, v20 offset:1848
	v_add_u32_e32 v20, s28, v89
	v_ashrrev_i32_e32 v21, 31, v20
	v_lshlrev_b64 v[20:21], 2, v[20:21]
	v_add_co_u32_e32 v20, vcc, s6, v20
	v_addc_co_u32_e32 v21, vcc, v92, v21, vcc
	global_load_dword v20, v[20:21], off
	s_waitcnt vmcnt(0)
	ds_write_b32 v90, v20 offset:2112
	v_add_u32_e32 v20, s29, v89
	v_ashrrev_i32_e32 v21, 31, v20
	v_lshlrev_b64 v[20:21], 2, v[20:21]
	v_add_co_u32_e32 v20, vcc, s6, v20
	v_addc_co_u32_e32 v21, vcc, v92, v21, vcc
	global_load_dword v20, v[20:21], off
	s_waitcnt vmcnt(0)
	ds_write_b32 v90, v20 offset:2376
	v_add_u32_e32 v20, s30, v89
	v_ashrrev_i32_e32 v21, 31, v20
	v_lshlrev_b64 v[20:21], 2, v[20:21]
	v_add_co_u32_e32 v20, vcc, s6, v20
	v_addc_co_u32_e32 v21, vcc, v92, v21, vcc
	global_load_dword v20, v[20:21], off
	s_waitcnt vmcnt(0)
	ds_write_b32 v90, v20 offset:2640
	v_add_u32_e32 v20, s31, v89
	v_ashrrev_i32_e32 v21, 31, v20
	v_lshlrev_b64 v[20:21], 2, v[20:21]
	v_add_co_u32_e32 v20, vcc, s6, v20
	v_addc_co_u32_e32 v21, vcc, v92, v21, vcc
	global_load_dword v20, v[20:21], off
	s_waitcnt vmcnt(0)
	ds_write_b32 v90, v20 offset:2904
	v_add_u32_e32 v20, s33, v89
	v_ashrrev_i32_e32 v21, 31, v20
	v_lshlrev_b64 v[20:21], 2, v[20:21]
	v_add_co_u32_e32 v20, vcc, s6, v20
	v_addc_co_u32_e32 v21, vcc, v92, v21, vcc
	global_load_dword v20, v[20:21], off
	s_waitcnt vmcnt(0)
	ds_write_b32 v90, v20 offset:3168
	v_add_u32_e32 v20, s34, v89
	v_ashrrev_i32_e32 v21, 31, v20
	v_lshlrev_b64 v[20:21], 2, v[20:21]
	v_add_co_u32_e32 v20, vcc, s6, v20
	v_addc_co_u32_e32 v21, vcc, v92, v21, vcc
	global_load_dword v20, v[20:21], off
	s_waitcnt vmcnt(0)
	ds_write_b32 v90, v20 offset:3432
	v_add_u32_e32 v20, s35, v89
	v_ashrrev_i32_e32 v21, 31, v20
	v_lshlrev_b64 v[20:21], 2, v[20:21]
	v_add_co_u32_e32 v20, vcc, s6, v20
	v_addc_co_u32_e32 v21, vcc, v92, v21, vcc
	global_load_dword v20, v[20:21], off
	s_waitcnt vmcnt(0)
	ds_write_b32 v90, v20 offset:3696
	v_add_u32_e32 v20, s36, v89
	v_ashrrev_i32_e32 v21, 31, v20
	v_lshlrev_b64 v[20:21], 2, v[20:21]
	v_add_co_u32_e32 v20, vcc, s6, v20
	v_addc_co_u32_e32 v21, vcc, v92, v21, vcc
	global_load_dword v20, v[20:21], off
	v_add_co_u32_e32 v36, vcc, s6, v36
	v_addc_co_u32_e32 v37, vcc, v92, v37, vcc
	s_waitcnt vmcnt(0)
	ds_write_b32 v90, v20 offset:3960
	ds_read_b64 v[34:35], v91
	ds_read_b64 v[32:33], v91 offset:32
	ds_read_b64 v[30:31], v91 offset:64
	;; [unrolled: 1-line block ×7, first 2 shown]
	global_load_dword v36, v[36:37], off
	s_waitcnt vmcnt(0)
	ds_write_b32 v90, v36
	v_add_u32_e32 v36, s38, v89
	v_ashrrev_i32_e32 v37, 31, v36
	v_lshlrev_b64 v[36:37], 2, v[36:37]
	v_add_co_u32_e32 v36, vcc, s6, v36
	v_addc_co_u32_e32 v37, vcc, v92, v37, vcc
	global_load_dword v36, v[36:37], off
	s_waitcnt vmcnt(0)
	ds_write_b32 v90, v36 offset:264
	v_add_u32_e32 v36, s39, v89
	v_ashrrev_i32_e32 v37, 31, v36
	v_lshlrev_b64 v[36:37], 2, v[36:37]
	v_add_co_u32_e32 v36, vcc, s6, v36
	v_addc_co_u32_e32 v37, vcc, v92, v37, vcc
	global_load_dword v36, v[36:37], off
	s_waitcnt vmcnt(0)
	ds_write_b32 v90, v36 offset:528
	;; [unrolled: 8-line block ×14, first 2 shown]
	v_add_u32_e32 v36, s52, v89
	v_ashrrev_i32_e32 v37, 31, v36
	v_lshlrev_b64 v[36:37], 2, v[36:37]
	v_add_co_u32_e32 v36, vcc, s6, v36
	v_addc_co_u32_e32 v37, vcc, v92, v37, vcc
	global_load_dword v36, v[36:37], off
	v_add_co_u32_e32 v52, vcc, s6, v52
	v_addc_co_u32_e32 v53, vcc, v92, v53, vcc
	s_waitcnt vmcnt(0)
	ds_write_b32 v90, v36 offset:3960
	ds_read_b64 v[50:51], v91
	ds_read_b64 v[48:49], v91 offset:32
	ds_read_b64 v[46:47], v91 offset:64
	;; [unrolled: 1-line block ×7, first 2 shown]
	global_load_dword v52, v[52:53], off
	s_waitcnt vmcnt(0)
	ds_write_b32 v90, v52
	v_add_u32_e32 v52, s54, v89
	v_ashrrev_i32_e32 v53, 31, v52
	v_lshlrev_b64 v[52:53], 2, v[52:53]
	v_add_co_u32_e32 v52, vcc, s6, v52
	v_addc_co_u32_e32 v53, vcc, v92, v53, vcc
	global_load_dword v52, v[52:53], off
	s_waitcnt vmcnt(0)
	ds_write_b32 v90, v52 offset:264
	v_add_u32_e32 v52, s55, v89
	v_ashrrev_i32_e32 v53, 31, v52
	v_lshlrev_b64 v[52:53], 2, v[52:53]
	v_add_co_u32_e32 v52, vcc, s6, v52
	v_addc_co_u32_e32 v53, vcc, v92, v53, vcc
	global_load_dword v52, v[52:53], off
	s_waitcnt vmcnt(0)
	ds_write_b32 v90, v52 offset:528
	;; [unrolled: 8-line block ×14, first 2 shown]
	v_add_u32_e32 v52, s68, v89
	v_ashrrev_i32_e32 v53, 31, v52
	v_lshlrev_b64 v[52:53], 2, v[52:53]
	v_add_co_u32_e32 v52, vcc, s6, v52
	v_addc_co_u32_e32 v53, vcc, v92, v53, vcc
	global_load_dword v52, v[52:53], off
	v_add_co_u32_e32 v68, vcc, s6, v68
	v_addc_co_u32_e32 v69, vcc, v92, v69, vcc
	s_waitcnt vmcnt(0)
	ds_write_b32 v90, v52 offset:3960
	ds_read_b64 v[66:67], v91
	ds_read_b64 v[64:65], v91 offset:32
	ds_read_b64 v[62:63], v91 offset:64
	;; [unrolled: 1-line block ×7, first 2 shown]
	global_load_dword v68, v[68:69], off
	s_waitcnt vmcnt(0)
	ds_write_b32 v90, v68
	v_add_u32_e32 v68, s70, v89
	v_ashrrev_i32_e32 v69, 31, v68
	v_lshlrev_b64 v[68:69], 2, v[68:69]
	v_add_co_u32_e32 v68, vcc, s6, v68
	v_addc_co_u32_e32 v69, vcc, v92, v69, vcc
	global_load_dword v68, v[68:69], off
	s_waitcnt vmcnt(0)
	ds_write_b32 v90, v68 offset:264
	v_add_u32_e32 v68, s71, v89
	v_ashrrev_i32_e32 v69, 31, v68
	v_lshlrev_b64 v[68:69], 2, v[68:69]
	v_add_co_u32_e32 v68, vcc, s6, v68
	v_addc_co_u32_e32 v69, vcc, v92, v69, vcc
	global_load_dword v68, v[68:69], off
	s_waitcnt vmcnt(0)
	ds_write_b32 v90, v68 offset:528
	;; [unrolled: 8-line block ×15, first 2 shown]
	ds_read_b64 v[82:83], v91
	ds_read_b64 v[80:81], v91 offset:32
	ds_read_b64 v[78:79], v91 offset:64
	;; [unrolled: 1-line block ×7, first 2 shown]
	global_load_dwordx2 v[98:99], v[18:19], off
	s_waitcnt vmcnt(0)
	v_cvt_f16_f32_e32 v97, v98
	v_cvt_f16_f32_e32 v98, v99
	v_pack_b32_f16 v97, v97, v98
	v_add_co_u32_e32 v98, vcc, s12, v18
	v_addc_co_u32_e32 v99, vcc, v19, v96, vcc
	global_load_dwordx2 v[98:99], v[98:99], off
	ds_write_b32 v90, v97
	s_waitcnt vmcnt(0)
	v_cvt_f16_f32_e32 v97, v98
	v_cvt_f16_f32_e32 v98, v99
	v_pack_b32_f16 v97, v97, v98
	v_add_u32_e32 v98, s17, v89
	v_ashrrev_i32_e32 v99, 31, v98
	v_lshlrev_b64 v[98:99], 3, v[98:99]
	v_add_co_u32_e32 v98, vcc, s14, v98
	v_addc_co_u32_e32 v99, vcc, v93, v99, vcc
	global_load_dwordx2 v[98:99], v[98:99], off
	ds_write_b32 v90, v97 offset:264
	s_waitcnt vmcnt(0)
	v_cvt_f16_f32_e32 v97, v98
	v_cvt_f16_f32_e32 v98, v99
	v_pack_b32_f16 v97, v97, v98
	v_add_u32_e32 v98, s18, v89
	v_ashrrev_i32_e32 v99, 31, v98
	v_lshlrev_b64 v[98:99], 3, v[98:99]
	v_add_co_u32_e32 v98, vcc, s14, v98
	v_addc_co_u32_e32 v99, vcc, v93, v99, vcc
	global_load_dwordx2 v[98:99], v[98:99], off
	ds_write_b32 v90, v97 offset:528
	v_add_co_u32_e32 v16, vcc, 0x800, v16
	v_addc_co_u32_e32 v17, vcc, 0, v17, vcc
	v_add_co_u32_e32 v18, vcc, 0x1000, v18
	v_add_u32_e32 v89, 0x200, v89
	v_addc_co_u32_e32 v19, vcc, 0, v19, vcc
	v_cmp_le_i32_e32 vcc, s9, v89
	s_or_b64 s[0:1], vcc, s[0:1]
	s_waitcnt vmcnt(0)
	v_cvt_f16_f32_e32 v97, v98
	v_cvt_f16_f32_e32 v98, v99
	v_pack_b32_f16 v97, v97, v98
	ds_write_b32 v90, v97 offset:792
	ds_write_b32 v90, v94 offset:1056
	;; [unrolled: 1-line block ×13, first 2 shown]
	ds_read_b64 v[98:99], v91
	ds_read_b64 v[100:101], v91 offset:32
	s_waitcnt lgkmcnt(1)
	v_mfma_f32_16x16x16f16 v[12:15], v[34:35], v[98:99], v[12:15]
	v_mfma_f32_16x16x16f16 v[8:11], v[50:51], v[98:99], v[8:11]
	;; [unrolled: 1-line block ×4, first 2 shown]
	s_waitcnt lgkmcnt(0)
	v_mfma_f32_16x16x16f16 v[12:15], v[32:33], v[100:101], v[12:15]
	ds_read_b64 v[32:33], v91 offset:64
	v_mfma_f32_16x16x16f16 v[8:11], v[48:49], v[100:101], v[8:11]
	v_mfma_f32_16x16x16f16 v[4:7], v[64:65], v[100:101], v[4:7]
	v_mfma_f32_16x16x16f16 v[0:3], v[80:81], v[100:101], v[0:3]
	s_waitcnt lgkmcnt(0)
	v_mfma_f32_16x16x16f16 v[12:15], v[30:31], v[32:33], v[12:15]
	ds_read_b64 v[30:31], v91 offset:96
	v_mfma_f32_16x16x16f16 v[8:11], v[46:47], v[32:33], v[8:11]
	v_mfma_f32_16x16x16f16 v[4:7], v[62:63], v[32:33], v[4:7]
	v_mfma_f32_16x16x16f16 v[0:3], v[78:79], v[32:33], v[0:3]
	;; [unrolled: 6-line block ×6, first 2 shown]
	s_waitcnt lgkmcnt(0)
	v_mfma_f32_16x16x16f16 v[12:15], v[20:21], v[22:23], v[12:15]
	v_mfma_f32_16x16x16f16 v[8:11], v[36:37], v[22:23], v[8:11]
	;; [unrolled: 1-line block ×4, first 2 shown]
	s_andn2_b64 exec, exec, s[0:1]
	s_cbranch_execnz .LBB122_4
; %bb.5:
	s_or_b64 exec, exec, s[0:1]
.LBB122_6:
	s_or_b64 exec, exec, s[24:25]
	v_mul_u32_u24_e32 v16, 0x808, v88
	v_lshlrev_b32_e32 v17, 2, v87
	v_add3_u32 v16, 0, v16, v17
	v_and_b32_e32 v17, 0x3f0, v85
	v_add_u32_e32 v17, v16, v17
	s_waitcnt lgkmcnt(0)
	s_barrier
	ds_write2_b32 v17, v12, v13 offset1:1
	ds_write_b32 v17, v14 offset:8
	v_or_b32_e32 v12, 12, v85
	v_and_b32_e32 v12, 0x3fc, v12
	v_add_u32_e32 v12, v16, v12
	v_cmp_gt_u32_e32 vcc, 4, v84
	ds_write_b32 v12, v15
	ds_write2_b32 v17, v8, v9 offset0:16 offset1:17
	ds_write_b32 v17, v10 offset:72
	ds_write_b32 v12, v11 offset:64
	ds_write2_b32 v17, v4, v5 offset0:32 offset1:33
	ds_write_b32 v17, v6 offset:136
	ds_write_b32 v12, v7 offset:128
	ds_write2_b32 v17, v0, v1 offset0:48 offset1:49
	ds_write_b32 v17, v2 offset:200
	ds_write_b32 v12, v3 offset:192
	s_waitcnt lgkmcnt(0)
	s_barrier
	s_and_saveexec_b64 s[0:1], vcc
	s_cbranch_execz .LBB122_8
; %bb.7:
	v_mul_u32_u24_e32 v0, 0x808, v84
	v_add3_u32 v6, 0, v0, v86
	ds_read2st64_b32 v[0:1], v6 offset1:1
	ds_read2st64_b32 v[2:3], v6 offset0:2 offset1:3
	ds_read2st64_b32 v[4:5], v6 offset0:4 offset1:5
	;; [unrolled: 1-line block ×3, first 2 shown]
	s_mul_hi_i32 s1, s19, s8
	s_mul_i32 s0, s19, s8
	s_lshl_b64 s[0:1], s[0:1], 2
	s_waitcnt lgkmcnt(3)
	v_add_f32_e32 v0, 0, v0
	v_add_f32_e32 v0, v0, v1
	s_waitcnt lgkmcnt(2)
	v_add_f32_e32 v0, v0, v2
	v_add_f32_e32 v0, v0, v3
	s_waitcnt lgkmcnt(1)
	v_add_f32_e32 v0, v0, v4
	s_mul_i32 s4, s7, s15
	s_add_u32 s6, s10, s0
	v_add_f32_e32 v0, v0, v5
	s_addc_u32 s7, s11, s1
	s_ashr_i32 s5, s4, 31
	s_waitcnt lgkmcnt(0)
	v_add_f32_e32 v0, v0, v6
	s_lshl_b64 s[0:1], s[4:5], 2
	v_add_f32_e32 v2, v0, v7
	v_mul_lo_u32 v0, v84, s2
	s_add_u32 s0, s6, s0
	v_add3_u32 v0, s3, v85, v0
	v_mov_b32_e32 v1, 0
	s_addc_u32 s1, s7, s1
	v_lshlrev_b64 v[0:1], 2, v[0:1]
	v_mov_b32_e32 v3, s1
	v_add_co_u32_e32 v0, vcc, s0, v0
	v_addc_co_u32_e32 v1, vcc, v3, v1, vcc
	global_store_dword v[0:1], v2, off
.LBB122_8:
	s_endpgm
	.section	.rodata,"a",@progbits
	.p2align	6, 0x0
	.amdhsa_kernel _ZL9mul_mat_fI7__half2Li64ELi4ELi8ELb0EEvPKT_PKfPKiPfiiiiiiiiiiiiiiii
		.amdhsa_group_segment_fixed_size 0
		.amdhsa_private_segment_fixed_size 0
		.amdhsa_kernarg_size 96
		.amdhsa_user_sgpr_count 6
		.amdhsa_user_sgpr_private_segment_buffer 1
		.amdhsa_user_sgpr_dispatch_ptr 0
		.amdhsa_user_sgpr_queue_ptr 0
		.amdhsa_user_sgpr_kernarg_segment_ptr 1
		.amdhsa_user_sgpr_dispatch_id 0
		.amdhsa_user_sgpr_flat_scratch_init 0
		.amdhsa_user_sgpr_kernarg_preload_length 0
		.amdhsa_user_sgpr_kernarg_preload_offset 0
		.amdhsa_user_sgpr_private_segment_size 0
		.amdhsa_uses_dynamic_stack 0
		.amdhsa_system_sgpr_private_segment_wavefront_offset 0
		.amdhsa_system_sgpr_workgroup_id_x 1
		.amdhsa_system_sgpr_workgroup_id_y 1
		.amdhsa_system_sgpr_workgroup_id_z 1
		.amdhsa_system_sgpr_workgroup_info 0
		.amdhsa_system_vgpr_workitem_id 1
		.amdhsa_next_free_vgpr 102
		.amdhsa_next_free_sgpr 82
		.amdhsa_accum_offset 104
		.amdhsa_reserve_vcc 1
		.amdhsa_reserve_flat_scratch 0
		.amdhsa_float_round_mode_32 0
		.amdhsa_float_round_mode_16_64 0
		.amdhsa_float_denorm_mode_32 3
		.amdhsa_float_denorm_mode_16_64 3
		.amdhsa_dx10_clamp 1
		.amdhsa_ieee_mode 1
		.amdhsa_fp16_overflow 0
		.amdhsa_tg_split 0
		.amdhsa_exception_fp_ieee_invalid_op 0
		.amdhsa_exception_fp_denorm_src 0
		.amdhsa_exception_fp_ieee_div_zero 0
		.amdhsa_exception_fp_ieee_overflow 0
		.amdhsa_exception_fp_ieee_underflow 0
		.amdhsa_exception_fp_ieee_inexact 0
		.amdhsa_exception_int_div_zero 0
	.end_amdhsa_kernel
	.section	.text._ZL9mul_mat_fI7__half2Li64ELi4ELi8ELb0EEvPKT_PKfPKiPfiiiiiiiiiiiiiiii,"axG",@progbits,_ZL9mul_mat_fI7__half2Li64ELi4ELi8ELb0EEvPKT_PKfPKiPfiiiiiiiiiiiiiiii,comdat
.Lfunc_end122:
	.size	_ZL9mul_mat_fI7__half2Li64ELi4ELi8ELb0EEvPKT_PKfPKiPfiiiiiiiiiiiiiiii, .Lfunc_end122-_ZL9mul_mat_fI7__half2Li64ELi4ELi8ELb0EEvPKT_PKfPKiPfiiiiiiiiiiiiiiii
                                        ; -- End function
	.section	.AMDGPU.csdata,"",@progbits
; Kernel info:
; codeLenInByte = 5096
; NumSgprs: 86
; NumVgprs: 102
; NumAgprs: 0
; TotalNumVgprs: 102
; ScratchSize: 0
; MemoryBound: 0
; FloatMode: 240
; IeeeMode: 1
; LDSByteSize: 0 bytes/workgroup (compile time only)
; SGPRBlocks: 10
; VGPRBlocks: 12
; NumSGPRsForWavesPerEU: 86
; NumVGPRsForWavesPerEU: 102
; AccumOffset: 104
; Occupancy: 4
; WaveLimiterHint : 0
; COMPUTE_PGM_RSRC2:SCRATCH_EN: 0
; COMPUTE_PGM_RSRC2:USER_SGPR: 6
; COMPUTE_PGM_RSRC2:TRAP_HANDLER: 0
; COMPUTE_PGM_RSRC2:TGID_X_EN: 1
; COMPUTE_PGM_RSRC2:TGID_Y_EN: 1
; COMPUTE_PGM_RSRC2:TGID_Z_EN: 1
; COMPUTE_PGM_RSRC2:TIDIG_COMP_CNT: 1
; COMPUTE_PGM_RSRC3_GFX90A:ACCUM_OFFSET: 25
; COMPUTE_PGM_RSRC3_GFX90A:TG_SPLIT: 0
	.section	.text._ZL13mul_mat_f_idsI15__hip_bfloat162Li64ELi4ELi1EEvPKT_PKfPKiS7_S7_Pfiiiiiiiiiiiiii15HIP_vector_typeIjLj3EESA_,"axG",@progbits,_ZL13mul_mat_f_idsI15__hip_bfloat162Li64ELi4ELi1EEvPKT_PKfPKiS7_S7_Pfiiiiiiiiiiiiii15HIP_vector_typeIjLj3EESA_,comdat
	.globl	_ZL13mul_mat_f_idsI15__hip_bfloat162Li64ELi4ELi1EEvPKT_PKfPKiS7_S7_Pfiiiiiiiiiiiiii15HIP_vector_typeIjLj3EESA_ ; -- Begin function _ZL13mul_mat_f_idsI15__hip_bfloat162Li64ELi4ELi1EEvPKT_PKfPKiS7_S7_Pfiiiiiiiiiiiiii15HIP_vector_typeIjLj3EESA_
	.p2align	8
	.type	_ZL13mul_mat_f_idsI15__hip_bfloat162Li64ELi4ELi1EEvPKT_PKfPKiS7_S7_Pfiiiiiiiiiiiiii15HIP_vector_typeIjLj3EESA_,@function
_ZL13mul_mat_f_idsI15__hip_bfloat162Li64ELi4ELi1EEvPKT_PKfPKiS7_S7_Pfiiiiiiiiiiiiii15HIP_vector_typeIjLj3EESA_: ; @_ZL13mul_mat_f_idsI15__hip_bfloat162Li64ELi4ELi1EEvPKT_PKfPKiS7_S7_Pfiiiiiiiiiiiiii15HIP_vector_typeIjLj3EESA_
; %bb.0:
	s_load_dwordx2 s[0:1], s[4:5], 0x20
	s_mov_b32 s34, s7
	s_ashr_i32 s35, s7, 31
	s_lshl_b64 s[2:3], s[34:35], 2
	s_waitcnt lgkmcnt(0)
	s_add_u32 s0, s0, s2
	s_addc_u32 s1, s1, s3
	s_load_dwordx2 s[24:25], s[0:1], 0x0
	s_waitcnt lgkmcnt(0)
	s_sub_i32 s33, s25, s24
	s_add_i32 s0, s33, 3
	s_ashr_i32 s1, s0, 31
	s_lshr_b32 s1, s1, 30
	s_add_i32 s0, s0, s1
	s_ashr_i32 s0, s0, 2
	s_cmp_ge_i32 s8, s0
	s_cbranch_scc1 .LBB123_63
; %bb.1:
	s_load_dwordx4 s[12:15], s[4:5], 0x30
	s_load_dwordx2 s[0:1], s[4:5], 0x40
                                        ; implicit-def: $vgpr85 : SGPR spill to VGPR lane
	v_bfe_u32 v74, v0, 10, 10
	v_lshlrev_b32_e32 v76, 6, v74
	v_and_b32_e32 v75, 0x3ff, v0
	v_or_b32_e32 v78, v76, v75
	s_waitcnt lgkmcnt(0)
	v_writelane_b32 v85, s0, 0
	v_writelane_b32 v85, s1, 1
	s_load_dwordx4 s[0:3], s[4:5], 0x4c
	s_load_dwordx4 s[16:19], s[4:5], 0x68
	s_load_dwordx2 s[22:23], s[4:5], 0x78
	s_ashr_i32 s25, s24, 31
	v_cmp_le_i32_e32 vcc, s12, v78
	v_and_b32_e32 v0, 15, v75
                                        ; implicit-def: $sgpr3
                                        ; implicit-def: $vgpr77
	s_and_saveexec_b64 s[10:11], vcc
	s_xor_b64 s[10:11], exec, s[10:11]
	s_cbranch_execz .LBB123_3
; %bb.2:
	v_mul_u32_u24_e32 v77, 0x108, v0
	s_waitcnt lgkmcnt(0)
	s_mov_b32 s3, 0
                                        ; implicit-def: $vgpr78
                                        ; implicit-def: $vgpr0
.LBB123_3:
	s_or_saveexec_b64 s[20:21], s[10:11]
	s_load_dwordx2 s[10:11], s[4:5], 0x18
	s_lshl_b32 s7, s6, 6
	s_lshl_b32 s6, s8, 2
	s_waitcnt lgkmcnt(0)
	v_accvgpr_write_b32 a0, s3
	v_accvgpr_write_b32 a1, s3
	v_writelane_b32 v85, s10, 2
	v_writelane_b32 v85, s11, 3
	s_load_dwordx2 s[10:11], s[4:5], 0x28
	v_accvgpr_write_b32 a2, s3
	v_accvgpr_write_b32 a3, s3
	v_accvgpr_write_b32 a4, s3
	v_accvgpr_write_b32 a5, s3
	s_waitcnt lgkmcnt(0)
	v_writelane_b32 v85, s10, 4
	v_writelane_b32 v85, s11, 5
	v_accvgpr_write_b32 a6, s3
	v_accvgpr_write_b32 a7, s3
	;; [unrolled: 1-line block ×10, first 2 shown]
	v_writelane_b32 v85, s20, 6
	v_writelane_b32 v85, s21, 7
	s_xor_b64 exec, exec, s[20:21]
	s_cbranch_execz .LBB123_51
; %bb.4:
	v_writelane_b32 v85, s22, 8
	v_writelane_b32 v85, s23, 9
	s_load_dwordx4 s[8:11], s[4:5], 0x0
	s_load_dwordx2 s[20:21], s[4:5], 0x10
	s_mul_i32 s4, s34, s0
	s_mul_i32 s22, s7, s15
	s_ashr_i32 s5, s4, 31
	s_ashr_i32 s23, s22, 31
	s_lshl_b64 s[22:23], s[22:23], 2
	s_lshl_b64 s[4:5], s[4:5], 2
	s_add_u32 s3, s4, s22
	s_addc_u32 s22, s5, s23
	v_writelane_b32 v85, s7, 10
	s_waitcnt lgkmcnt(0)
	s_add_u32 s0, s3, s8
	s_addc_u32 s23, s22, s9
	v_writelane_b32 v85, s24, 11
	s_lshl_b64 s[4:5], s[24:25], 2
	v_writelane_b32 v85, s25, 12
	s_add_u32 s24, s20, s4
	s_addc_u32 s25, s21, s5
	s_movk_i32 s4, 0x1080
	s_cmp_lt_i32 s6, s33
	v_mad_u32_u24 v1, v74, s4, 0
	s_cselect_b64 s[4:5], -1, 0
	s_ashr_i32 s7, s6, 31
	s_lshl_b64 s[20:21], s[6:7], 2
	s_add_u32 s34, s24, s20
	v_mul_u32_u24_e32 v77, 0x108, v0
	v_lshrrev_b32_e32 v0, 1, v75
	s_addc_u32 s35, s25, s21
	s_or_b32 s7, s6, 1
	v_and_b32_e32 v0, 0x1f8, v0
	s_cmp_lt_i32 s7, s33
	v_lshlrev_b32_e32 v2, 2, v75
	v_add3_u32 v80, v1, v77, v0
	s_cselect_b64 s[36:37], -1, 0
	s_or_b32 s7, s6, 2
	v_lshlrev_b32_e32 v0, 8, v74
	v_add_u32_e32 v79, v1, v2
	s_cmp_lt_i32 s7, s33
	v_mov_b32_e32 v1, s22
	v_add_co_u32_e32 v0, vcc, s3, v0
	s_cselect_b64 s[38:39], -1, 0
	s_or_b32 s7, s6, 3
	v_addc_co_u32_e32 v1, vcc, 0, v1, vcc
	s_cmp_lt_i32 s7, s33
	v_add_co_u32_e32 v0, vcc, v0, v2
	s_cselect_b64 s[40:41], -1, 0
	s_ashr_i32 s21, s15, 31
	s_mov_b32 s20, s15
	v_addc_co_u32_e32 v1, vcc, 0, v1, vcc
	s_lshl_b64 s[42:43], s[20:21], 2
	v_mov_b32_e32 v2, s9
	v_add_co_u32_e32 v0, vcc, s8, v0
	v_addc_co_u32_e32 v1, vcc, v2, v1, vcc
	s_lshl_b32 s7, s15, 1
	s_mul_i32 s46, s15, 3
	s_lshl_b32 s47, s15, 2
	s_mul_i32 s48, s15, 5
	s_mul_i32 s49, s15, 6
	;; [unrolled: 1-line block ×3, first 2 shown]
	s_lshl_b32 s51, s15, 3
	s_mul_i32 s52, s15, 9
	s_mul_i32 s53, s15, 10
	;; [unrolled: 1-line block ×7, first 2 shown]
	s_lshl_b32 s59, s15, 4
	s_mul_i32 s60, s15, 17
	s_mul_i32 s61, s15, 18
	s_mul_i32 s62, s15, 19
	s_mul_i32 s63, s15, 20
	s_mul_i32 s64, s15, 21
	s_mul_i32 s65, s15, 22
	s_mul_i32 s66, s15, 23
	s_mul_i32 s67, s15, 24
	s_mul_i32 s68, s15, 25
	s_mul_i32 s69, s15, 26
	s_mul_i32 s70, s15, 27
	s_mul_i32 s71, s15, 28
	s_mul_i32 s72, s15, 29
	s_mul_i32 s73, s15, 30
	s_mul_i32 s74, s15, 31
	s_lshl_b32 s75, s15, 5
	s_mul_i32 s76, s15, 33
	s_mul_i32 s77, s15, 34
	;; [unrolled: 1-line block ×15, first 2 shown]
	v_mov_b32_e32 v81, s23
	s_mul_i32 s91, s15, 48
	v_mov_b32_e32 v82, 0
	v_accvgpr_write_b32 a15, 0
	v_accvgpr_write_b32 a14, 0
	v_accvgpr_write_b32 a13, 0
	v_accvgpr_write_b32 a12, 0
	v_accvgpr_write_b32 a11, 0
	v_accvgpr_write_b32 a10, 0
	v_accvgpr_write_b32 a9, 0
	v_accvgpr_write_b32 a8, 0
	v_accvgpr_write_b32 a7, 0
	v_accvgpr_write_b32 a6, 0
	v_accvgpr_write_b32 a5, 0
	v_accvgpr_write_b32 a4, 0
	v_accvgpr_write_b32 a3, 0
	v_accvgpr_write_b32 a2, 0
	v_accvgpr_write_b32 a1, 0
	v_accvgpr_write_b32 a0, 0
	v_mov_b32_e32 v83, s43
	s_mul_i32 s43, s15, 49
	s_mul_i32 s92, s15, 50
	;; [unrolled: 1-line block ×15, first 2 shown]
	s_mov_b32 s26, 0x7f800000
	s_movk_i32 s27, 0x7fff
	s_mov_b32 s20, 0x7060302
	s_mov_b64 s[8:9], 0
	s_branch .LBB123_6
.LBB123_5:                              ;   in Loop: Header=BB123_6 Depth=1
	s_or_b64 exec, exec, s[44:45]
	v_perm_b32 v66, v67, v66, s20
	v_add_u32_e32 v67, 0x200, v79
	ds_write2_b32 v67, v66, v82 offset0:70 offset1:136
	v_add_u32_e32 v66, 0x400, v79
	ds_write2_b32 v66, v82, v82 offset0:74 offset1:140
	;; [unrolled: 2-line block ×6, first 2 shown]
	ds_write_b32 v79, v82 offset:3960
	ds_read2_b64 v[66:69], v80 offset1:4
	s_waitcnt lgkmcnt(0)
	v_mfma_f32_16x16x16bf16_1k a[0:3], v[16:17], v[66:67], a[0:3]
	v_add_co_u32_e32 v0, vcc, 0x100, v0
	v_add_u32_e32 v78, 64, v78
	v_addc_co_u32_e32 v1, vcc, 0, v1, vcc
	v_cmp_le_i32_e32 vcc, s12, v78
	s_or_b64 s[8:9], vcc, s[8:9]
	v_mfma_f32_16x16x16bf16_1k a[4:7], v[34:35], v[66:67], a[4:7]
	v_mfma_f32_16x16x16bf16_1k a[8:11], v[48:49], v[66:67], a[8:11]
	;; [unrolled: 1-line block ×4, first 2 shown]
	ds_read2_b64 v[14:17], v80 offset0:8 offset1:12
	v_mfma_f32_16x16x16bf16_1k a[4:7], v[30:31], v[68:69], a[4:7]
	v_mfma_f32_16x16x16bf16_1k a[8:11], v[46:47], v[68:69], a[8:11]
	;; [unrolled: 1-line block ×3, first 2 shown]
	s_waitcnt lgkmcnt(0)
	v_mfma_f32_16x16x16bf16_1k a[0:3], v[10:11], v[14:15], a[0:3]
	v_mfma_f32_16x16x16bf16_1k a[4:7], v[28:29], v[14:15], a[4:7]
	;; [unrolled: 1-line block ×8, first 2 shown]
	ds_read2_b64 v[14:17], v80 offset0:16 offset1:20
	s_waitcnt lgkmcnt(0)
	v_mfma_f32_16x16x16bf16_1k a[0:3], v[12:13], v[14:15], a[0:3]
	v_mfma_f32_16x16x16bf16_1k a[4:7], v[24:25], v[14:15], a[4:7]
	;; [unrolled: 1-line block ×5, first 2 shown]
	ds_read2_b64 v[6:9], v80 offset0:24 offset1:28
	v_mfma_f32_16x16x16bf16_1k a[4:7], v[22:23], v[16:17], a[4:7]
	v_mfma_f32_16x16x16bf16_1k a[8:11], v[38:39], v[16:17], a[8:11]
	;; [unrolled: 1-line block ×3, first 2 shown]
	s_waitcnt lgkmcnt(0)
	v_mfma_f32_16x16x16bf16_1k a[0:3], v[4:5], v[6:7], a[0:3]
	v_mfma_f32_16x16x16bf16_1k a[4:7], v[20:21], v[6:7], a[4:7]
	;; [unrolled: 1-line block ×8, first 2 shown]
	s_andn2_b64 exec, exec, s[8:9]
	s_cbranch_execz .LBB123_50
.LBB123_6:                              ; =>This Inner Loop Header: Depth=1
	v_add_co_u32_e32 v2, vcc, s42, v0
	v_addc_co_u32_e32 v3, vcc, v1, v83, vcc
	global_load_dword v18, v[0:1], off
	global_load_dword v19, v[2:3], off
	v_add_u32_e32 v2, s7, v78
	v_ashrrev_i32_e32 v3, 31, v2
	v_lshlrev_b64 v[2:3], 2, v[2:3]
	v_add_u32_e32 v4, s46, v78
	v_add_co_u32_e32 v2, vcc, s0, v2
	v_ashrrev_i32_e32 v5, 31, v4
	v_addc_co_u32_e32 v3, vcc, v81, v3, vcc
	v_lshlrev_b64 v[4:5], 2, v[4:5]
	v_add_u32_e32 v6, s47, v78
	v_add_co_u32_e32 v4, vcc, s0, v4
	v_ashrrev_i32_e32 v7, 31, v6
	v_addc_co_u32_e32 v5, vcc, v81, v5, vcc
	;; [unrolled: 5-line block ×7, first 2 shown]
	v_lshlrev_b64 v[16:17], 2, v[16:17]
	v_add_co_u32_e32 v16, vcc, s0, v16
	v_addc_co_u32_e32 v17, vcc, v81, v17, vcc
	global_load_dword v20, v[2:3], off
	global_load_dword v21, v[4:5], off
	global_load_dword v22, v[6:7], off
	global_load_dword v23, v[8:9], off
	global_load_dword v24, v[10:11], off
	global_load_dword v25, v[12:13], off
	s_nop 0
	global_load_dword v14, v[14:15], off
	s_nop 0
	global_load_dword v15, v[16:17], off
	v_add_u32_e32 v2, s53, v78
	v_ashrrev_i32_e32 v3, 31, v2
	v_lshlrev_b64 v[2:3], 2, v[2:3]
	v_add_u32_e32 v4, s54, v78
	v_add_co_u32_e32 v2, vcc, s0, v2
	v_ashrrev_i32_e32 v5, 31, v4
	v_addc_co_u32_e32 v3, vcc, v81, v3, vcc
	v_lshlrev_b64 v[4:5], 2, v[4:5]
	v_add_u32_e32 v6, s55, v78
	v_add_co_u32_e32 v4, vcc, s0, v4
	v_ashrrev_i32_e32 v7, 31, v6
	v_addc_co_u32_e32 v5, vcc, v81, v5, vcc
	v_lshlrev_b64 v[6:7], 2, v[6:7]
	v_add_u32_e32 v8, s56, v78
	v_add_co_u32_e32 v6, vcc, s0, v6
	v_ashrrev_i32_e32 v9, 31, v8
	v_addc_co_u32_e32 v7, vcc, v81, v7, vcc
	v_lshlrev_b64 v[8:9], 2, v[8:9]
	v_add_u32_e32 v10, s57, v78
	v_add_co_u32_e32 v8, vcc, s0, v8
	v_ashrrev_i32_e32 v11, 31, v10
	v_addc_co_u32_e32 v9, vcc, v81, v9, vcc
	v_lshlrev_b64 v[10:11], 2, v[10:11]
	v_add_u32_e32 v12, s58, v78
	v_add_co_u32_e32 v10, vcc, s0, v10
	v_ashrrev_i32_e32 v13, 31, v12
	v_addc_co_u32_e32 v11, vcc, v81, v11, vcc
	v_lshlrev_b64 v[12:13], 2, v[12:13]
	v_add_co_u32_e32 v12, vcc, s0, v12
	v_addc_co_u32_e32 v13, vcc, v81, v13, vcc
	global_load_dword v16, v[2:3], off
	global_load_dword v17, v[4:5], off
	s_nop 0
	global_load_dword v6, v[6:7], off
	s_nop 0
	;; [unrolled: 2-line block ×3, first 2 shown]
	global_load_dword v8, v[10:11], off
	global_load_dword v9, v[12:13], off
	v_add_u32_e32 v2, s59, v78
	v_ashrrev_i32_e32 v3, 31, v2
	v_lshlrev_b64 v[2:3], 2, v[2:3]
	v_add_u32_e32 v4, s60, v78
	v_add_co_u32_e32 v2, vcc, s0, v2
	v_ashrrev_i32_e32 v5, 31, v4
	v_addc_co_u32_e32 v3, vcc, v81, v3, vcc
	v_lshlrev_b64 v[4:5], 2, v[4:5]
	s_waitcnt vmcnt(15)
	ds_write_b32 v79, v18
	s_waitcnt vmcnt(14)
	ds_write_b32 v79, v19 offset:264
	s_waitcnt vmcnt(13)
	ds_write_b32 v79, v20 offset:528
	;; [unrolled: 2-line block ×9, first 2 shown]
	v_add_co_u32_e32 v4, vcc, s0, v4
	v_addc_co_u32_e32 v5, vcc, v81, v5, vcc
	global_load_dword v18, v[2:3], off
	global_load_dword v19, v[4:5], off
	v_add_u32_e32 v2, s61, v78
	v_ashrrev_i32_e32 v3, 31, v2
	v_lshlrev_b64 v[2:3], 2, v[2:3]
	v_add_u32_e32 v4, s62, v78
	v_add_co_u32_e32 v2, vcc, s0, v2
	v_ashrrev_i32_e32 v5, 31, v4
	s_waitcnt vmcnt(7)
	ds_write_b32 v79, v16 offset:2640
	s_waitcnt vmcnt(6)
	ds_write_b32 v79, v17 offset:2904
	;; [unrolled: 2-line block ×6, first 2 shown]
	v_addc_co_u32_e32 v3, vcc, v81, v3, vcc
	v_lshlrev_b64 v[4:5], 2, v[4:5]
	v_add_u32_e32 v6, s63, v78
	v_add_co_u32_e32 v4, vcc, s0, v4
	v_ashrrev_i32_e32 v7, 31, v6
	v_addc_co_u32_e32 v5, vcc, v81, v5, vcc
	v_lshlrev_b64 v[6:7], 2, v[6:7]
	v_add_u32_e32 v8, s64, v78
	v_add_co_u32_e32 v6, vcc, s0, v6
	v_ashrrev_i32_e32 v9, 31, v8
	v_addc_co_u32_e32 v7, vcc, v81, v7, vcc
	v_lshlrev_b64 v[8:9], 2, v[8:9]
	v_add_u32_e32 v10, s65, v78
	v_add_co_u32_e32 v8, vcc, s0, v8
	v_ashrrev_i32_e32 v11, 31, v10
	v_addc_co_u32_e32 v9, vcc, v81, v9, vcc
	v_lshlrev_b64 v[10:11], 2, v[10:11]
	v_add_u32_e32 v12, s66, v78
	v_add_co_u32_e32 v10, vcc, s0, v10
	v_ashrrev_i32_e32 v13, 31, v12
	v_addc_co_u32_e32 v11, vcc, v81, v11, vcc
	v_lshlrev_b64 v[12:13], 2, v[12:13]
	v_add_u32_e32 v14, s67, v78
	v_add_co_u32_e32 v12, vcc, s0, v12
	v_ashrrev_i32_e32 v15, 31, v14
	v_addc_co_u32_e32 v13, vcc, v81, v13, vcc
	v_lshlrev_b64 v[14:15], 2, v[14:15]
	v_add_u32_e32 v16, s68, v78
	v_add_co_u32_e32 v14, vcc, s0, v14
	v_ashrrev_i32_e32 v17, 31, v16
	v_addc_co_u32_e32 v15, vcc, v81, v15, vcc
	v_lshlrev_b64 v[16:17], 2, v[16:17]
	v_add_co_u32_e32 v16, vcc, s0, v16
	v_addc_co_u32_e32 v17, vcc, v81, v17, vcc
	global_load_dword v24, v[2:3], off
	global_load_dword v25, v[4:5], off
	global_load_dword v26, v[6:7], off
	global_load_dword v27, v[8:9], off
	global_load_dword v28, v[10:11], off
	global_load_dword v29, v[12:13], off
	global_load_dword v30, v[14:15], off
	global_load_dword v31, v[16:17], off
	v_add_u32_e32 v2, s69, v78
	v_ashrrev_i32_e32 v3, 31, v2
	v_lshlrev_b64 v[2:3], 2, v[2:3]
	v_add_u32_e32 v4, s70, v78
	v_add_co_u32_e32 v2, vcc, s0, v2
	v_ashrrev_i32_e32 v5, 31, v4
	v_addc_co_u32_e32 v3, vcc, v81, v3, vcc
	v_lshlrev_b64 v[4:5], 2, v[4:5]
	v_add_u32_e32 v6, s71, v78
	v_add_co_u32_e32 v4, vcc, s0, v4
	v_ashrrev_i32_e32 v7, 31, v6
	v_addc_co_u32_e32 v5, vcc, v81, v5, vcc
	v_lshlrev_b64 v[6:7], 2, v[6:7]
	v_add_u32_e32 v8, s72, v78
	v_add_co_u32_e32 v6, vcc, s0, v6
	v_ashrrev_i32_e32 v9, 31, v8
	v_addc_co_u32_e32 v7, vcc, v81, v7, vcc
	v_lshlrev_b64 v[8:9], 2, v[8:9]
	v_add_u32_e32 v10, s73, v78
	v_add_co_u32_e32 v8, vcc, s0, v8
	v_ashrrev_i32_e32 v11, 31, v10
	v_addc_co_u32_e32 v9, vcc, v81, v9, vcc
	v_lshlrev_b64 v[10:11], 2, v[10:11]
	v_add_u32_e32 v12, s74, v78
	v_add_co_u32_e32 v10, vcc, s0, v10
	v_ashrrev_i32_e32 v13, 31, v12
	v_addc_co_u32_e32 v11, vcc, v81, v11, vcc
	v_lshlrev_b64 v[12:13], 2, v[12:13]
	v_add_u32_e32 v14, s75, v78
	v_add_co_u32_e32 v12, vcc, s0, v12
	v_ashrrev_i32_e32 v15, 31, v14
	v_addc_co_u32_e32 v13, vcc, v81, v13, vcc
	v_lshlrev_b64 v[14:15], 2, v[14:15]
	v_add_u32_e32 v16, s76, v78
	v_add_co_u32_e32 v14, vcc, s0, v14
	v_ashrrev_i32_e32 v17, 31, v16
	v_addc_co_u32_e32 v15, vcc, v81, v15, vcc
	v_lshlrev_b64 v[16:17], 2, v[16:17]
	v_add_co_u32_e32 v16, vcc, s0, v16
	v_addc_co_u32_e32 v17, vcc, v81, v17, vcc
	global_load_dword v32, v[2:3], off
	global_load_dword v33, v[4:5], off
	global_load_dword v34, v[6:7], off
	global_load_dword v35, v[8:9], off
	global_load_dword v36, v[10:11], off
	global_load_dword v37, v[12:13], off
	global_load_dword v38, v[14:15], off
	global_load_dword v39, v[16:17], off
	v_add_u32_e32 v2, s77, v78
	v_ashrrev_i32_e32 v3, 31, v2
	v_lshlrev_b64 v[2:3], 2, v[2:3]
	v_add_u32_e32 v4, s78, v78
	v_add_co_u32_e32 v2, vcc, s0, v2
	v_ashrrev_i32_e32 v5, 31, v4
	v_addc_co_u32_e32 v3, vcc, v81, v3, vcc
	v_lshlrev_b64 v[4:5], 2, v[4:5]
	v_add_u32_e32 v6, s79, v78
	v_add_co_u32_e32 v4, vcc, s0, v4
	v_ashrrev_i32_e32 v7, 31, v6
	v_addc_co_u32_e32 v5, vcc, v81, v5, vcc
	v_lshlrev_b64 v[6:7], 2, v[6:7]
	v_add_u32_e32 v8, s80, v78
	v_add_co_u32_e32 v6, vcc, s0, v6
	v_ashrrev_i32_e32 v9, 31, v8
	v_addc_co_u32_e32 v7, vcc, v81, v7, vcc
	v_lshlrev_b64 v[8:9], 2, v[8:9]
	v_add_u32_e32 v10, s81, v78
	v_add_co_u32_e32 v8, vcc, s0, v8
	v_ashrrev_i32_e32 v11, 31, v10
	v_addc_co_u32_e32 v9, vcc, v81, v9, vcc
	v_lshlrev_b64 v[10:11], 2, v[10:11]
	v_add_u32_e32 v12, s82, v78
	v_add_co_u32_e32 v10, vcc, s0, v10
	v_ashrrev_i32_e32 v13, 31, v12
	v_addc_co_u32_e32 v11, vcc, v81, v11, vcc
	v_lshlrev_b64 v[12:13], 2, v[12:13]
	v_add_u32_e32 v14, s83, v78
	v_add_co_u32_e32 v12, vcc, s0, v12
	v_ashrrev_i32_e32 v15, 31, v14
	v_addc_co_u32_e32 v13, vcc, v81, v13, vcc
	v_lshlrev_b64 v[14:15], 2, v[14:15]
	v_add_u32_e32 v16, s84, v78
	v_add_co_u32_e32 v14, vcc, s0, v14
	v_ashrrev_i32_e32 v17, 31, v16
	v_addc_co_u32_e32 v15, vcc, v81, v15, vcc
	v_lshlrev_b64 v[16:17], 2, v[16:17]
	v_add_co_u32_e32 v16, vcc, s0, v16
	v_addc_co_u32_e32 v17, vcc, v81, v17, vcc
	global_load_dword v40, v[2:3], off
	global_load_dword v41, v[4:5], off
	global_load_dword v42, v[6:7], off
	global_load_dword v43, v[8:9], off
	global_load_dword v44, v[10:11], off
	global_load_dword v45, v[12:13], off
	global_load_dword v46, v[14:15], off
	global_load_dword v47, v[16:17], off
	v_add_u32_e32 v2, s85, v78
	v_ashrrev_i32_e32 v3, 31, v2
	v_lshlrev_b64 v[2:3], 2, v[2:3]
	v_add_u32_e32 v4, s86, v78
	v_add_co_u32_e32 v2, vcc, s0, v2
	v_ashrrev_i32_e32 v5, 31, v4
	v_addc_co_u32_e32 v3, vcc, v81, v3, vcc
	v_lshlrev_b64 v[4:5], 2, v[4:5]
	v_add_u32_e32 v6, s87, v78
	v_add_co_u32_e32 v4, vcc, s0, v4
	v_ashrrev_i32_e32 v7, 31, v6
	v_addc_co_u32_e32 v5, vcc, v81, v5, vcc
	v_lshlrev_b64 v[6:7], 2, v[6:7]
	v_add_u32_e32 v8, s88, v78
	v_add_co_u32_e32 v6, vcc, s0, v6
	v_ashrrev_i32_e32 v9, 31, v8
	v_addc_co_u32_e32 v7, vcc, v81, v7, vcc
	v_lshlrev_b64 v[8:9], 2, v[8:9]
	v_add_u32_e32 v10, s89, v78
	v_add_co_u32_e32 v8, vcc, s0, v8
	v_ashrrev_i32_e32 v11, 31, v10
	v_addc_co_u32_e32 v9, vcc, v81, v9, vcc
	v_lshlrev_b64 v[10:11], 2, v[10:11]
	v_add_u32_e32 v12, s90, v78
	v_add_co_u32_e32 v10, vcc, s0, v10
	v_ashrrev_i32_e32 v13, 31, v12
	v_addc_co_u32_e32 v11, vcc, v81, v11, vcc
	v_lshlrev_b64 v[12:13], 2, v[12:13]
	v_add_u32_e32 v14, s91, v78
	v_add_co_u32_e32 v12, vcc, s0, v12
	v_ashrrev_i32_e32 v15, 31, v14
	v_addc_co_u32_e32 v13, vcc, v81, v13, vcc
	v_lshlrev_b64 v[14:15], 2, v[14:15]
	v_add_u32_e32 v16, s43, v78
	v_add_co_u32_e32 v14, vcc, s0, v14
	v_ashrrev_i32_e32 v17, 31, v16
	v_addc_co_u32_e32 v15, vcc, v81, v15, vcc
	v_lshlrev_b64 v[16:17], 2, v[16:17]
	v_add_co_u32_e32 v16, vcc, s0, v16
	v_addc_co_u32_e32 v17, vcc, v81, v17, vcc
	global_load_dword v48, v[2:3], off
	global_load_dword v49, v[4:5], off
	global_load_dword v50, v[6:7], off
	global_load_dword v51, v[8:9], off
	global_load_dword v52, v[10:11], off
	global_load_dword v53, v[12:13], off
	global_load_dword v54, v[14:15], off
	global_load_dword v55, v[16:17], off
	v_add_u32_e32 v2, s92, v78
	v_ashrrev_i32_e32 v3, 31, v2
	v_lshlrev_b64 v[2:3], 2, v[2:3]
	v_add_u32_e32 v4, s93, v78
	v_add_co_u32_e32 v2, vcc, s0, v2
	v_ashrrev_i32_e32 v5, 31, v4
	v_addc_co_u32_e32 v3, vcc, v81, v3, vcc
	v_lshlrev_b64 v[4:5], 2, v[4:5]
	v_add_u32_e32 v6, s94, v78
	v_add_co_u32_e32 v4, vcc, s0, v4
	v_ashrrev_i32_e32 v7, 31, v6
	v_addc_co_u32_e32 v5, vcc, v81, v5, vcc
	v_lshlrev_b64 v[6:7], 2, v[6:7]
	v_add_u32_e32 v8, s95, v78
	v_add_co_u32_e32 v6, vcc, s0, v6
	v_ashrrev_i32_e32 v9, 31, v8
	v_addc_co_u32_e32 v7, vcc, v81, v7, vcc
	v_lshlrev_b64 v[8:9], 2, v[8:9]
	v_add_u32_e32 v10, s24, v78
	v_add_co_u32_e32 v8, vcc, s0, v8
	v_ashrrev_i32_e32 v11, 31, v10
	v_addc_co_u32_e32 v9, vcc, v81, v9, vcc
	v_lshlrev_b64 v[10:11], 2, v[10:11]
	v_add_u32_e32 v12, s25, v78
	v_add_co_u32_e32 v10, vcc, s0, v10
	v_ashrrev_i32_e32 v13, 31, v12
	v_addc_co_u32_e32 v11, vcc, v81, v11, vcc
	v_lshlrev_b64 v[12:13], 2, v[12:13]
	v_add_u32_e32 v14, s28, v78
	v_add_co_u32_e32 v12, vcc, s0, v12
	v_ashrrev_i32_e32 v15, 31, v14
	v_addc_co_u32_e32 v13, vcc, v81, v13, vcc
	v_lshlrev_b64 v[14:15], 2, v[14:15]
	v_add_u32_e32 v16, s29, v78
	v_add_co_u32_e32 v14, vcc, s0, v14
	v_ashrrev_i32_e32 v17, 31, v16
	v_addc_co_u32_e32 v15, vcc, v81, v15, vcc
	v_lshlrev_b64 v[16:17], 2, v[16:17]
	v_add_co_u32_e32 v16, vcc, s0, v16
	v_addc_co_u32_e32 v17, vcc, v81, v17, vcc
	global_load_dword v56, v[2:3], off
	global_load_dword v57, v[4:5], off
	global_load_dword v58, v[6:7], off
	global_load_dword v59, v[8:9], off
	global_load_dword v60, v[10:11], off
	global_load_dword v61, v[12:13], off
	global_load_dword v62, v[14:15], off
	global_load_dword v63, v[16:17], off
	v_add_u32_e32 v2, s22, v78
	v_ashrrev_i32_e32 v3, 31, v2
	v_lshlrev_b64 v[2:3], 2, v[2:3]
	v_add_u32_e32 v4, s23, v78
	v_add_co_u32_e32 v2, vcc, s0, v2
	v_ashrrev_i32_e32 v5, 31, v4
	v_addc_co_u32_e32 v3, vcc, v81, v3, vcc
	v_lshlrev_b64 v[4:5], 2, v[4:5]
	v_add_u32_e32 v6, s3, v78
	v_add_co_u32_e32 v4, vcc, s0, v4
	v_ashrrev_i32_e32 v7, 31, v6
	v_addc_co_u32_e32 v5, vcc, v81, v5, vcc
	v_lshlrev_b64 v[6:7], 2, v[6:7]
	v_add_co_u32_e32 v8, vcc, s0, v6
	v_add_u32_e32 v6, s30, v78
	v_addc_co_u32_e32 v9, vcc, v81, v7, vcc
	v_ashrrev_i32_e32 v7, 31, v6
	v_lshlrev_b64 v[6:7], 2, v[6:7]
	v_add_co_u32_e32 v12, vcc, s0, v6
	v_add_u32_e32 v6, s31, v78
	v_addc_co_u32_e32 v13, vcc, v81, v7, vcc
	v_ashrrev_i32_e32 v7, 31, v6
	;; [unrolled: 5-line block ×3, first 2 shown]
	v_lshlrev_b64 v[6:7], 2, v[6:7]
	v_add_co_u32_e32 v22, vcc, s0, v6
	v_addc_co_u32_e32 v23, vcc, v81, v7, vcc
	ds_read_b64 v[16:17], v80
	ds_read_b64 v[14:15], v80 offset:32
	ds_read_b64 v[10:11], v80 offset:64
	;; [unrolled: 1-line block ×3, first 2 shown]
	global_load_dword v64, v[2:3], off
	global_load_dword v65, v[4:5], off
	;; [unrolled: 1-line block ×6, first 2 shown]
	ds_read_b64 v[12:13], v80 offset:128
	ds_read_b64 v[8:9], v80 offset:160
	ds_read_b64 v[4:5], v80 offset:192
	ds_read_b64 v[2:3], v80 offset:224
	s_waitcnt vmcnt(47)
	ds_write_b32 v79, v18
	s_waitcnt vmcnt(46)
	ds_write_b32 v79, v19 offset:264
	s_waitcnt vmcnt(45)
	ds_write_b32 v79, v24 offset:528
	s_waitcnt vmcnt(44)
	ds_write_b32 v79, v25 offset:792
	s_waitcnt vmcnt(43)
	ds_write_b32 v79, v26 offset:1056
	s_waitcnt vmcnt(42)
	ds_write_b32 v79, v27 offset:1320
	s_waitcnt vmcnt(41)
	ds_write_b32 v79, v28 offset:1584
	s_waitcnt vmcnt(40)
	ds_write_b32 v79, v29 offset:1848
	s_waitcnt vmcnt(39)
	ds_write_b32 v79, v30 offset:2112
	s_waitcnt vmcnt(38)
	ds_write_b32 v79, v31 offset:2376
	s_waitcnt vmcnt(37)
	ds_write_b32 v79, v32 offset:2640
	s_waitcnt vmcnt(36)
	ds_write_b32 v79, v33 offset:2904
	s_waitcnt vmcnt(35)
	ds_write_b32 v79, v34 offset:3168
	s_waitcnt vmcnt(34)
	ds_write_b32 v79, v35 offset:3432
	s_waitcnt vmcnt(33)
	ds_write_b32 v79, v36 offset:3696
	s_waitcnt vmcnt(32)
	ds_write_b32 v79, v37 offset:3960
	ds_read_b64 v[34:35], v80
	ds_read_b64 v[30:31], v80 offset:32
	ds_read_b64 v[28:29], v80 offset:64
	ds_read_b64 v[26:27], v80 offset:96
	ds_read_b64 v[24:25], v80 offset:128
	ds_read_b64 v[22:23], v80 offset:160
	ds_read_b64 v[20:21], v80 offset:192
	ds_read_b64 v[18:19], v80 offset:224
	s_waitcnt vmcnt(31)
	ds_write_b32 v79, v38
	s_waitcnt vmcnt(30)
	ds_write_b32 v79, v39 offset:264
	s_waitcnt vmcnt(29)
	ds_write_b32 v79, v40 offset:528
	s_waitcnt vmcnt(28)
	ds_write_b32 v79, v41 offset:792
	s_waitcnt vmcnt(27)
	ds_write_b32 v79, v42 offset:1056
	s_waitcnt vmcnt(26)
	ds_write_b32 v79, v43 offset:1320
	s_waitcnt vmcnt(25)
	ds_write_b32 v79, v44 offset:1584
	s_waitcnt vmcnt(24)
	ds_write_b32 v79, v45 offset:1848
	s_waitcnt vmcnt(23)
	ds_write_b32 v79, v46 offset:2112
	s_waitcnt vmcnt(22)
	ds_write_b32 v79, v47 offset:2376
	s_waitcnt vmcnt(21)
	ds_write_b32 v79, v48 offset:2640
	s_waitcnt vmcnt(20)
	ds_write_b32 v79, v49 offset:2904
	s_waitcnt vmcnt(19)
	ds_write_b32 v79, v50 offset:3168
	s_waitcnt vmcnt(18)
	ds_write_b32 v79, v51 offset:3432
	s_waitcnt vmcnt(17)
	ds_write_b32 v79, v52 offset:3696
	s_waitcnt vmcnt(16)
	ds_write_b32 v79, v53 offset:3960
	ds_read_b64 v[48:49], v80
	ds_read_b64 v[46:47], v80 offset:32
	ds_read_b64 v[44:45], v80 offset:64
	ds_read_b64 v[42:43], v80 offset:96
	;; [unrolled: 40-line block ×3, first 2 shown]
	ds_read_b64 v[60:61], v80 offset:128
	ds_read_b64 v[56:57], v80 offset:160
	ds_read_b64 v[52:53], v80 offset:192
	ds_read_b64 v[50:51], v80 offset:224
	s_andn2_b64 vcc, exec, s[4:5]
	v_mov_b32_e32 v72, 0
	v_mov_b32_e32 v73, 0
	s_cbranch_vccnz .LBB123_9
; %bb.7:                                ;   in Loop: Header=BB123_6 Depth=1
	s_load_dword s21, s[34:35], 0x0
	v_mov_b32_e32 v73, 0
	v_mov_b32_e32 v72, 0
	s_waitcnt lgkmcnt(0)
	s_mul_hi_u32 s44, s21, s16
	s_add_i32 s44, s21, s44
	s_lshr_b32 s44, s44, s17
	s_cmp_ge_i32 s44, s13
	s_cbranch_scc1 .LBB123_9
; %bb.8:                                ;   in Loop: Header=BB123_6 Depth=1
	s_mul_i32 s45, s44, s18
	v_readlane_b32 vcc_lo, v85, 0
	s_sub_i32 s21, s21, s45
	s_mul_i32 s44, s44, vcc_lo
	s_mul_i32 s21, s21, s1
	v_add_u32_e32 v66, s44, v78
	v_lshl_add_u32 v66, v66, 1, s21
	v_ashrrev_i32_e32 v67, 31, v66
	v_readlane_b32 vcc_hi, v85, 1
	v_lshlrev_b64 v[66:67], 2, v[66:67]
	v_mov_b32_e32 v68, s11
	v_add_co_u32_e32 v66, vcc, s10, v66
	v_addc_co_u32_e32 v67, vcc, v68, v67, vcc
	global_load_dwordx2 v[72:73], v[66:67], off
.LBB123_9:                              ;   in Loop: Header=BB123_6 Depth=1
	s_andn2_b64 vcc, exec, s[36:37]
	v_mov_b32_e32 v66, 0
	v_mov_b32_e32 v70, 0
	;; [unrolled: 1-line block ×3, first 2 shown]
	s_cbranch_vccnz .LBB123_12
; %bb.10:                               ;   in Loop: Header=BB123_6 Depth=1
	s_load_dword s21, s[34:35], 0x4
	v_mov_b32_e32 v71, 0
	v_mov_b32_e32 v70, 0
	s_waitcnt lgkmcnt(0)
	s_mul_hi_u32 s44, s21, s16
	s_add_i32 s44, s21, s44
	s_lshr_b32 s44, s44, s17
	s_cmp_ge_i32 s44, s13
	s_cbranch_scc1 .LBB123_12
; %bb.11:                               ;   in Loop: Header=BB123_6 Depth=1
	s_mul_i32 s45, s44, s18
	v_readlane_b32 vcc_lo, v85, 0
	s_sub_i32 s21, s21, s45
	s_mul_i32 s44, s44, vcc_lo
	s_mul_i32 s21, s21, s1
	v_add_u32_e32 v67, s44, v78
	v_lshl_add_u32 v68, v67, 1, s21
	v_ashrrev_i32_e32 v69, 31, v68
	v_readlane_b32 vcc_hi, v85, 1
	v_lshlrev_b64 v[68:69], 2, v[68:69]
	v_mov_b32_e32 v67, s11
	v_add_co_u32_e32 v68, vcc, s10, v68
	v_addc_co_u32_e32 v69, vcc, v67, v69, vcc
	global_load_dwordx2 v[70:71], v[68:69], off
.LBB123_12:                             ;   in Loop: Header=BB123_6 Depth=1
	s_andn2_b64 vcc, exec, s[38:39]
	v_mov_b32_e32 v67, 0
	s_cbranch_vccnz .LBB123_15
; %bb.13:                               ;   in Loop: Header=BB123_6 Depth=1
	s_load_dword s21, s[34:35], 0x8
	v_mov_b32_e32 v67, 0
	v_mov_b32_e32 v66, 0
	s_waitcnt lgkmcnt(0)
	s_mul_hi_u32 s44, s21, s16
	s_add_i32 s44, s21, s44
	s_lshr_b32 s44, s44, s17
	s_cmp_ge_i32 s44, s13
	s_cbranch_scc1 .LBB123_15
; %bb.14:                               ;   in Loop: Header=BB123_6 Depth=1
	s_mul_i32 s45, s44, s18
	v_readlane_b32 vcc_lo, v85, 0
	s_sub_i32 s21, s21, s45
	s_mul_i32 s44, s44, vcc_lo
	s_mul_i32 s21, s21, s1
	v_add_u32_e32 v66, s44, v78
	v_lshl_add_u32 v66, v66, 1, s21
	v_ashrrev_i32_e32 v67, 31, v66
	v_readlane_b32 vcc_hi, v85, 1
	v_lshlrev_b64 v[66:67], 2, v[66:67]
	v_mov_b32_e32 v68, s11
	v_add_co_u32_e32 v66, vcc, s10, v66
	v_addc_co_u32_e32 v67, vcc, v68, v67, vcc
	global_load_dwordx2 v[66:67], v[66:67], off
.LBB123_15:                             ;   in Loop: Header=BB123_6 Depth=1
	s_andn2_b64 vcc, exec, s[40:41]
	v_mov_b32_e32 v68, 0
	v_mov_b32_e32 v69, 0
	s_cbranch_vccnz .LBB123_18
; %bb.16:                               ;   in Loop: Header=BB123_6 Depth=1
	s_load_dword s21, s[34:35], 0xc
	v_mov_b32_e32 v69, 0
	v_mov_b32_e32 v68, 0
	s_waitcnt lgkmcnt(0)
	s_mul_hi_u32 s44, s21, s16
	s_add_i32 s44, s21, s44
	s_lshr_b32 s44, s44, s17
	s_cmp_ge_i32 s44, s13
	s_cbranch_scc1 .LBB123_18
; %bb.17:                               ;   in Loop: Header=BB123_6 Depth=1
	s_mul_i32 s45, s44, s18
	v_readlane_b32 vcc_lo, v85, 0
	s_sub_i32 s21, s21, s45
	s_mul_i32 s44, s44, vcc_lo
	s_mul_i32 s21, s21, s1
	v_add_u32_e32 v68, s44, v78
	v_lshl_add_u32 v68, v68, 1, s21
	v_ashrrev_i32_e32 v69, 31, v68
	v_readlane_b32 vcc_hi, v85, 1
	v_lshlrev_b64 v[68:69], 2, v[68:69]
	v_mov_b32_e32 v84, s11
	v_add_co_u32_e32 v68, vcc, s10, v68
	v_addc_co_u32_e32 v69, vcc, v84, v69, vcc
	global_load_dwordx2 v[68:69], v[68:69], off
.LBB123_18:                             ;   in Loop: Header=BB123_6 Depth=1
	s_waitcnt vmcnt(0)
	v_and_b32_e32 v84, 0x7f800000, v72
	v_cmp_ne_u32_e32 vcc, s26, v84
                                        ; implicit-def: $vgpr84
	s_and_saveexec_b64 s[44:45], vcc
	s_xor_b64 s[44:45], exec, s[44:45]
; %bb.19:                               ;   in Loop: Header=BB123_6 Depth=1
	v_bfe_u32 v84, v72, 16, 1
	v_add3_u32 v84, v72, v84, s27
; %bb.20:                               ;   in Loop: Header=BB123_6 Depth=1
	s_andn2_saveexec_b64 s[44:45], s[44:45]
; %bb.21:                               ;   in Loop: Header=BB123_6 Depth=1
	v_or_b32_e32 v84, 0x10000, v72
	v_cmp_eq_u32_sdwa vcc, v72, v82 src0_sel:WORD_0 src1_sel:DWORD
	v_cndmask_b32_e32 v84, v84, v72, vcc
; %bb.22:                               ;   in Loop: Header=BB123_6 Depth=1
	s_or_b64 exec, exec, s[44:45]
	v_and_b32_e32 v72, 0x7f800000, v73
	v_cmp_ne_u32_e32 vcc, s26, v72
                                        ; implicit-def: $vgpr72
	s_and_saveexec_b64 s[44:45], vcc
	s_xor_b64 s[44:45], exec, s[44:45]
; %bb.23:                               ;   in Loop: Header=BB123_6 Depth=1
	v_bfe_u32 v72, v73, 16, 1
	v_add3_u32 v72, v73, v72, s27
                                        ; implicit-def: $vgpr73
; %bb.24:                               ;   in Loop: Header=BB123_6 Depth=1
	s_andn2_saveexec_b64 s[44:45], s[44:45]
; %bb.25:                               ;   in Loop: Header=BB123_6 Depth=1
	v_or_b32_e32 v72, 0x10000, v73
	v_cmp_eq_u32_sdwa vcc, v73, v82 src0_sel:WORD_0 src1_sel:DWORD
	v_cndmask_b32_e32 v72, v72, v73, vcc
; %bb.26:                               ;   in Loop: Header=BB123_6 Depth=1
	s_or_b64 exec, exec, s[44:45]
	v_perm_b32 v72, v72, v84, s20
	ds_write_b32 v79, v72
	v_and_b32_e32 v72, 0x7f800000, v70
	v_cmp_ne_u32_e32 vcc, s26, v72
                                        ; implicit-def: $vgpr72
	s_and_saveexec_b64 s[44:45], vcc
	s_xor_b64 s[44:45], exec, s[44:45]
; %bb.27:                               ;   in Loop: Header=BB123_6 Depth=1
	v_bfe_u32 v72, v70, 16, 1
	v_add3_u32 v72, v70, v72, s27
; %bb.28:                               ;   in Loop: Header=BB123_6 Depth=1
	s_andn2_saveexec_b64 s[44:45], s[44:45]
; %bb.29:                               ;   in Loop: Header=BB123_6 Depth=1
	v_or_b32_e32 v72, 0x10000, v70
	v_cmp_eq_u32_sdwa vcc, v70, v82 src0_sel:WORD_0 src1_sel:DWORD
	v_cndmask_b32_e32 v72, v72, v70, vcc
; %bb.30:                               ;   in Loop: Header=BB123_6 Depth=1
	s_or_b64 exec, exec, s[44:45]
	v_and_b32_e32 v70, 0x7f800000, v71
	v_cmp_ne_u32_e32 vcc, s26, v70
                                        ; implicit-def: $vgpr70
	s_and_saveexec_b64 s[44:45], vcc
	s_xor_b64 s[44:45], exec, s[44:45]
; %bb.31:                               ;   in Loop: Header=BB123_6 Depth=1
	v_bfe_u32 v70, v71, 16, 1
	v_add3_u32 v70, v71, v70, s27
                                        ; implicit-def: $vgpr71
; %bb.32:                               ;   in Loop: Header=BB123_6 Depth=1
	s_andn2_saveexec_b64 s[44:45], s[44:45]
; %bb.33:                               ;   in Loop: Header=BB123_6 Depth=1
	v_or_b32_e32 v70, 0x10000, v71
	v_cmp_eq_u32_sdwa vcc, v71, v82 src0_sel:WORD_0 src1_sel:DWORD
	v_cndmask_b32_e32 v70, v70, v71, vcc
; %bb.34:                               ;   in Loop: Header=BB123_6 Depth=1
	s_or_b64 exec, exec, s[44:45]
	v_perm_b32 v70, v70, v72, s20
	ds_write_b32 v79, v70 offset:264
	v_and_b32_e32 v70, 0x7f800000, v66
	v_cmp_ne_u32_e32 vcc, s26, v70
                                        ; implicit-def: $vgpr70
	s_and_saveexec_b64 s[44:45], vcc
	s_xor_b64 s[44:45], exec, s[44:45]
; %bb.35:                               ;   in Loop: Header=BB123_6 Depth=1
	v_bfe_u32 v70, v66, 16, 1
	v_add3_u32 v70, v66, v70, s27
; %bb.36:                               ;   in Loop: Header=BB123_6 Depth=1
	s_andn2_saveexec_b64 s[44:45], s[44:45]
; %bb.37:                               ;   in Loop: Header=BB123_6 Depth=1
	v_or_b32_e32 v70, 0x10000, v66
	v_cmp_eq_u32_sdwa vcc, v66, v82 src0_sel:WORD_0 src1_sel:DWORD
	v_cndmask_b32_e32 v70, v70, v66, vcc
; %bb.38:                               ;   in Loop: Header=BB123_6 Depth=1
	s_or_b64 exec, exec, s[44:45]
	v_and_b32_e32 v66, 0x7f800000, v67
	v_cmp_ne_u32_e32 vcc, s26, v66
                                        ; implicit-def: $vgpr66
	s_and_saveexec_b64 s[44:45], vcc
	s_xor_b64 s[44:45], exec, s[44:45]
; %bb.39:                               ;   in Loop: Header=BB123_6 Depth=1
	v_bfe_u32 v66, v67, 16, 1
	v_add3_u32 v66, v67, v66, s27
                                        ; implicit-def: $vgpr67
; %bb.40:                               ;   in Loop: Header=BB123_6 Depth=1
	s_andn2_saveexec_b64 s[44:45], s[44:45]
; %bb.41:                               ;   in Loop: Header=BB123_6 Depth=1
	v_or_b32_e32 v66, 0x10000, v67
	v_cmp_eq_u32_sdwa vcc, v67, v82 src0_sel:WORD_0 src1_sel:DWORD
	v_cndmask_b32_e32 v66, v66, v67, vcc
; %bb.42:                               ;   in Loop: Header=BB123_6 Depth=1
	s_or_b64 exec, exec, s[44:45]
	v_perm_b32 v66, v66, v70, s20
	ds_write_b32 v79, v66 offset:528
	v_and_b32_e32 v66, 0x7f800000, v68
	v_cmp_ne_u32_e32 vcc, s26, v66
                                        ; implicit-def: $vgpr66
	s_and_saveexec_b64 s[44:45], vcc
	s_xor_b64 s[44:45], exec, s[44:45]
; %bb.43:                               ;   in Loop: Header=BB123_6 Depth=1
	v_bfe_u32 v66, v68, 16, 1
	v_add3_u32 v66, v68, v66, s27
; %bb.44:                               ;   in Loop: Header=BB123_6 Depth=1
	s_andn2_saveexec_b64 s[44:45], s[44:45]
; %bb.45:                               ;   in Loop: Header=BB123_6 Depth=1
	v_or_b32_e32 v66, 0x10000, v68
	v_cmp_eq_u32_sdwa vcc, v68, v82 src0_sel:WORD_0 src1_sel:DWORD
	v_cndmask_b32_e32 v66, v66, v68, vcc
; %bb.46:                               ;   in Loop: Header=BB123_6 Depth=1
	s_or_b64 exec, exec, s[44:45]
	v_and_b32_e32 v67, 0x7f800000, v69
	v_cmp_ne_u32_e32 vcc, s26, v67
                                        ; implicit-def: $vgpr67
	s_and_saveexec_b64 s[44:45], vcc
	s_xor_b64 s[44:45], exec, s[44:45]
; %bb.47:                               ;   in Loop: Header=BB123_6 Depth=1
	v_bfe_u32 v67, v69, 16, 1
	v_add3_u32 v67, v69, v67, s27
                                        ; implicit-def: $vgpr69
; %bb.48:                               ;   in Loop: Header=BB123_6 Depth=1
	s_andn2_saveexec_b64 s[44:45], s[44:45]
	s_cbranch_execz .LBB123_5
; %bb.49:                               ;   in Loop: Header=BB123_6 Depth=1
	v_or_b32_e32 v67, 0x10000, v69
	v_cmp_eq_u32_sdwa vcc, v69, v82 src0_sel:WORD_0 src1_sel:DWORD
	v_cndmask_b32_e32 v67, v67, v69, vcc
	s_branch .LBB123_5
.LBB123_50:
	s_or_b64 exec, exec, s[8:9]
	v_readlane_b32 s22, v85, 8
	v_readlane_b32 s24, v85, 11
	;; [unrolled: 1-line block ×5, first 2 shown]
.LBB123_51:
	v_readlane_b32 s0, v85, 6
	v_readlane_b32 s1, v85, 7
	s_or_b64 exec, exec, s[0:1]
	s_lshl_b64 s[0:1], s[24:25], 2
	v_readlane_b32 s4, v85, 2
	v_lshlrev_b32_e32 v0, 2, v76
	v_or_b32_e32 v2, 12, v75
	v_readlane_b32 s5, v85, 3
	s_add_u32 s3, s4, s0
	v_add3_u32 v0, 0, v77, v0
	v_and_b32_e32 v1, 0x3f0, v75
	v_and_b32_e32 v2, 0x3fc, v2
	s_addc_u32 s8, s5, s1
	v_add_u32_e32 v1, v0, v1
	v_add_u32_e32 v0, v0, v2
	ds_write2_b32 v1, a0, a1 offset1:1
	ds_write_b32 v1, a2 offset:8
	ds_write_b32 v0, a3
	ds_write2_b32 v1, a4, a5 offset0:16 offset1:17
	ds_write_b32 v1, a6 offset:72
	ds_write_b32 v0, a7 offset:64
	ds_write2_b32 v1, a8, a9 offset0:32 offset1:33
	ds_write_b32 v1, a10 offset:136
	ds_write_b32 v0, a11 offset:128
	;; [unrolled: 3-line block ×3, first 2 shown]
	s_cmp_gt_i32 s14, 0
	v_add_u32_e32 v0, s6, v74
	s_cselect_b64 s[4:5], -1, 0
	v_cmp_gt_i32_e64 s[0:1], s33, v0
	v_cmp_gt_u32_e32 vcc, 4, v74
	s_and_b64 s[0:1], s[4:5], s[0:1]
	v_lshl_add_u32 v5, v75, 2, 0
	v_add_u32_e32 v4, s7, v75
	v_mul_u32_u24_e32 v6, 0x108, v74
	s_and_b64 s[10:11], vcc, s[0:1]
	s_and_saveexec_b64 s[0:1], s[10:11]
	s_cbranch_execz .LBB123_54
; %bb.52:
	v_ashrrev_i32_e32 v1, 31, v0
	v_lshlrev_b64 v[2:3], 2, v[0:1]
	v_mov_b32_e32 v1, s8
	v_add_co_u32_e32 v2, vcc, s3, v2
	v_addc_co_u32_e32 v3, vcc, v1, v3, vcc
	global_load_dword v1, v[2:3], off
	s_waitcnt vmcnt(0)
	v_mul_hi_u32 v2, v1, s19
	v_add_u32_e32 v2, v1, v2
	v_lshrrev_b32_e32 v2, s22, v2
	v_cmp_gt_i32_e32 vcc, s13, v2
	s_and_b64 exec, exec, vcc
	s_cbranch_execz .LBB123_54
; %bb.53:
	v_add_u32_e32 v3, v5, v6
	ds_read_b32 v3, v3
	v_mul_lo_u32 v7, v2, s23
	v_readlane_b32 s10, v85, 0
	v_readlane_b32 s11, v85, 1
	v_sub_u32_e32 v1, v1, v7
	v_mul_lo_u32 v2, v2, s11
	v_mul_lo_u32 v1, v1, s2
	s_waitcnt lgkmcnt(0)
	v_add_f32_e32 v7, 0, v3
	v_add3_u32 v2, v4, v2, v1
	v_mov_b32_e32 v3, 0
	v_readlane_b32 s10, v85, 4
	v_lshlrev_b64 v[2:3], 2, v[2:3]
	v_readlane_b32 s11, v85, 5
	v_mov_b32_e32 v1, s11
	v_add_co_u32_e32 v2, vcc, s10, v2
	v_addc_co_u32_e32 v3, vcc, v1, v3, vcc
	global_store_dword v[2:3], v7, off
.LBB123_54:
	s_or_b64 exec, exec, s[0:1]
	v_add_u32_e32 v1, 1, v0
	v_cmp_gt_i32_e64 s[0:1], s33, v1
	v_cmp_gt_u32_e32 vcc, 3, v74
	s_and_b64 s[0:1], s[4:5], s[0:1]
	s_and_b64 s[10:11], vcc, s[0:1]
	s_and_saveexec_b64 s[0:1], s[10:11]
	s_cbranch_execz .LBB123_57
; %bb.55:
	s_ashr_i32 s7, s6, 31
	v_mov_b32_e32 v1, s7
	v_add_co_u32_e32 v2, vcc, s6, v74
	v_addc_co_u32_e32 v3, vcc, 0, v1, vcc
	v_lshlrev_b64 v[2:3], 2, v[2:3]
	v_mov_b32_e32 v1, s8
	v_add_co_u32_e32 v2, vcc, s3, v2
	v_addc_co_u32_e32 v3, vcc, v1, v3, vcc
	global_load_dword v1, v[2:3], off offset:4
	v_mov_b32_e32 v3, 0
	s_waitcnt vmcnt(0)
	v_mul_hi_u32 v2, v1, s19
	v_add_u32_e32 v2, v1, v2
	v_lshrrev_b32_e32 v2, s22, v2
	v_cmp_gt_i32_e32 vcc, s13, v2
	s_and_b64 exec, exec, vcc
	s_cbranch_execz .LBB123_57
; %bb.56:
	v_add_u32_e32 v7, v6, v5
	v_mul_lo_u32 v8, v2, s23
	v_readlane_b32 s10, v85, 0
	ds_read_b32 v7, v7 offset:264
	v_readlane_b32 s11, v85, 1
	v_sub_u32_e32 v1, v1, v8
	v_mul_lo_u32 v2, v2, s11
	v_mul_lo_u32 v1, v1, s2
	v_add3_u32 v2, v4, v2, v1
	v_readlane_b32 s10, v85, 4
	v_lshlrev_b64 v[2:3], 2, v[2:3]
	v_readlane_b32 s11, v85, 5
	v_mov_b32_e32 v1, s11
	v_add_co_u32_e32 v2, vcc, s10, v2
	s_waitcnt lgkmcnt(0)
	v_add_f32_e32 v7, 0, v7
	v_addc_co_u32_e32 v3, vcc, v1, v3, vcc
	global_store_dword v[2:3], v7, off
.LBB123_57:
	s_or_b64 exec, exec, s[0:1]
	v_add_u32_e32 v1, 2, v0
	v_cmp_gt_i32_e64 s[0:1], s33, v1
	v_cmp_gt_u32_e32 vcc, 2, v74
	s_and_b64 s[0:1], s[4:5], s[0:1]
	s_and_b64 s[10:11], vcc, s[0:1]
	s_and_saveexec_b64 s[0:1], s[10:11]
	s_cbranch_execz .LBB123_60
; %bb.58:
	s_ashr_i32 s7, s6, 31
	v_mov_b32_e32 v1, s7
	v_add_co_u32_e32 v2, vcc, s6, v74
	v_addc_co_u32_e32 v3, vcc, 0, v1, vcc
	v_lshlrev_b64 v[2:3], 2, v[2:3]
	v_mov_b32_e32 v1, s8
	v_add_co_u32_e32 v2, vcc, s3, v2
	v_addc_co_u32_e32 v3, vcc, v1, v3, vcc
	global_load_dword v1, v[2:3], off offset:8
	v_mov_b32_e32 v3, 0
	s_waitcnt vmcnt(0)
	v_mul_hi_u32 v2, v1, s19
	v_add_u32_e32 v2, v1, v2
	v_lshrrev_b32_e32 v2, s22, v2
	v_cmp_gt_i32_e32 vcc, s13, v2
	s_and_b64 exec, exec, vcc
	s_cbranch_execz .LBB123_60
; %bb.59:
	v_add_u32_e32 v7, v5, v6
	v_mul_lo_u32 v8, v2, s23
	v_readlane_b32 s10, v85, 0
	ds_read_b32 v7, v7 offset:528
	v_readlane_b32 s11, v85, 1
	v_sub_u32_e32 v1, v1, v8
	v_mul_lo_u32 v2, v2, s11
	v_mul_lo_u32 v1, v1, s2
	v_add3_u32 v2, v4, v2, v1
	v_readlane_b32 s10, v85, 4
	v_lshlrev_b64 v[2:3], 2, v[2:3]
	v_readlane_b32 s11, v85, 5
	v_mov_b32_e32 v1, s11
	v_add_co_u32_e32 v2, vcc, s10, v2
	s_waitcnt lgkmcnt(0)
	v_add_f32_e32 v7, 0, v7
	v_addc_co_u32_e32 v3, vcc, v1, v3, vcc
	global_store_dword v[2:3], v7, off
.LBB123_60:
	s_or_b64 exec, exec, s[0:1]
	v_add_u32_e32 v0, 3, v0
	v_cmp_gt_i32_e64 s[0:1], s33, v0
	v_cmp_eq_u32_e32 vcc, 0, v74
	s_and_b64 s[0:1], s[4:5], s[0:1]
	s_and_b64 s[0:1], vcc, s[0:1]
	s_and_saveexec_b64 s[4:5], s[0:1]
	s_cbranch_execz .LBB123_63
; %bb.61:
	s_ashr_i32 s7, s6, 31
	s_lshl_b64 s[0:1], s[6:7], 2
	s_add_u32 s0, s3, s0
	s_addc_u32 s1, s8, s1
	s_load_dword s0, s[0:1], 0xc
	s_waitcnt lgkmcnt(0)
	s_mul_hi_u32 s1, s0, s19
	s_add_i32 s1, s0, s1
	s_lshr_b32 s1, s1, s22
	s_cmp_ge_i32 s1, s13
	s_cbranch_scc1 .LBB123_63
; %bb.62:
	v_add_u32_e32 v0, v5, v6
	ds_read_b32 v0, v0 offset:792
	s_mul_i32 s3, s1, s23
	v_readlane_b32 s4, v85, 0
	v_readlane_b32 s5, v85, 1
	s_sub_i32 s0, s0, s3
	s_mul_i32 s1, s1, s5
	s_mul_i32 s0, s0, s2
	s_add_i32 s0, s0, s1
	s_waitcnt lgkmcnt(0)
	v_add_f32_e32 v2, 0, v0
	v_add_u32_e32 v0, s0, v4
	v_mov_b32_e32 v1, 0
	v_readlane_b32 s0, v85, 4
	v_lshlrev_b64 v[0:1], 2, v[0:1]
	v_readlane_b32 s1, v85, 5
	v_mov_b32_e32 v3, s1
	v_add_co_u32_e32 v0, vcc, s0, v0
	v_addc_co_u32_e32 v1, vcc, v3, v1, vcc
	global_store_dword v[0:1], v2, off
.LBB123_63:
	s_endpgm
	.section	.rodata,"a",@progbits
	.p2align	6, 0x0
	.amdhsa_kernel _ZL13mul_mat_f_idsI15__hip_bfloat162Li64ELi4ELi1EEvPKT_PKfPKiS7_S7_Pfiiiiiiiiiiiiii15HIP_vector_typeIjLj3EESA_
		.amdhsa_group_segment_fixed_size 0
		.amdhsa_private_segment_fixed_size 0
		.amdhsa_kernarg_size 128
		.amdhsa_user_sgpr_count 6
		.amdhsa_user_sgpr_private_segment_buffer 1
		.amdhsa_user_sgpr_dispatch_ptr 0
		.amdhsa_user_sgpr_queue_ptr 0
		.amdhsa_user_sgpr_kernarg_segment_ptr 1
		.amdhsa_user_sgpr_dispatch_id 0
		.amdhsa_user_sgpr_flat_scratch_init 0
		.amdhsa_user_sgpr_kernarg_preload_length 0
		.amdhsa_user_sgpr_kernarg_preload_offset 0
		.amdhsa_user_sgpr_private_segment_size 0
		.amdhsa_uses_dynamic_stack 0
		.amdhsa_system_sgpr_private_segment_wavefront_offset 0
		.amdhsa_system_sgpr_workgroup_id_x 1
		.amdhsa_system_sgpr_workgroup_id_y 1
		.amdhsa_system_sgpr_workgroup_id_z 1
		.amdhsa_system_sgpr_workgroup_info 0
		.amdhsa_system_vgpr_workitem_id 1
		.amdhsa_next_free_vgpr 104
		.amdhsa_next_free_sgpr 96
		.amdhsa_accum_offset 88
		.amdhsa_reserve_vcc 1
		.amdhsa_reserve_flat_scratch 0
		.amdhsa_float_round_mode_32 0
		.amdhsa_float_round_mode_16_64 0
		.amdhsa_float_denorm_mode_32 3
		.amdhsa_float_denorm_mode_16_64 3
		.amdhsa_dx10_clamp 1
		.amdhsa_ieee_mode 1
		.amdhsa_fp16_overflow 0
		.amdhsa_tg_split 0
		.amdhsa_exception_fp_ieee_invalid_op 0
		.amdhsa_exception_fp_denorm_src 0
		.amdhsa_exception_fp_ieee_div_zero 0
		.amdhsa_exception_fp_ieee_overflow 0
		.amdhsa_exception_fp_ieee_underflow 0
		.amdhsa_exception_fp_ieee_inexact 0
		.amdhsa_exception_int_div_zero 0
	.end_amdhsa_kernel
	.section	.text._ZL13mul_mat_f_idsI15__hip_bfloat162Li64ELi4ELi1EEvPKT_PKfPKiS7_S7_Pfiiiiiiiiiiiiii15HIP_vector_typeIjLj3EESA_,"axG",@progbits,_ZL13mul_mat_f_idsI15__hip_bfloat162Li64ELi4ELi1EEvPKT_PKfPKiS7_S7_Pfiiiiiiiiiiiiii15HIP_vector_typeIjLj3EESA_,comdat
.Lfunc_end123:
	.size	_ZL13mul_mat_f_idsI15__hip_bfloat162Li64ELi4ELi1EEvPKT_PKfPKiS7_S7_Pfiiiiiiiiiiiiii15HIP_vector_typeIjLj3EESA_, .Lfunc_end123-_ZL13mul_mat_f_idsI15__hip_bfloat162Li64ELi4ELi1EEvPKT_PKfPKiS7_S7_Pfiiiiiiiiiiiiii15HIP_vector_typeIjLj3EESA_
                                        ; -- End function
	.section	.AMDGPU.csdata,"",@progbits
; Kernel info:
; codeLenInByte = 6836
; NumSgprs: 100
; NumVgprs: 86
; NumAgprs: 16
; TotalNumVgprs: 104
; ScratchSize: 0
; MemoryBound: 0
; FloatMode: 240
; IeeeMode: 1
; LDSByteSize: 0 bytes/workgroup (compile time only)
; SGPRBlocks: 12
; VGPRBlocks: 12
; NumSGPRsForWavesPerEU: 100
; NumVGPRsForWavesPerEU: 104
; AccumOffset: 88
; Occupancy: 4
; WaveLimiterHint : 1
; COMPUTE_PGM_RSRC2:SCRATCH_EN: 0
; COMPUTE_PGM_RSRC2:USER_SGPR: 6
; COMPUTE_PGM_RSRC2:TRAP_HANDLER: 0
; COMPUTE_PGM_RSRC2:TGID_X_EN: 1
; COMPUTE_PGM_RSRC2:TGID_Y_EN: 1
; COMPUTE_PGM_RSRC2:TGID_Z_EN: 1
; COMPUTE_PGM_RSRC2:TIDIG_COMP_CNT: 1
; COMPUTE_PGM_RSRC3_GFX90A:ACCUM_OFFSET: 21
; COMPUTE_PGM_RSRC3_GFX90A:TG_SPLIT: 0
	.section	.text._ZL9mul_mat_fI15__hip_bfloat162Li64ELi4ELi1ELb1EEvPKT_PKfPKiPfiiiiiiiiiiiiiiii,"axG",@progbits,_ZL9mul_mat_fI15__hip_bfloat162Li64ELi4ELi1ELb1EEvPKT_PKfPKiPfiiiiiiiiiiiiiiii,comdat
	.globl	_ZL9mul_mat_fI15__hip_bfloat162Li64ELi4ELi1ELb1EEvPKT_PKfPKiPfiiiiiiiiiiiiiiii ; -- Begin function _ZL9mul_mat_fI15__hip_bfloat162Li64ELi4ELi1ELb1EEvPKT_PKfPKiPfiiiiiiiiiiiiiiii
	.p2align	8
	.type	_ZL9mul_mat_fI15__hip_bfloat162Li64ELi4ELi1ELb1EEvPKT_PKfPKiPfiiiiiiiiiiiiiiii,@function
_ZL9mul_mat_fI15__hip_bfloat162Li64ELi4ELi1ELb1EEvPKT_PKfPKiPfiiiiiiiiiiiiiiii: ; @_ZL9mul_mat_fI15__hip_bfloat162Li64ELi4ELi1ELb1EEvPKT_PKfPKiPfiiiiiiiiiiiiiiii
; %bb.0:
	s_load_dwordx8 s[20:27], s[4:5], 0x20
	v_and_b32_e32 v16, 0x3ff, v0
	v_bfe_u32 v17, v0, 10, 10
	v_cmp_eq_u32_e32 vcc, 0, v16
	s_waitcnt lgkmcnt(0)
	s_add_i32 s0, s21, 3
	s_ashr_i32 s1, s0, 31
	s_lshr_b32 s1, s1, 30
	s_add_i32 s0, s0, s1
	s_ashr_i32 s0, s0, 2
	v_cvt_f32_u32_e32 v1, s0
	s_load_dwordx4 s[28:31], s[4:5], 0x44
	s_load_dword s1, s[4:5], 0x64
	s_sub_i32 s2, 0, s0
	s_add_u32 s34, s4, 0x60
	v_rcp_iflag_f32_e32 v1, v1
	s_addc_u32 s35, s5, 0
	v_mul_f32_e32 v1, 0x4f7ffffe, v1
	v_cvt_u32_f32_e32 v1, v1
	v_readfirstlane_b32 s3, v1
	s_mul_i32 s2, s2, s3
	s_mul_hi_u32 s2, s3, s2
	s_add_i32 s3, s3, s2
	s_waitcnt lgkmcnt(0)
	s_mul_hi_u32 s2, s1, s3
	s_mul_i32 s3, s2, s0
	s_sub_i32 s1, s1, s3
	s_add_i32 s9, s2, 1
	s_sub_i32 s3, s1, s0
	s_cmp_ge_u32 s1, s0
	s_cselect_b32 s2, s9, s2
	s_cselect_b32 s1, s3, s1
	s_add_i32 s3, s2, 1
	s_cmp_ge_u32 s1, s0
	s_cselect_b32 s9, s3, s2
	v_cvt_f32_u32_e32 v1, s9
	s_abs_i32 s33, s31
	v_cvt_f32_u32_e32 v2, s33
	s_load_dwordx2 s[0:1], s[4:5], 0x10
	v_rcp_iflag_f32_e32 v1, v1
	s_sub_i32 s2, 0, s9
	v_rcp_iflag_f32_e32 v2, v2
	v_mul_f32_e32 v1, 0x4f7ffffe, v1
	v_cvt_u32_f32_e32 v1, v1
	v_mul_f32_e32 v2, 0x4f7ffffe, v2
	v_cvt_u32_f32_e32 v2, v2
	v_readfirstlane_b32 s3, v1
	s_mul_i32 s2, s2, s3
	s_mul_hi_u32 s2, s3, s2
	s_add_i32 s3, s3, s2
	v_readfirstlane_b32 s42, v2
	s_mul_hi_u32 s10, s7, s3
	s_and_saveexec_b64 s[2:3], vcc
	s_cbranch_execz .LBB124_2
; %bb.1:
	v_mov_b32_e32 v1, 0x100
	v_lshl_add_u32 v1, v17, 2, v1
	v_mov_b32_e32 v2, -1
	ds_write_b32 v1, v2
.LBB124_2:
	s_or_b64 exec, exec, s[2:3]
	s_mul_i32 s2, s10, s9
	s_sub_i32 s2, s7, s2
	s_add_i32 s3, s10, 1
	s_sub_i32 s11, s2, s9
	s_cmp_ge_u32 s2, s9
	s_cselect_b32 s3, s3, s10
	s_cselect_b32 s2, s11, s2
	s_add_i32 s10, s3, 1
	s_cmp_ge_u32 s2, s9
	s_cselect_b32 s2, s10, s3
	s_mul_i32 s3, s2, s9
	s_lshl_b32 s9, s2, 2
	s_sub_i32 s7, s7, s3
	s_mul_hi_i32 s3, s9, s27
	s_mul_i32 s2, s9, s27
	s_lshl_b64 s[2:3], s[2:3], 2
	s_waitcnt lgkmcnt(0)
	s_add_u32 s0, s0, s2
	v_add_u32_e32 v1, s9, v17
	s_addc_u32 s1, s1, s3
	v_cmp_gt_i32_e64 s[10:11], s22, v16
	v_cmp_gt_i32_e64 s[46:47], s21, v1
	v_mov_b32_e32 v1, 0
	s_and_saveexec_b64 s[14:15], s[46:47]
	s_cbranch_execz .LBB124_10
; %bb.3:
	v_mov_b32_e32 v1, 0
	s_and_saveexec_b64 s[16:17], s[10:11]
	s_cbranch_execz .LBB124_9
; %bb.4:
	v_mul_lo_u32 v2, v17, s27
	v_ashrrev_i32_e32 v3, 31, v2
	v_lshlrev_b64 v[2:3], 2, v[2:3]
	v_mov_b32_e32 v1, s1
	v_add_co_u32_e64 v4, s[2:3], s0, v2
	v_addc_co_u32_e64 v5, s[2:3], v1, v3, s[2:3]
	v_mov_b32_e32 v1, 0x100
	v_lshl_add_u32 v6, v17, 2, v1
	v_mul_lo_u32 v2, v16, s26
	s_lshl_b32 s38, s26, 6
	s_mov_b64 s[18:19], 0
	v_mov_b32_e32 v1, 0
	v_mov_b32_e32 v7, v16
	s_branch .LBB124_6
.LBB124_5:                              ;   in Loop: Header=BB124_6 Depth=1
	s_or_b64 exec, exec, s[36:37]
	v_add_u32_e32 v7, 64, v7
	v_cmp_le_i32_e64 s[12:13], s22, v7
	s_xor_b64 s[2:3], s[2:3], -1
	s_or_b64 s[2:3], s[2:3], s[12:13]
	s_and_b64 s[2:3], exec, s[2:3]
	s_or_b64 s[18:19], s[2:3], s[18:19]
	v_add_u32_e32 v2, s38, v2
	s_andn2_b64 exec, exec, s[18:19]
	s_cbranch_execz .LBB124_8
.LBB124_6:                              ; =>This Inner Loop Header: Depth=1
	v_ashrrev_i32_e32 v3, 31, v2
	v_lshlrev_b64 v[8:9], 2, v[2:3]
	v_add_co_u32_e64 v8, s[2:3], v4, v8
	v_addc_co_u32_e64 v9, s[2:3], v5, v9, s[2:3]
	global_load_dword v3, v[8:9], off
	s_waitcnt vmcnt(0)
	v_cmp_ne_u32_e64 s[2:3], s7, v3
	v_cmp_eq_u32_e64 s[12:13], s7, v3
	s_and_saveexec_b64 s[36:37], s[12:13]
	s_cbranch_execz .LBB124_5
; %bb.7:                                ;   in Loop: Header=BB124_6 Depth=1
	v_mov_b32_e32 v1, 1
	ds_write_b32 v6, v7
	s_branch .LBB124_5
.LBB124_8:
	s_or_b64 exec, exec, s[18:19]
.LBB124_9:
	s_or_b64 exec, exec, s[16:17]
.LBB124_10:
	s_or_b64 exec, exec, s[14:15]
	s_and_saveexec_b64 s[2:3], vcc
	s_cbranch_execz .LBB124_12
; %bb.11:
	v_mov_b32_e32 v2, 0x100
	v_lshl_add_u32 v2, v17, 2, v2
	v_mov_b32_e32 v3, -1
	ds_write_b32 v2, v3 offset:4
.LBB124_12:
	s_or_b64 exec, exec, s[2:3]
	v_add_u32_e32 v86, 1, v17
	v_add_u32_e32 v2, s9, v86
	v_cmp_gt_i32_e64 s[2:3], s21, v2
	s_and_saveexec_b64 s[16:17], s[2:3]
	s_cbranch_execz .LBB124_20
; %bb.13:
	s_and_saveexec_b64 s[18:19], s[10:11]
	s_cbranch_execz .LBB124_19
; %bb.14:
	v_mul_lo_u32 v2, v86, s27
	v_ashrrev_i32_e32 v3, 31, v2
	v_lshlrev_b64 v[2:3], 2, v[2:3]
	v_mov_b32_e32 v5, s1
	v_add_co_u32_e64 v4, s[12:13], s0, v2
	v_mov_b32_e32 v2, 0x100
	v_addc_co_u32_e64 v5, s[12:13], v5, v3, s[12:13]
	v_lshl_add_u32 v6, v17, 2, v2
	v_mul_lo_u32 v2, v16, s26
	s_lshl_b32 s40, s26, 6
	s_mov_b64 s[36:37], 0
	v_mov_b32_e32 v7, v16
	s_branch .LBB124_16
.LBB124_15:                             ;   in Loop: Header=BB124_16 Depth=1
	s_or_b64 exec, exec, s[38:39]
	v_add_u32_e32 v7, 64, v7
	v_cmp_le_i32_e64 s[14:15], s22, v7
	s_xor_b64 s[12:13], s[12:13], -1
	s_or_b64 s[12:13], s[12:13], s[14:15]
	s_and_b64 s[12:13], exec, s[12:13]
	s_or_b64 s[36:37], s[12:13], s[36:37]
	v_add_u32_e32 v2, s40, v2
	s_andn2_b64 exec, exec, s[36:37]
	s_cbranch_execz .LBB124_18
.LBB124_16:                             ; =>This Inner Loop Header: Depth=1
	v_ashrrev_i32_e32 v3, 31, v2
	v_lshlrev_b64 v[8:9], 2, v[2:3]
	v_add_co_u32_e64 v8, s[12:13], v4, v8
	v_addc_co_u32_e64 v9, s[12:13], v5, v9, s[12:13]
	global_load_dword v3, v[8:9], off
	s_waitcnt vmcnt(0)
	v_cmp_ne_u32_e64 s[12:13], s7, v3
	v_cmp_eq_u32_e64 s[14:15], s7, v3
	s_and_saveexec_b64 s[38:39], s[14:15]
	s_cbranch_execz .LBB124_15
; %bb.17:                               ;   in Loop: Header=BB124_16 Depth=1
	v_mov_b32_e32 v1, 1
	ds_write_b32 v6, v7 offset:4
	s_branch .LBB124_15
.LBB124_18:
	s_or_b64 exec, exec, s[36:37]
.LBB124_19:
	s_or_b64 exec, exec, s[18:19]
.LBB124_20:
	s_or_b64 exec, exec, s[16:17]
	s_sub_i32 s43, 0, s33
	s_and_saveexec_b64 s[12:13], vcc
	s_cbranch_execz .LBB124_22
; %bb.21:
	v_mov_b32_e32 v2, 0x100
	v_lshl_add_u32 v2, v17, 2, v2
	v_mov_b32_e32 v3, -1
	ds_write_b32 v2, v3 offset:8
.LBB124_22:
	s_or_b64 exec, exec, s[12:13]
	v_add_u32_e32 v87, 2, v17
	v_add_u32_e32 v2, s9, v87
	s_mul_i32 s43, s43, s42
	v_cmp_gt_i32_e64 s[12:13], s21, v2
	s_and_saveexec_b64 s[18:19], s[12:13]
	s_cbranch_execz .LBB124_30
; %bb.23:
	s_and_saveexec_b64 s[36:37], s[10:11]
	s_cbranch_execz .LBB124_29
; %bb.24:
	v_mul_lo_u32 v2, v87, s27
	v_ashrrev_i32_e32 v3, 31, v2
	v_lshlrev_b64 v[2:3], 2, v[2:3]
	v_mov_b32_e32 v5, s1
	v_add_co_u32_e64 v4, s[14:15], s0, v2
	v_mov_b32_e32 v2, 0x100
	v_addc_co_u32_e64 v5, s[14:15], v5, v3, s[14:15]
	v_lshl_add_u32 v6, v17, 2, v2
	v_mul_lo_u32 v2, v16, s26
	s_lshl_b32 s44, s26, 6
	s_mov_b64 s[38:39], 0
	v_mov_b32_e32 v7, v16
	s_branch .LBB124_26
.LBB124_25:                             ;   in Loop: Header=BB124_26 Depth=1
	s_or_b64 exec, exec, s[40:41]
	v_add_u32_e32 v7, 64, v7
	v_cmp_le_i32_e64 s[16:17], s22, v7
	s_xor_b64 s[14:15], s[14:15], -1
	s_or_b64 s[14:15], s[14:15], s[16:17]
	s_and_b64 s[14:15], exec, s[14:15]
	s_or_b64 s[38:39], s[14:15], s[38:39]
	v_add_u32_e32 v2, s44, v2
	s_andn2_b64 exec, exec, s[38:39]
	s_cbranch_execz .LBB124_28
.LBB124_26:                             ; =>This Inner Loop Header: Depth=1
	v_ashrrev_i32_e32 v3, 31, v2
	v_lshlrev_b64 v[8:9], 2, v[2:3]
	v_add_co_u32_e64 v8, s[14:15], v4, v8
	v_addc_co_u32_e64 v9, s[14:15], v5, v9, s[14:15]
	global_load_dword v3, v[8:9], off
	s_waitcnt vmcnt(0)
	v_cmp_ne_u32_e64 s[14:15], s7, v3
	v_cmp_eq_u32_e64 s[16:17], s7, v3
	s_and_saveexec_b64 s[40:41], s[16:17]
	s_cbranch_execz .LBB124_25
; %bb.27:                               ;   in Loop: Header=BB124_26 Depth=1
	v_mov_b32_e32 v1, 1
	ds_write_b32 v6, v7 offset:8
	s_branch .LBB124_25
.LBB124_28:
	s_or_b64 exec, exec, s[38:39]
.LBB124_29:
	s_or_b64 exec, exec, s[36:37]
.LBB124_30:
	s_or_b64 exec, exec, s[18:19]
	s_mul_hi_u32 s17, s42, s43
	s_and_saveexec_b64 s[14:15], vcc
	s_cbranch_execz .LBB124_32
; %bb.31:
	v_mov_b32_e32 v2, 0x100
	v_lshl_add_u32 v2, v17, 2, v2
	v_mov_b32_e32 v3, -1
	ds_write_b32 v2, v3 offset:12
.LBB124_32:
	s_or_b64 exec, exec, s[14:15]
	s_load_dwordx4 s[48:51], s[4:5], 0x54
	v_add_u32_e32 v88, 3, v17
	v_add_u32_e32 v2, s9, v88
	s_abs_i32 s16, s8
	s_add_i32 s42, s42, s17
	v_cmp_gt_i32_e64 s[14:15], s21, v2
	s_and_saveexec_b64 s[36:37], s[14:15]
	s_cbranch_execz .LBB124_40
; %bb.33:
	s_and_saveexec_b64 s[38:39], s[10:11]
	s_cbranch_execz .LBB124_39
; %bb.34:
	v_mul_lo_u32 v2, v88, s27
	v_ashrrev_i32_e32 v3, 31, v2
	v_lshlrev_b64 v[2:3], 2, v[2:3]
	v_mov_b32_e32 v5, s1
	v_add_co_u32_e32 v4, vcc, s0, v2
	v_mov_b32_e32 v2, 0x100
	v_addc_co_u32_e32 v5, vcc, v5, v3, vcc
	v_lshl_add_u32 v6, v17, 2, v2
	v_mul_lo_u32 v2, v16, s26
	s_lshl_b32 s0, s26, 6
	s_mov_b64 s[26:27], 0
	v_mov_b32_e32 v7, v16
	s_branch .LBB124_36
.LBB124_35:                             ;   in Loop: Header=BB124_36 Depth=1
	s_or_b64 exec, exec, s[40:41]
	v_add_u32_e32 v7, 64, v7
	v_cmp_le_i32_e64 s[10:11], s22, v7
	s_xor_b64 s[18:19], vcc, -1
	s_or_b64 s[10:11], s[18:19], s[10:11]
	s_and_b64 s[10:11], exec, s[10:11]
	s_or_b64 s[26:27], s[10:11], s[26:27]
	v_add_u32_e32 v2, s0, v2
	s_andn2_b64 exec, exec, s[26:27]
	s_cbranch_execz .LBB124_38
.LBB124_36:                             ; =>This Inner Loop Header: Depth=1
	v_ashrrev_i32_e32 v3, 31, v2
	v_lshlrev_b64 v[8:9], 2, v[2:3]
	v_add_co_u32_e32 v8, vcc, v4, v8
	v_addc_co_u32_e32 v9, vcc, v5, v9, vcc
	global_load_dword v3, v[8:9], off
	s_waitcnt vmcnt(0)
	v_cmp_ne_u32_e32 vcc, s7, v3
	v_cmp_eq_u32_e64 s[10:11], s7, v3
	s_and_saveexec_b64 s[40:41], s[10:11]
	s_cbranch_execz .LBB124_35
; %bb.37:                               ;   in Loop: Header=BB124_36 Depth=1
	v_mov_b32_e32 v1, 1
	ds_write_b32 v6, v7 offset:12
	s_branch .LBB124_35
.LBB124_38:
	s_or_b64 exec, exec, s[26:27]
.LBB124_39:
	s_or_b64 exec, exec, s[38:39]
.LBB124_40:
	s_or_b64 exec, exec, s[36:37]
	s_load_dwordx2 s[10:11], s[34:35], 0xc
	s_load_dwordx4 s[36:39], s[4:5], 0x0
	s_load_dwordx2 s[0:1], s[4:5], 0x18
	v_cmp_ne_u32_e32 vcc, 0, v1
	v_cndmask_b32_e64 v1, 0, 1, vcc
                                        ; implicit-def: $vgpr105 : SGPR spill to VGPR lane
                                        ; kill: killed $sgpr4 killed $sgpr5
	s_waitcnt lgkmcnt(0)
	s_lshr_b32 s5, s10, 16
	s_and_b32 s4, s10, 0xffff
	v_or_b32_dpp v1, v1, v1 row_shl:1 row_mask:0xf bank_mask:0xf bound_ctrl:1
	v_writelane_b32 v105, s0, 0
	s_mul_i32 s10, s5, s4
	v_or_b32_dpp v1, v1, v1 row_shl:2 row_mask:0xf bank_mask:0xf bound_ctrl:1
	v_writelane_b32 v105, s1, 1
	s_and_b32 s1, s11, 0xffff
	v_or_b32_dpp v1, v1, v1 row_shl:4 row_mask:0xf bank_mask:0xf bound_ctrl:1
	s_bfe_i32 s10, s10, 0x180000
	s_mul_i32 s1, s10, s1
	v_or_b32_dpp v1, v1, v1 row_shl:8 row_mask:0xf bank_mask:0xf bound_ctrl:1
	s_add_i32 s10, s1, 63
	s_bitcmp1_b32 exec_hi, 0
	v_mov_b32_dpp v2, v1 wave_shl:1 row_mask:0xf bank_mask:0xf bound_ctrl:1
	s_mul_hi_u32 s0, s16, s42
                                        ; kill: killed $sgpr34 killed $sgpr35
	s_nop 0
	v_or_b32_dpp v1, v2, v1 row_mirror row_mask:0xf bank_mask:0xf bound_ctrl:1
	v_readlane_b32 s1, v1, 32
	s_cselect_b32 s1, s1, 0
	v_readlane_b32 s11, v1, 0
	s_or_b32 s1, s1, s11
	s_andn2_b32 s10, s10, 63
	s_cmp_lg_u32 s10, 64
	v_mov_b32_e32 v1, s1
	s_cbranch_scc0 .LBB124_47
; %bb.41:
	v_bfe_u32 v0, v0, 20, 10
	v_mbcnt_lo_u32_b32 v1, -1, 0
	v_mad_u32_u24 v0, v0, s5, v17
	v_mbcnt_hi_u32_b32 v2, -1, v1
	v_mad_u64_u32 v[0:1], s[4:5], v0, s4, v[16:17]
	v_lshrrev_b32_e32 v1, 6, v0
	v_or_b32_e32 v1, v2, v1
	v_cmp_eq_u32_e32 vcc, 0, v1
	s_and_saveexec_b64 s[4:5], vcc
	s_cbranch_execz .LBB124_43
; %bb.42:
	v_mov_b32_e32 v1, 0
	v_mov_b32_e32 v3, s1
	ds_write_b32 v1, v3
.LBB124_43:
	s_or_b64 exec, exec, s[4:5]
	v_cmp_eq_u32_e32 vcc, 0, v2
	v_cmp_lt_u32_e64 s[4:5], 63, v0
	s_and_b64 s[10:11], s[4:5], vcc
	s_waitcnt lgkmcnt(0)
	; wave barrier
	s_waitcnt lgkmcnt(0)
	s_and_saveexec_b64 s[4:5], s[10:11]
	s_cbranch_execz .LBB124_46
; %bb.44:
	v_mbcnt_lo_u32_b32 v0, exec_lo, 0
	v_mbcnt_hi_u32_b32 v0, exec_hi, v0
	v_cmp_eq_u32_e32 vcc, 0, v0
	s_and_b64 exec, exec, vcc
	s_cbranch_execz .LBB124_46
; %bb.45:
	v_mov_b32_e32 v0, 0
	v_mov_b32_e32 v1, s1
	ds_or_b32 v0, v1
.LBB124_46:
	s_or_b64 exec, exec, s[4:5]
	v_mov_b32_e32 v0, 0
	s_waitcnt lgkmcnt(0)
	; wave barrier
	s_waitcnt lgkmcnt(0)
	ds_read_b32 v1, v0
	s_waitcnt lgkmcnt(0)
	; wave barrier
	s_waitcnt lgkmcnt(0)
.LBB124_47:
	v_cmp_ne_u32_e32 vcc, 0, v1
	s_ashr_i32 s1, s8, 31
	s_ashr_i32 s10, s31, 31
	s_cbranch_vccz .LBB124_114
; %bb.48:
	v_lshlrev_b32_e32 v89, 6, v17
	v_add_u32_e32 v90, v89, v16
	v_cmp_le_i32_e32 vcc, s20, v90
	v_and_b32_e32 v0, 15, v16
                                        ; implicit-def: $sgpr11
                                        ; implicit-def: $vgpr91
	s_and_saveexec_b64 s[4:5], vcc
	s_xor_b64 s[4:5], exec, s[4:5]
; %bb.49:
	v_mul_u32_u24_e32 v91, 0x108, v0
	s_mov_b32 s11, 0
                                        ; implicit-def: $vgpr90
                                        ; implicit-def: $vgpr0
; %bb.50:
	s_or_saveexec_b64 s[4:5], s[4:5]
	s_lshl_b32 s17, s6, 6
	v_accvgpr_write_b32 a8, s11
	v_accvgpr_write_b32 a9, s11
	v_accvgpr_write_b32 a10, s11
	v_accvgpr_write_b32 a11, s11
	v_accvgpr_write_b32 a0, s11
	v_accvgpr_write_b32 a1, s11
	v_accvgpr_write_b32 a2, s11
	v_accvgpr_write_b32 a3, s11
	v_accvgpr_write_b32 a4, s11
	v_accvgpr_write_b32 a5, s11
	v_accvgpr_write_b32 a6, s11
	v_accvgpr_write_b32 a7, s11
	v_accvgpr_write_b32 a12, s11
	v_accvgpr_write_b32 a13, s11
	v_accvgpr_write_b32 a14, s11
	v_accvgpr_write_b32 a15, s11
	v_writelane_b32 v105, s4, 2
	v_writelane_b32 v105, s5, 3
	s_xor_b64 exec, exec, s[4:5]
	s_cbranch_execz .LBB124_98
; %bb.51:
	s_mul_i32 s4, s0, s33
	s_sub_i32 s4, s16, s4
	s_xor_b32 s1, s1, s10
	s_add_i32 s5, s0, 1
	s_sub_i32 s6, s4, s33
	s_cmp_ge_u32 s4, s33
	s_cselect_b32 s0, s5, s0
	s_cselect_b32 s4, s6, s4
	s_add_i32 s5, s0, 1
	s_cmp_ge_u32 s4, s33
	s_cselect_b32 s0, s5, s0
	s_xor_b32 s0, s0, s1
	s_sub_i32 s0, s0, s1
	s_mul_hi_i32 s1, s0, s48
	s_mul_i32 s0, s0, s48
	s_mul_i32 s4, s7, s28
	s_ashr_i32 s5, s4, 31
	s_lshl_b64 s[0:1], s[0:1], 2
	s_add_u32 s7, s36, s0
	v_writelane_b32 v105, s46, 4
	s_addc_u32 s10, s37, s1
	s_lshl_b64 s[4:5], s[4:5], 2
	v_writelane_b32 v105, s47, 5
	s_mul_i32 s6, s17, s23
	s_add_u32 s16, s7, s4
	v_writelane_b32 v105, s17, 6
	s_addc_u32 s17, s10, s5
	s_ashr_i32 s7, s6, 31
	s_lshl_b64 s[10:11], s[6:7], 2
	s_add_u32 s28, s16, s10
	s_movk_i32 s6, 0x1080
	v_mov_b32_e32 v92, 0x100
	s_addc_u32 s22, s17, s11
	v_mad_u32_u24 v1, v17, s6, v92
	s_mul_hi_i32 s7, s49, s8
	v_writelane_b32 v105, s48, 7
	s_mul_i32 s6, s49, s8
	s_mul_hi_i32 s17, s24, s9
	s_mul_i32 s16, s24, s9
	s_lshl_b64 s[16:17], s[16:17], 3
	s_lshl_b64 s[6:7], s[6:7], 2
	s_add_u32 s6, s38, s6
	s_addc_u32 s7, s39, s7
	s_add_u32 s31, s6, s16
	s_addc_u32 s33, s7, s17
	s_cmp_lt_i32 s9, s21
	s_cselect_b64 s[6:7], -1, 0
	s_or_b32 s16, s9, 1
	s_cmp_lt_i32 s16, s21
	s_cselect_b64 s[16:17], -1, 0
	s_or_b32 s18, s9, 2
	s_cmp_lt_i32 s18, s21
	s_cselect_b64 s[26:27], -1, 0
	s_lshl_b32 s40, s24, 2
	s_or_b32 s18, s9, 3
	s_cmp_lt_i32 s18, s21
	s_cselect_b64 s[34:35], -1, 0
	s_ashr_i32 s19, s23, 31
	s_mov_b32 s18, s23
	s_lshl_b64 s[38:39], s[18:19], 2
	s_add_u32 s0, s0, s10
	s_addc_u32 s1, s1, s11
	v_mul_u32_u24_e32 v91, 0x108, v0
	v_lshrrev_b32_e32 v0, 1, v16
	s_add_u32 s0, s0, s4
	v_and_b32_e32 v0, 0x1f8, v0
	s_addc_u32 s1, s1, s5
	v_writelane_b32 v105, s49, 8
	v_add3_u32 v94, v1, v91, v0
	v_lshlrev_b32_e32 v0, 1, v16
	s_add_u32 s0, s36, s0
	v_writelane_b32 v105, s50, 9
	v_lshl_add_u32 v95, v17, 7, v0
	v_lshlrev_b32_e32 v0, 2, v90
	s_addc_u32 s1, s37, s1
	v_writelane_b32 v105, s51, 10
	v_lshl_add_u32 v93, v16, 2, v1
	v_mov_b32_e32 v1, s1
	v_add_co_u32_e32 v18, vcc, s0, v0
	s_mul_i32 s0, s24, 6
	v_addc_co_u32_e32 v19, vcc, 0, v1, vcc
	v_writelane_b32 v105, s0, 11
	s_lshl_b32 s24, s24, 1
	s_lshl_b32 s41, s23, 1
	s_mul_i32 s42, s23, 3
	s_lshl_b32 s43, s23, 2
	s_mul_i32 s44, s23, 5
	s_mul_i32 s45, s23, 6
	;; [unrolled: 1-line block ×3, first 2 shown]
	s_lshl_b32 s47, s23, 3
	s_mul_i32 s48, s23, 9
	s_mul_i32 s49, s23, 10
	;; [unrolled: 1-line block ×7, first 2 shown]
	s_lshl_b32 s55, s23, 4
	s_mul_i32 s56, s23, 17
	s_mul_i32 s57, s23, 18
	s_mul_i32 s58, s23, 19
	s_mul_i32 s59, s23, 20
	s_mul_i32 s60, s23, 21
	s_mul_i32 s61, s23, 22
	s_mul_i32 s62, s23, 23
	s_mul_i32 s63, s23, 24
	s_mul_i32 s64, s23, 25
	s_mul_i32 s65, s23, 26
	s_mul_i32 s66, s23, 27
	s_mul_i32 s67, s23, 28
	s_mul_i32 s68, s23, 29
	s_mul_i32 s69, s23, 30
	s_mul_i32 s70, s23, 31
	s_lshl_b32 s71, s23, 5
	s_mul_i32 s72, s23, 33
	s_mul_i32 s73, s23, 34
	;; [unrolled: 1-line block ×11, first 2 shown]
	v_mov_b32_e32 v96, s22
	s_mul_i32 s83, s23, 44
	v_mov_b32_e32 v97, 0
	v_accvgpr_write_b32 a15, 0
	v_accvgpr_write_b32 a14, 0
	;; [unrolled: 1-line block ×16, first 2 shown]
	v_mov_b32_e32 v98, s39
	s_mul_i32 s39, s23, 45
	s_mul_i32 s84, s23, 46
	;; [unrolled: 1-line block ×19, first 2 shown]
	s_mov_b32 s5, 0x7f800000
	s_movk_i32 s0, 0x7fff
	s_mov_b32 s1, 0x7060302
	s_mov_b64 s[22:23], 0
	s_branch .LBB124_53
.LBB124_52:                             ;   in Loop: Header=BB124_53 Depth=1
	s_or_b64 exec, exec, s[36:37]
	v_perm_b32 v84, v84, v99, s1
	v_add_u32_e32 v85, 0x200, v93
	ds_write2_b32 v85, v84, v97 offset0:86 offset1:152
	v_add_u32_e32 v84, 0x400, v93
	ds_write2_b32 v84, v97, v97 offset0:90 offset1:156
	;; [unrolled: 2-line block ×6, first 2 shown]
	ds_write_b32 v93, v97 offset:4024
	ds_read2_b64 v[100:103], v94 offset0:8 offset1:12
	v_accvgpr_write_b32 a0, v0
	v_accvgpr_write_b32 a4, v4
	;; [unrolled: 1-line block ×16, first 2 shown]
	s_waitcnt lgkmcnt(0)
	v_mfma_f32_16x16x16bf16_1k a[0:3], v[38:39], v[100:101], a[0:3]
	ds_read2_b64 v[0:3], v94 offset0:16 offset1:20
	v_add_co_u32_e32 v18, vcc, 0x100, v18
	v_add_u32_e32 v90, 64, v90
	v_addc_co_u32_e32 v19, vcc, 0, v19, vcc
	v_cmp_le_i32_e32 vcc, s20, v90
	v_mfma_f32_16x16x16bf16_1k a[4:7], v[52:53], v[100:101], a[4:7]
	v_add_u32_e32 v95, 0x80, v95
	s_or_b64 s[22:23], vcc, s[22:23]
	v_mfma_f32_16x16x16bf16_1k a[8:11], v[66:67], v[100:101], a[8:11]
	v_mfma_f32_16x16x16bf16_1k a[12:15], v[82:83], v[100:101], a[12:15]
	;; [unrolled: 1-line block ×6, first 2 shown]
	s_waitcnt lgkmcnt(0)
	v_mfma_f32_16x16x16bf16_1k a[0:3], v[30:31], v[0:1], a[0:3]
	v_mfma_f32_16x16x16bf16_1k a[4:7], v[46:47], v[0:1], a[4:7]
	v_mfma_f32_16x16x16bf16_1k a[8:11], v[62:63], v[0:1], a[8:11]
	v_mfma_f32_16x16x16bf16_1k a[12:15], v[78:79], v[0:1], a[12:15]
	v_mfma_f32_16x16x16bf16_1k a[0:3], v[28:29], v[2:3], a[0:3]
	v_mfma_f32_16x16x16bf16_1k a[4:7], v[44:45], v[2:3], a[4:7]
	v_mfma_f32_16x16x16bf16_1k a[8:11], v[60:61], v[2:3], a[8:11]
	v_mfma_f32_16x16x16bf16_1k a[12:15], v[76:77], v[2:3], a[12:15]
	ds_read2_b64 v[0:3], v94 offset0:24 offset1:28
	s_waitcnt lgkmcnt(0)
	v_mfma_f32_16x16x16bf16_1k a[0:3], v[26:27], v[0:1], a[0:3]
	v_mfma_f32_16x16x16bf16_1k a[4:7], v[42:43], v[0:1], a[4:7]
	;; [unrolled: 1-line block ×8, first 2 shown]
	ds_read2_b64 v[0:3], v94 offset0:32 offset1:36
	s_waitcnt lgkmcnt(0)
	v_mfma_f32_16x16x16bf16_1k a[0:3], v[22:23], v[0:1], a[0:3]
	v_mfma_f32_16x16x16bf16_1k a[4:7], v[36:37], v[0:1], a[4:7]
	;; [unrolled: 1-line block ×8, first 2 shown]
	s_andn2_b64 exec, exec, s[22:23]
	s_cbranch_execz .LBB124_97
.LBB124_53:                             ; =>This Inner Loop Header: Depth=1
	v_add_co_u32_e32 v0, vcc, s38, v18
	v_addc_co_u32_e32 v1, vcc, v19, v98, vcc
	global_load_dword v24, v[18:19], off
	global_load_dword v25, v[0:1], off
	v_add_u32_e32 v0, s41, v90
	v_ashrrev_i32_e32 v1, 31, v0
	v_lshlrev_b64 v[0:1], 2, v[0:1]
	v_add_u32_e32 v2, s42, v90
	v_add_co_u32_e32 v0, vcc, s28, v0
	v_ashrrev_i32_e32 v3, 31, v2
	v_addc_co_u32_e32 v1, vcc, v96, v1, vcc
	v_lshlrev_b64 v[2:3], 2, v[2:3]
	v_add_u32_e32 v4, s43, v90
	v_add_co_u32_e32 v2, vcc, s28, v2
	v_ashrrev_i32_e32 v5, 31, v4
	v_addc_co_u32_e32 v3, vcc, v96, v3, vcc
	;; [unrolled: 5-line block ×5, first 2 shown]
	v_lshlrev_b64 v[10:11], 2, v[10:11]
	v_add_co_u32_e32 v10, vcc, s28, v10
	v_addc_co_u32_e32 v11, vcc, v96, v11, vcc
	global_load_dword v26, v[0:1], off
	global_load_dword v27, v[2:3], off
	;; [unrolled: 1-line block ×6, first 2 shown]
	v_add_u32_e32 v20, s47, v90
	v_ashrrev_i32_e32 v21, 31, v20
	v_add_u32_e32 v22, s48, v90
	v_lshlrev_b64 v[20:21], 2, v[20:21]
	v_ashrrev_i32_e32 v23, 31, v22
	v_add_co_u32_e32 v20, vcc, s28, v20
	v_lshlrev_b64 v[22:23], 2, v[22:23]
	v_addc_co_u32_e32 v21, vcc, v96, v21, vcc
	v_add_co_u32_e32 v22, vcc, s28, v22
	v_addc_co_u32_e32 v23, vcc, v96, v23, vcc
	v_add_u32_e32 v32, s54, v90
	v_ashrrev_i32_e32 v33, 31, v32
	v_lshlrev_b64 v[32:33], 2, v[32:33]
	v_add_u32_e32 v34, s55, v90
	v_ashrrev_i32_e32 v35, 31, v34
	v_lshlrev_b64 v[34:35], 2, v[34:35]
	v_add_u32_e32 v36, s56, v90
	v_ashrrev_i32_e32 v37, 31, v36
	v_lshlrev_b64 v[36:37], 2, v[36:37]
	v_add_u32_e32 v60, s80, v90
	v_ashrrev_i32_e32 v61, 31, v60
	v_lshlrev_b64 v[60:61], 2, v[60:61]
	v_accvgpr_read_b32 v3, a15
	v_accvgpr_read_b32 v2, a14
	;; [unrolled: 1-line block ×6, first 2 shown]
	s_waitcnt vmcnt(7)
	ds_write_b32 v93, v24 offset:64
	s_waitcnt vmcnt(6)
	ds_write_b32 v93, v25 offset:328
	global_load_dword v20, v[20:21], off
	s_nop 0
	global_load_dword v21, v[22:23], off
	v_add_u32_e32 v22, s49, v90
	v_ashrrev_i32_e32 v23, 31, v22
	v_lshlrev_b64 v[22:23], 2, v[22:23]
	v_add_u32_e32 v24, s50, v90
	v_add_co_u32_e32 v22, vcc, s28, v22
	v_ashrrev_i32_e32 v25, 31, v24
	v_addc_co_u32_e32 v23, vcc, v96, v23, vcc
	v_lshlrev_b64 v[24:25], 2, v[24:25]
	s_waitcnt vmcnt(7)
	ds_write_b32 v93, v26 offset:592
	s_waitcnt vmcnt(6)
	ds_write_b32 v93, v27 offset:856
	;; [unrolled: 2-line block ×6, first 2 shown]
	v_add_u32_e32 v26, s51, v90
	v_add_co_u32_e32 v24, vcc, s28, v24
	v_ashrrev_i32_e32 v27, 31, v26
	v_addc_co_u32_e32 v25, vcc, v96, v25, vcc
	v_lshlrev_b64 v[26:27], 2, v[26:27]
	v_add_u32_e32 v28, s52, v90
	v_add_co_u32_e32 v26, vcc, s28, v26
	v_ashrrev_i32_e32 v29, 31, v28
	v_addc_co_u32_e32 v27, vcc, v96, v27, vcc
	v_lshlrev_b64 v[28:29], 2, v[28:29]
	;; [unrolled: 5-line block ×3, first 2 shown]
	v_add_co_u32_e32 v30, vcc, s28, v30
	v_addc_co_u32_e32 v31, vcc, v96, v31, vcc
	v_add_co_u32_e32 v32, vcc, s28, v32
	v_addc_co_u32_e32 v33, vcc, v96, v33, vcc
	;; [unrolled: 2-line block ×4, first 2 shown]
	global_load_dword v22, v[22:23], off
	s_nop 0
	global_load_dword v23, v[24:25], off
	s_nop 0
	global_load_dword v24, v[26:27], off
	global_load_dword v25, v[28:29], off
	s_nop 0
	global_load_dword v26, v[30:31], off
	;; [unrolled: 3-line block ×3, first 2 shown]
	s_nop 0
	global_load_dword v35, v[36:37], off
	v_add_u32_e32 v28, s57, v90
	v_ashrrev_i32_e32 v29, 31, v28
	v_lshlrev_b64 v[28:29], 2, v[28:29]
	v_add_u32_e32 v30, s58, v90
	v_add_co_u32_e32 v28, vcc, s28, v28
	v_ashrrev_i32_e32 v31, 31, v30
	v_addc_co_u32_e32 v29, vcc, v96, v29, vcc
	v_lshlrev_b64 v[30:31], 2, v[30:31]
	v_add_u32_e32 v32, s59, v90
	v_add_co_u32_e32 v30, vcc, s28, v30
	v_ashrrev_i32_e32 v33, 31, v32
	v_addc_co_u32_e32 v31, vcc, v96, v31, vcc
	v_lshlrev_b64 v[32:33], 2, v[32:33]
	v_add_u32_e32 v36, s60, v90
	v_add_co_u32_e32 v32, vcc, s28, v32
	v_ashrrev_i32_e32 v37, 31, v36
	v_addc_co_u32_e32 v33, vcc, v96, v33, vcc
	v_lshlrev_b64 v[36:37], 2, v[36:37]
	v_add_co_u32_e32 v38, vcc, s28, v36
	v_add_u32_e32 v36, s61, v90
	v_addc_co_u32_e32 v39, vcc, v96, v37, vcc
	v_ashrrev_i32_e32 v37, 31, v36
	v_lshlrev_b64 v[36:37], 2, v[36:37]
	v_add_co_u32_e32 v42, vcc, s28, v36
	v_add_u32_e32 v36, s62, v90
	v_addc_co_u32_e32 v43, vcc, v96, v37, vcc
	v_ashrrev_i32_e32 v37, 31, v36
	;; [unrolled: 5-line block ×4, first 2 shown]
	v_lshlrev_b64 v[36:37], 2, v[36:37]
	v_add_co_u32_e32 v48, vcc, s28, v36
	v_addc_co_u32_e32 v49, vcc, v96, v37, vcc
	global_load_dword v36, v[28:29], off
	global_load_dword v37, v[30:31], off
	;; [unrolled: 1-line block ×4, first 2 shown]
	s_nop 0
	global_load_dword v42, v[42:43], off
	s_nop 0
	global_load_dword v43, v[44:45], off
	;; [unrolled: 2-line block ×3, first 2 shown]
	global_load_dword v45, v[48:49], off
	v_add_u32_e32 v28, s65, v90
	v_ashrrev_i32_e32 v29, 31, v28
	v_lshlrev_b64 v[28:29], 2, v[28:29]
	v_add_u32_e32 v30, s66, v90
	v_add_co_u32_e32 v28, vcc, s28, v28
	v_ashrrev_i32_e32 v31, 31, v30
	v_addc_co_u32_e32 v29, vcc, v96, v29, vcc
	v_lshlrev_b64 v[30:31], 2, v[30:31]
	v_add_u32_e32 v32, s67, v90
	v_add_co_u32_e32 v30, vcc, s28, v30
	v_ashrrev_i32_e32 v33, 31, v32
	v_addc_co_u32_e32 v31, vcc, v96, v31, vcc
	;; [unrolled: 5-line block ×4, first 2 shown]
	v_lshlrev_b64 v[46:47], 2, v[46:47]
	v_add_co_u32_e32 v48, vcc, s28, v46
	v_add_u32_e32 v46, s70, v90
	v_addc_co_u32_e32 v49, vcc, v96, v47, vcc
	v_ashrrev_i32_e32 v47, 31, v46
	v_lshlrev_b64 v[46:47], 2, v[46:47]
	v_add_co_u32_e32 v54, vcc, s28, v46
	v_add_u32_e32 v46, s71, v90
	v_addc_co_u32_e32 v55, vcc, v96, v47, vcc
	v_ashrrev_i32_e32 v47, 31, v46
	;; [unrolled: 5-line block ×3, first 2 shown]
	v_lshlrev_b64 v[46:47], 2, v[46:47]
	v_add_co_u32_e32 v58, vcc, s28, v46
	v_addc_co_u32_e32 v59, vcc, v96, v47, vcc
	global_load_dword v46, v[28:29], off
	global_load_dword v47, v[30:31], off
	;; [unrolled: 1-line block ×6, first 2 shown]
	s_nop 0
	global_load_dword v48, v[56:57], off
	global_load_dword v49, v[58:59], off
	v_add_u32_e32 v28, s73, v90
	v_ashrrev_i32_e32 v29, 31, v28
	v_lshlrev_b64 v[28:29], 2, v[28:29]
	v_add_u32_e32 v30, s74, v90
	v_add_co_u32_e32 v28, vcc, s28, v28
	v_ashrrev_i32_e32 v31, 31, v30
	v_addc_co_u32_e32 v29, vcc, v96, v29, vcc
	v_lshlrev_b64 v[30:31], 2, v[30:31]
	v_add_u32_e32 v32, s75, v90
	v_add_co_u32_e32 v30, vcc, s28, v30
	v_ashrrev_i32_e32 v33, 31, v32
	v_addc_co_u32_e32 v31, vcc, v96, v31, vcc
	;; [unrolled: 5-line block ×6, first 2 shown]
	v_lshlrev_b64 v[58:59], 2, v[58:59]
	v_add_co_u32_e32 v58, vcc, s28, v58
	v_addc_co_u32_e32 v59, vcc, v96, v59, vcc
	v_add_co_u32_e32 v60, vcc, s28, v60
	v_addc_co_u32_e32 v61, vcc, v96, v61, vcc
	global_load_dword v62, v[28:29], off
	global_load_dword v63, v[30:31], off
	;; [unrolled: 1-line block ×8, first 2 shown]
	v_add_u32_e32 v28, s81, v90
	v_ashrrev_i32_e32 v29, 31, v28
	v_lshlrev_b64 v[28:29], 2, v[28:29]
	v_add_u32_e32 v30, s82, v90
	v_add_co_u32_e32 v28, vcc, s28, v28
	v_ashrrev_i32_e32 v31, 31, v30
	v_addc_co_u32_e32 v29, vcc, v96, v29, vcc
	v_lshlrev_b64 v[30:31], 2, v[30:31]
	v_add_u32_e32 v32, s83, v90
	v_add_co_u32_e32 v30, vcc, s28, v30
	v_ashrrev_i32_e32 v33, 31, v32
	v_addc_co_u32_e32 v31, vcc, v96, v31, vcc
	;; [unrolled: 5-line block ×7, first 2 shown]
	v_lshlrev_b64 v[60:61], 2, v[60:61]
	v_add_co_u32_e32 v60, vcc, s28, v60
	v_addc_co_u32_e32 v61, vcc, v96, v61, vcc
	global_load_dword v70, v[28:29], off
	global_load_dword v71, v[30:31], off
	;; [unrolled: 1-line block ×8, first 2 shown]
	v_add_u32_e32 v28, s88, v90
	v_ashrrev_i32_e32 v29, 31, v28
	v_lshlrev_b64 v[28:29], 2, v[28:29]
	v_add_u32_e32 v30, s89, v90
	v_add_co_u32_e32 v28, vcc, s28, v28
	v_ashrrev_i32_e32 v31, 31, v30
	v_addc_co_u32_e32 v29, vcc, v96, v29, vcc
	v_lshlrev_b64 v[30:31], 2, v[30:31]
	v_add_u32_e32 v32, s90, v90
	v_add_co_u32_e32 v30, vcc, s28, v30
	v_ashrrev_i32_e32 v33, 31, v32
	v_addc_co_u32_e32 v31, vcc, v96, v31, vcc
	;; [unrolled: 5-line block ×7, first 2 shown]
	v_lshlrev_b64 v[60:61], 2, v[60:61]
	v_add_co_u32_e32 v60, vcc, s28, v60
	v_addc_co_u32_e32 v61, vcc, v96, v61, vcc
	global_load_dword v78, v[28:29], off
	global_load_dword v79, v[30:31], off
	;; [unrolled: 1-line block ×8, first 2 shown]
	v_add_u32_e32 v28, s10, v90
	v_ashrrev_i32_e32 v29, 31, v28
	v_lshlrev_b64 v[28:29], 2, v[28:29]
	v_add_u32_e32 v30, s11, v90
	v_add_co_u32_e32 v28, vcc, s28, v28
	v_ashrrev_i32_e32 v31, 31, v30
	v_addc_co_u32_e32 v29, vcc, v96, v29, vcc
	v_lshlrev_b64 v[30:31], 2, v[30:31]
	v_add_u32_e32 v32, s19, v90
	v_add_co_u32_e32 v30, vcc, s28, v30
	v_ashrrev_i32_e32 v33, 31, v32
	v_addc_co_u32_e32 v31, vcc, v96, v31, vcc
	;; [unrolled: 5-line block ×5, first 2 shown]
	v_lshlrev_b64 v[56:57], 2, v[56:57]
	v_add_co_u32_e32 v56, vcc, s28, v56
	v_addc_co_u32_e32 v57, vcc, v96, v57, vcc
	global_load_dword v99, v[28:29], off
	global_load_dword v100, v[30:31], off
	;; [unrolled: 1-line block ×6, first 2 shown]
	s_waitcnt vmcnt(55)
	ds_write_b32 v93, v20 offset:2176
	s_waitcnt vmcnt(54)
	ds_write_b32 v93, v21 offset:2440
	s_waitcnt vmcnt(53)
	ds_write_b32 v93, v22 offset:2704
	s_waitcnt vmcnt(52)
	ds_write_b32 v93, v23 offset:2968
	s_waitcnt vmcnt(51)
	ds_write_b32 v93, v24 offset:3232
	s_waitcnt vmcnt(50)
	ds_write_b32 v93, v25 offset:3496
	s_waitcnt vmcnt(49)
	ds_write_b32 v93, v26 offset:3760
	s_waitcnt vmcnt(48)
	ds_write_b32 v93, v27 offset:4024
	ds_read_b64 v[38:39], v94 offset:64
	ds_read_b64 v[32:33], v94 offset:96
	ds_read_b64 v[30:31], v94 offset:128
	ds_read_b64 v[28:29], v94 offset:160
	ds_read_b64 v[26:27], v94 offset:192
	ds_read_b64 v[24:25], v94 offset:224
	ds_read_b64 v[22:23], v94 offset:256
	ds_read_b64 v[20:21], v94 offset:288
	s_waitcnt vmcnt(47)
	ds_write_b32 v93, v34 offset:64
	s_waitcnt vmcnt(46)
	ds_write_b32 v93, v35 offset:328
	s_waitcnt vmcnt(45)
	ds_write_b32 v93, v36 offset:592
	s_waitcnt vmcnt(44)
	ds_write_b32 v93, v37 offset:856
	s_waitcnt vmcnt(43)
	ds_write_b32 v93, v40 offset:1120
	s_waitcnt vmcnt(42)
	ds_write_b32 v93, v41 offset:1384
	s_waitcnt vmcnt(41)
	ds_write_b32 v93, v42 offset:1648
	s_waitcnt vmcnt(40)
	ds_write_b32 v93, v43 offset:1912
	s_waitcnt vmcnt(39)
	ds_write_b32 v93, v44 offset:2176
	s_waitcnt vmcnt(38)
	ds_write_b32 v93, v45 offset:2440
	s_waitcnt vmcnt(37)
	ds_write_b32 v93, v46 offset:2704
	s_waitcnt vmcnt(36)
	ds_write_b32 v93, v47 offset:2968
	s_waitcnt vmcnt(35)
	ds_write_b32 v93, v50 offset:3232
	s_waitcnt vmcnt(34)
	ds_write_b32 v93, v51 offset:3496
	s_waitcnt vmcnt(33)
	ds_write_b32 v93, v52 offset:3760
	s_waitcnt vmcnt(32)
	ds_write_b32 v93, v53 offset:4024
	ds_read_b64 v[52:53], v94 offset:64
	ds_read_b64 v[50:51], v94 offset:96
	ds_read_b64 v[46:47], v94 offset:128
	ds_read_b64 v[44:45], v94 offset:160
	ds_read_b64 v[42:43], v94 offset:192
	ds_read_b64 v[40:41], v94 offset:224
	ds_read_b64 v[36:37], v94 offset:256
	ds_read_b64 v[34:35], v94 offset:288
	s_waitcnt vmcnt(31)
	ds_write_b32 v93, v48 offset:64
	s_waitcnt vmcnt(30)
	ds_write_b32 v93, v49 offset:328
	s_waitcnt vmcnt(29)
	ds_write_b32 v93, v62 offset:592
	s_waitcnt vmcnt(28)
	ds_write_b32 v93, v63 offset:856
	s_waitcnt vmcnt(27)
	ds_write_b32 v93, v64 offset:1120
	s_waitcnt vmcnt(26)
	ds_write_b32 v93, v65 offset:1384
	s_waitcnt vmcnt(25)
	ds_write_b32 v93, v66 offset:1648
	s_waitcnt vmcnt(24)
	ds_write_b32 v93, v67 offset:1912
	s_waitcnt vmcnt(23)
	ds_write_b32 v93, v68 offset:2176
	s_waitcnt vmcnt(22)
	ds_write_b32 v93, v69 offset:2440
	s_waitcnt vmcnt(21)
	ds_write_b32 v93, v70 offset:2704
	s_waitcnt vmcnt(20)
	ds_write_b32 v93, v71 offset:2968
	s_waitcnt vmcnt(19)
	ds_write_b32 v93, v72 offset:3232
	s_waitcnt vmcnt(18)
	ds_write_b32 v93, v73 offset:3496
	s_waitcnt vmcnt(17)
	ds_write_b32 v93, v74 offset:3760
	s_waitcnt vmcnt(16)
	ds_write_b32 v93, v75 offset:4024
	ds_read_b64 v[66:67], v94 offset:64
	ds_read_b64 v[64:65], v94 offset:96
	ds_read_b64 v[62:63], v94 offset:128
	ds_read_b64 v[60:61], v94 offset:160
	ds_read_b64 v[58:59], v94 offset:192
	ds_read_b64 v[56:57], v94 offset:224
	ds_read_b64 v[54:55], v94 offset:256
	ds_read_b64 v[48:49], v94 offset:288
	s_waitcnt vmcnt(15)
	ds_write_b32 v93, v76 offset:64
	s_waitcnt vmcnt(14)
	ds_write_b32 v93, v77 offset:328
	s_waitcnt vmcnt(13)
	ds_write_b32 v93, v78 offset:592
	s_waitcnt vmcnt(12)
	ds_write_b32 v93, v79 offset:856
	s_waitcnt vmcnt(11)
	ds_write_b32 v93, v80 offset:1120
	s_waitcnt vmcnt(10)
	ds_write_b32 v93, v81 offset:1384
	s_waitcnt vmcnt(9)
	ds_write_b32 v93, v82 offset:1648
	s_waitcnt vmcnt(8)
	ds_write_b32 v93, v83 offset:1912
	s_waitcnt vmcnt(7)
	ds_write_b32 v93, v84 offset:2176
	s_waitcnt vmcnt(6)
	ds_write_b32 v93, v85 offset:2440
	;; [unrolled: 2-line block ×8, first 2 shown]
	ds_read_b64 v[82:83], v94 offset:64
	ds_read_b64 v[80:81], v94 offset:96
	;; [unrolled: 1-line block ×8, first 2 shown]
	v_accvgpr_read_b32 v5, a5
	v_accvgpr_read_b32 v4, a4
	;; [unrolled: 1-line block ×10, first 2 shown]
	s_andn2_b64 vcc, exec, s[6:7]
	v_mov_b32_e32 v84, 0
	v_mov_b32_e32 v85, 0
	s_cbranch_vccnz .LBB124_56
; %bb.54:                               ;   in Loop: Header=BB124_53 Depth=1
	ds_read_b32 v99, v92
	v_mov_b32_e32 v85, 0
	v_mov_b32_e32 v84, 0
	s_waitcnt lgkmcnt(0)
	v_cmp_gt_i32_e32 vcc, 0, v99
	s_cbranch_vccnz .LBB124_56
; %bb.55:                               ;   in Loop: Header=BB124_53 Depth=1
	v_mul_lo_u32 v84, v99, s29
	v_add_u32_e32 v84, v95, v84
	v_ashrrev_i32_e32 v85, 31, v84
	v_lshlrev_b64 v[84:85], 2, v[84:85]
	v_mov_b32_e32 v99, s33
	v_add_co_u32_e32 v84, vcc, s31, v84
	v_addc_co_u32_e32 v85, vcc, v99, v85, vcc
	global_load_dwordx2 v[84:85], v[84:85], off
.LBB124_56:                             ;   in Loop: Header=BB124_53 Depth=1
	s_waitcnt vmcnt(0)
	v_and_b32_e32 v99, 0x7f800000, v84
	v_cmp_ne_u32_e32 vcc, s5, v99
                                        ; implicit-def: $vgpr99
	s_and_saveexec_b64 s[36:37], vcc
	s_xor_b64 s[36:37], exec, s[36:37]
; %bb.57:                               ;   in Loop: Header=BB124_53 Depth=1
	v_bfe_u32 v99, v84, 16, 1
	v_add3_u32 v99, v84, v99, s0
; %bb.58:                               ;   in Loop: Header=BB124_53 Depth=1
	s_andn2_saveexec_b64 s[36:37], s[36:37]
; %bb.59:                               ;   in Loop: Header=BB124_53 Depth=1
	v_or_b32_e32 v99, 0x10000, v84
	v_cmp_eq_u32_sdwa vcc, v84, v97 src0_sel:WORD_0 src1_sel:DWORD
	v_cndmask_b32_e32 v99, v99, v84, vcc
; %bb.60:                               ;   in Loop: Header=BB124_53 Depth=1
	s_or_b64 exec, exec, s[36:37]
	v_and_b32_e32 v84, 0x7f800000, v85
	v_cmp_ne_u32_e32 vcc, s5, v84
                                        ; implicit-def: $vgpr84
	s_and_saveexec_b64 s[36:37], vcc
	s_xor_b64 s[36:37], exec, s[36:37]
; %bb.61:                               ;   in Loop: Header=BB124_53 Depth=1
	v_bfe_u32 v84, v85, 16, 1
	v_add3_u32 v84, v85, v84, s0
                                        ; implicit-def: $vgpr85
; %bb.62:                               ;   in Loop: Header=BB124_53 Depth=1
	s_andn2_saveexec_b64 s[36:37], s[36:37]
; %bb.63:                               ;   in Loop: Header=BB124_53 Depth=1
	v_or_b32_e32 v84, 0x10000, v85
	v_cmp_eq_u32_sdwa vcc, v85, v97 src0_sel:WORD_0 src1_sel:DWORD
	v_cndmask_b32_e32 v84, v84, v85, vcc
; %bb.64:                               ;   in Loop: Header=BB124_53 Depth=1
	s_or_b64 exec, exec, s[36:37]
	v_perm_b32 v84, v84, v99, s1
	ds_write_b32 v93, v84 offset:64
	s_andn2_b64 vcc, exec, s[16:17]
	v_mov_b32_e32 v84, 0
	v_mov_b32_e32 v85, 0
	s_cbranch_vccnz .LBB124_67
; %bb.65:                               ;   in Loop: Header=BB124_53 Depth=1
	ds_read_b32 v99, v92 offset:4
	v_mov_b32_e32 v85, 0
	v_mov_b32_e32 v84, 0
	s_waitcnt lgkmcnt(0)
	v_cmp_gt_i32_e32 vcc, 0, v99
	s_cbranch_vccnz .LBB124_67
; %bb.66:                               ;   in Loop: Header=BB124_53 Depth=1
	v_mul_lo_u32 v84, v99, s29
	v_add_u32_e32 v84, s24, v84
	v_add_u32_e32 v84, v84, v95
	v_ashrrev_i32_e32 v85, 31, v84
	v_lshlrev_b64 v[84:85], 2, v[84:85]
	v_mov_b32_e32 v99, s33
	v_add_co_u32_e32 v84, vcc, s31, v84
	v_addc_co_u32_e32 v85, vcc, v99, v85, vcc
	global_load_dwordx2 v[84:85], v[84:85], off
.LBB124_67:                             ;   in Loop: Header=BB124_53 Depth=1
	s_waitcnt vmcnt(0)
	v_and_b32_e32 v99, 0x7f800000, v84
	v_cmp_ne_u32_e32 vcc, s5, v99
                                        ; implicit-def: $vgpr99
	s_and_saveexec_b64 s[36:37], vcc
	s_xor_b64 s[36:37], exec, s[36:37]
; %bb.68:                               ;   in Loop: Header=BB124_53 Depth=1
	v_bfe_u32 v99, v84, 16, 1
	v_add3_u32 v99, v84, v99, s0
; %bb.69:                               ;   in Loop: Header=BB124_53 Depth=1
	s_andn2_saveexec_b64 s[36:37], s[36:37]
; %bb.70:                               ;   in Loop: Header=BB124_53 Depth=1
	v_or_b32_e32 v99, 0x10000, v84
	v_cmp_eq_u32_sdwa vcc, v84, v97 src0_sel:WORD_0 src1_sel:DWORD
	v_cndmask_b32_e32 v99, v99, v84, vcc
; %bb.71:                               ;   in Loop: Header=BB124_53 Depth=1
	s_or_b64 exec, exec, s[36:37]
	v_and_b32_e32 v84, 0x7f800000, v85
	v_cmp_ne_u32_e32 vcc, s5, v84
                                        ; implicit-def: $vgpr84
	s_and_saveexec_b64 s[36:37], vcc
	s_xor_b64 s[36:37], exec, s[36:37]
; %bb.72:                               ;   in Loop: Header=BB124_53 Depth=1
	v_bfe_u32 v84, v85, 16, 1
	v_add3_u32 v84, v85, v84, s0
                                        ; implicit-def: $vgpr85
; %bb.73:                               ;   in Loop: Header=BB124_53 Depth=1
	s_andn2_saveexec_b64 s[36:37], s[36:37]
; %bb.74:                               ;   in Loop: Header=BB124_53 Depth=1
	v_or_b32_e32 v84, 0x10000, v85
	v_cmp_eq_u32_sdwa vcc, v85, v97 src0_sel:WORD_0 src1_sel:DWORD
	v_cndmask_b32_e32 v84, v84, v85, vcc
; %bb.75:                               ;   in Loop: Header=BB124_53 Depth=1
	s_or_b64 exec, exec, s[36:37]
	v_perm_b32 v84, v84, v99, s1
	ds_write_b32 v93, v84 offset:328
	s_andn2_b64 vcc, exec, s[26:27]
	v_mov_b32_e32 v84, 0
	v_mov_b32_e32 v85, 0
	s_cbranch_vccnz .LBB124_78
; %bb.76:                               ;   in Loop: Header=BB124_53 Depth=1
	ds_read_b32 v99, v92 offset:8
	v_mov_b32_e32 v85, 0
	v_mov_b32_e32 v84, 0
	s_waitcnt lgkmcnt(0)
	v_cmp_gt_i32_e32 vcc, 0, v99
	s_cbranch_vccnz .LBB124_78
; %bb.77:                               ;   in Loop: Header=BB124_53 Depth=1
	v_mul_lo_u32 v84, v99, s29
	v_add_u32_e32 v84, s40, v84
	v_add_u32_e32 v84, v84, v95
	v_ashrrev_i32_e32 v85, 31, v84
	v_lshlrev_b64 v[84:85], 2, v[84:85]
	v_mov_b32_e32 v99, s33
	v_add_co_u32_e32 v84, vcc, s31, v84
	v_addc_co_u32_e32 v85, vcc, v99, v85, vcc
	global_load_dwordx2 v[84:85], v[84:85], off
.LBB124_78:                             ;   in Loop: Header=BB124_53 Depth=1
	s_waitcnt vmcnt(0)
	v_and_b32_e32 v99, 0x7f800000, v84
	v_cmp_ne_u32_e32 vcc, s5, v99
                                        ; implicit-def: $vgpr99
	s_and_saveexec_b64 s[36:37], vcc
	s_xor_b64 s[36:37], exec, s[36:37]
; %bb.79:                               ;   in Loop: Header=BB124_53 Depth=1
	v_bfe_u32 v99, v84, 16, 1
	v_add3_u32 v99, v84, v99, s0
; %bb.80:                               ;   in Loop: Header=BB124_53 Depth=1
	s_andn2_saveexec_b64 s[36:37], s[36:37]
; %bb.81:                               ;   in Loop: Header=BB124_53 Depth=1
	v_or_b32_e32 v99, 0x10000, v84
	v_cmp_eq_u32_sdwa vcc, v84, v97 src0_sel:WORD_0 src1_sel:DWORD
	v_cndmask_b32_e32 v99, v99, v84, vcc
; %bb.82:                               ;   in Loop: Header=BB124_53 Depth=1
	s_or_b64 exec, exec, s[36:37]
	v_and_b32_e32 v84, 0x7f800000, v85
	v_cmp_ne_u32_e32 vcc, s5, v84
                                        ; implicit-def: $vgpr84
	s_and_saveexec_b64 s[36:37], vcc
	s_xor_b64 s[36:37], exec, s[36:37]
; %bb.83:                               ;   in Loop: Header=BB124_53 Depth=1
	v_bfe_u32 v84, v85, 16, 1
	v_add3_u32 v84, v85, v84, s0
                                        ; implicit-def: $vgpr85
; %bb.84:                               ;   in Loop: Header=BB124_53 Depth=1
	s_andn2_saveexec_b64 s[36:37], s[36:37]
; %bb.85:                               ;   in Loop: Header=BB124_53 Depth=1
	v_or_b32_e32 v84, 0x10000, v85
	v_cmp_eq_u32_sdwa vcc, v85, v97 src0_sel:WORD_0 src1_sel:DWORD
	v_cndmask_b32_e32 v84, v84, v85, vcc
; %bb.86:                               ;   in Loop: Header=BB124_53 Depth=1
	s_or_b64 exec, exec, s[36:37]
	v_perm_b32 v84, v84, v99, s1
	ds_write_b32 v93, v84 offset:592
	s_andn2_b64 vcc, exec, s[34:35]
	v_mov_b32_e32 v84, 0
	v_mov_b32_e32 v85, 0
	s_cbranch_vccnz .LBB124_89
; %bb.87:                               ;   in Loop: Header=BB124_53 Depth=1
	ds_read_b32 v99, v92 offset:12
	v_mov_b32_e32 v85, 0
	v_mov_b32_e32 v84, 0
	s_waitcnt lgkmcnt(0)
	v_cmp_gt_i32_e32 vcc, 0, v99
	s_cbranch_vccnz .LBB124_89
; %bb.88:                               ;   in Loop: Header=BB124_53 Depth=1
	v_mul_lo_u32 v84, v99, s29
	v_readlane_b32 s36, v105, 11
	v_add_u32_e32 v84, s36, v84
	v_add_u32_e32 v84, v84, v95
	v_ashrrev_i32_e32 v85, 31, v84
	v_lshlrev_b64 v[84:85], 2, v[84:85]
	v_mov_b32_e32 v99, s33
	v_add_co_u32_e32 v84, vcc, s31, v84
	v_addc_co_u32_e32 v85, vcc, v99, v85, vcc
	global_load_dwordx2 v[84:85], v[84:85], off
.LBB124_89:                             ;   in Loop: Header=BB124_53 Depth=1
	s_waitcnt vmcnt(0)
	v_and_b32_e32 v99, 0x7f800000, v84
	v_cmp_ne_u32_e32 vcc, s5, v99
                                        ; implicit-def: $vgpr99
	s_and_saveexec_b64 s[36:37], vcc
	s_xor_b64 s[36:37], exec, s[36:37]
; %bb.90:                               ;   in Loop: Header=BB124_53 Depth=1
	v_bfe_u32 v99, v84, 16, 1
	v_add3_u32 v99, v84, v99, s0
; %bb.91:                               ;   in Loop: Header=BB124_53 Depth=1
	s_andn2_saveexec_b64 s[36:37], s[36:37]
; %bb.92:                               ;   in Loop: Header=BB124_53 Depth=1
	v_or_b32_e32 v99, 0x10000, v84
	v_cmp_eq_u32_sdwa vcc, v84, v97 src0_sel:WORD_0 src1_sel:DWORD
	v_cndmask_b32_e32 v99, v99, v84, vcc
; %bb.93:                               ;   in Loop: Header=BB124_53 Depth=1
	s_or_b64 exec, exec, s[36:37]
	v_and_b32_e32 v84, 0x7f800000, v85
	v_cmp_ne_u32_e32 vcc, s5, v84
                                        ; implicit-def: $vgpr84
	s_and_saveexec_b64 s[36:37], vcc
	s_xor_b64 s[36:37], exec, s[36:37]
; %bb.94:                               ;   in Loop: Header=BB124_53 Depth=1
	v_bfe_u32 v84, v85, 16, 1
	v_add3_u32 v84, v85, v84, s0
                                        ; implicit-def: $vgpr85
; %bb.95:                               ;   in Loop: Header=BB124_53 Depth=1
	s_andn2_saveexec_b64 s[36:37], s[36:37]
	s_cbranch_execz .LBB124_52
; %bb.96:                               ;   in Loop: Header=BB124_53 Depth=1
	v_or_b32_e32 v84, 0x10000, v85
	v_cmp_eq_u32_sdwa vcc, v85, v97 src0_sel:WORD_0 src1_sel:DWORD
	v_cndmask_b32_e32 v84, v84, v85, vcc
	s_branch .LBB124_52
.LBB124_97:
	s_or_b64 exec, exec, s[22:23]
	v_readlane_b32 s46, v105, 4
	v_readlane_b32 s48, v105, 7
	;; [unrolled: 1-line block ×7, first 2 shown]
.LBB124_98:
	v_readlane_b32 s0, v105, 2
	v_readlane_b32 s1, v105, 3
	s_or_b64 exec, exec, s[0:1]
	s_movk_i32 s0, 0x100
	v_lshlrev_b32_e32 v0, 2, v89
	v_add3_u32 v0, s0, v91, v0
	v_and_b32_e32 v2, 0x3f0, v16
	v_add_u32_e32 v3, v0, v2
	ds_write2_b32 v3, a12, a13 offset0:16 offset1:17
	v_or_b32_e32 v3, 12, v16
	v_add_u32_e32 v1, 64, v0
	v_and_b32_e32 v3, 0x3fc, v3
	v_add_u32_e32 v2, v1, v2
	v_add_u32_e32 v0, v0, v3
	ds_write_b32 v2, a14 offset:8
	ds_write_b32 v0, a15 offset:64
	ds_write2_b32 v2, a4, a5 offset0:16 offset1:17
	ds_write_b32 v2, a6 offset:72
	v_add_u32_e32 v0, v1, v3
	ds_write_b32 v0, a7 offset:64
	ds_write2_b32 v2, a0, a1 offset0:32 offset1:33
	ds_write_b32 v2, a2 offset:136
	ds_write_b32 v0, a3 offset:128
	ds_write2_b32 v2, a8, a9 offset0:48 offset1:49
	ds_write_b32 v2, a10 offset:200
	ds_write_b32 v0, a11 offset:192
	v_mov_b32_e32 v0, 0x100
	v_lshl_add_u32 v1, v16, 2, v0
	s_movk_i32 s0, 0x108
	v_mad_u32_u24 v2, v17, s0, v1
	ds_read_b32 v3, v2 offset:64
	v_cmp_gt_u32_e32 vcc, 4, v17
	v_mov_b32_e32 v4, -1
	s_and_saveexec_b64 s[4:5], vcc
	s_cbranch_execz .LBB124_100
; %bb.99:
	v_lshl_add_u32 v0, v17, 2, v0
	ds_read_b32 v4, v0
.LBB124_100:
	s_or_b64 exec, exec, s[4:5]
	s_mul_hi_i32 s1, s50, s8
	s_mul_i32 s0, s50, s8
	s_lshl_b64 s[0:1], s[0:1], 2
	v_readlane_b32 s6, v105, 0
	s_mul_hi_i32 s5, s9, s25
	s_mul_i32 s4, s9, s25
	v_readlane_b32 s7, v105, 1
	s_add_u32 s6, s6, s0
	s_addc_u32 s7, s7, s1
	s_lshl_b64 s[0:1], s[4:5], 2
	s_add_u32 s4, s6, s0
	s_waitcnt lgkmcnt(0)
	v_cmp_lt_i32_e32 vcc, -1, v4
	v_mul_u32_u24_e32 v2, 0x108, v17
	v_add_u32_e32 v0, s17, v16
	s_addc_u32 s5, s7, s1
	s_and_b64 s[6:7], vcc, s[46:47]
	s_and_saveexec_b64 s[0:1], s[6:7]
	s_cbranch_execz .LBB124_102
; %bb.101:
	v_mul_lo_u32 v4, v4, s30
	v_mul_lo_u32 v5, v17, s25
	v_add3_u32 v4, v0, v5, v4
	v_mov_b32_e32 v5, 0
	v_lshlrev_b64 v[4:5], 2, v[4:5]
	v_mov_b32_e32 v6, s5
	v_add_co_u32_e32 v4, vcc, s4, v4
	v_add_f32_e32 v3, 0, v3
	v_addc_co_u32_e32 v5, vcc, v6, v5, vcc
	global_store_dword v[4:5], v3, off
.LBB124_102:
	s_or_b64 exec, exec, s[0:1]
	v_add_u32_e32 v1, v2, v1
	ds_read_b32 v2, v1 offset:328
	v_cmp_gt_u32_e32 vcc, 3, v17
	v_mov_b32_e32 v3, -1
	s_and_saveexec_b64 s[0:1], vcc
	s_cbranch_execz .LBB124_104
; %bb.103:
	v_mov_b32_e32 v3, 0x100
	v_lshl_add_u32 v3, v17, 2, v3
	ds_read_b32 v3, v3 offset:4
.LBB124_104:
	s_or_b64 exec, exec, s[0:1]
	s_waitcnt lgkmcnt(0)
	v_cmp_lt_i32_e32 vcc, -1, v3
	s_and_b64 s[2:3], vcc, s[2:3]
	s_and_saveexec_b64 s[0:1], s[2:3]
	s_cbranch_execz .LBB124_106
; %bb.105:
	v_add_f32_e32 v4, 0, v2
	v_mul_lo_u32 v2, v3, s30
	v_mul_lo_u32 v3, v86, s25
	v_add3_u32 v2, v0, v3, v2
	v_mov_b32_e32 v3, 0
	v_lshlrev_b64 v[2:3], 2, v[2:3]
	v_mov_b32_e32 v5, s5
	v_add_co_u32_e32 v2, vcc, s4, v2
	v_addc_co_u32_e32 v3, vcc, v5, v3, vcc
	global_store_dword v[2:3], v4, off
.LBB124_106:
	s_or_b64 exec, exec, s[0:1]
	ds_read_b32 v2, v1 offset:592
	v_cmp_gt_u32_e32 vcc, 2, v17
	v_mov_b32_e32 v3, -1
	s_and_saveexec_b64 s[0:1], vcc
	s_cbranch_execz .LBB124_108
; %bb.107:
	v_mov_b32_e32 v3, 0x100
	v_lshl_add_u32 v3, v17, 2, v3
	ds_read_b32 v3, v3 offset:8
.LBB124_108:
	s_or_b64 exec, exec, s[0:1]
	s_waitcnt lgkmcnt(0)
	v_cmp_lt_i32_e32 vcc, -1, v3
	s_and_b64 s[2:3], vcc, s[12:13]
	s_and_saveexec_b64 s[0:1], s[2:3]
	s_cbranch_execz .LBB124_110
; %bb.109:
	v_add_f32_e32 v4, 0, v2
	v_mul_lo_u32 v2, v3, s30
	v_mul_lo_u32 v3, v87, s25
	v_add3_u32 v2, v0, v3, v2
	v_mov_b32_e32 v3, 0
	v_lshlrev_b64 v[2:3], 2, v[2:3]
	v_mov_b32_e32 v5, s5
	v_add_co_u32_e32 v2, vcc, s4, v2
	v_addc_co_u32_e32 v3, vcc, v5, v3, vcc
	global_store_dword v[2:3], v4, off
.LBB124_110:
	s_or_b64 exec, exec, s[0:1]
	ds_read_b32 v1, v1 offset:856
	v_cmp_eq_u32_e32 vcc, 0, v17
	v_mov_b32_e32 v2, -1
	s_and_saveexec_b64 s[0:1], vcc
	s_cbranch_execz .LBB124_112
; %bb.111:
	v_mov_b32_e32 v2, 0x100
	ds_read_b32 v2, v2 offset:12
.LBB124_112:
	s_or_b64 exec, exec, s[0:1]
	s_waitcnt lgkmcnt(0)
	v_cmp_lt_i32_e32 vcc, -1, v2
	s_and_b64 s[0:1], vcc, s[14:15]
	s_and_saveexec_b64 s[2:3], s[0:1]
	s_cbranch_execz .LBB124_114
; %bb.113:
	v_add_f32_e32 v3, 0, v1
	v_mul_lo_u32 v1, v2, s30
	v_mul_lo_u32 v2, v88, s25
	v_add3_u32 v0, v0, v2, v1
	v_mov_b32_e32 v1, 0
	v_lshlrev_b64 v[0:1], 2, v[0:1]
	v_mov_b32_e32 v2, s5
	v_add_co_u32_e32 v0, vcc, s4, v0
	v_addc_co_u32_e32 v1, vcc, v2, v1, vcc
	global_store_dword v[0:1], v3, off
.LBB124_114:
	s_endpgm
	.section	.rodata,"a",@progbits
	.p2align	6, 0x0
	.amdhsa_kernel _ZL9mul_mat_fI15__hip_bfloat162Li64ELi4ELi1ELb1EEvPKT_PKfPKiPfiiiiiiiiiiiiiiii
		.amdhsa_group_segment_fixed_size 256
		.amdhsa_private_segment_fixed_size 0
		.amdhsa_kernarg_size 352
		.amdhsa_user_sgpr_count 6
		.amdhsa_user_sgpr_private_segment_buffer 1
		.amdhsa_user_sgpr_dispatch_ptr 0
		.amdhsa_user_sgpr_queue_ptr 0
		.amdhsa_user_sgpr_kernarg_segment_ptr 1
		.amdhsa_user_sgpr_dispatch_id 0
		.amdhsa_user_sgpr_flat_scratch_init 0
		.amdhsa_user_sgpr_kernarg_preload_length 0
		.amdhsa_user_sgpr_kernarg_preload_offset 0
		.amdhsa_user_sgpr_private_segment_size 0
		.amdhsa_uses_dynamic_stack 0
		.amdhsa_system_sgpr_private_segment_wavefront_offset 0
		.amdhsa_system_sgpr_workgroup_id_x 1
		.amdhsa_system_sgpr_workgroup_id_y 1
		.amdhsa_system_sgpr_workgroup_id_z 1
		.amdhsa_system_sgpr_workgroup_info 0
		.amdhsa_system_vgpr_workitem_id 2
		.amdhsa_next_free_vgpr 128
		.amdhsa_next_free_sgpr 96
		.amdhsa_accum_offset 108
		.amdhsa_reserve_vcc 1
		.amdhsa_reserve_flat_scratch 0
		.amdhsa_float_round_mode_32 0
		.amdhsa_float_round_mode_16_64 0
		.amdhsa_float_denorm_mode_32 3
		.amdhsa_float_denorm_mode_16_64 3
		.amdhsa_dx10_clamp 1
		.amdhsa_ieee_mode 1
		.amdhsa_fp16_overflow 0
		.amdhsa_tg_split 0
		.amdhsa_exception_fp_ieee_invalid_op 0
		.amdhsa_exception_fp_denorm_src 0
		.amdhsa_exception_fp_ieee_div_zero 0
		.amdhsa_exception_fp_ieee_overflow 0
		.amdhsa_exception_fp_ieee_underflow 0
		.amdhsa_exception_fp_ieee_inexact 0
		.amdhsa_exception_int_div_zero 0
	.end_amdhsa_kernel
	.section	.text._ZL9mul_mat_fI15__hip_bfloat162Li64ELi4ELi1ELb1EEvPKT_PKfPKiPfiiiiiiiiiiiiiiii,"axG",@progbits,_ZL9mul_mat_fI15__hip_bfloat162Li64ELi4ELi1ELb1EEvPKT_PKfPKiPfiiiiiiiiiiiiiiii,comdat
.Lfunc_end124:
	.size	_ZL9mul_mat_fI15__hip_bfloat162Li64ELi4ELi1ELb1EEvPKT_PKfPKiPfiiiiiiiiiiiiiiii, .Lfunc_end124-_ZL9mul_mat_fI15__hip_bfloat162Li64ELi4ELi1ELb1EEvPKT_PKfPKiPfiiiiiiiiiiiiiiii
                                        ; -- End function
	.section	.AMDGPU.csdata,"",@progbits
; Kernel info:
; codeLenInByte = 8504
; NumSgprs: 100
; NumVgprs: 106
; NumAgprs: 20
; TotalNumVgprs: 128
; ScratchSize: 0
; MemoryBound: 0
; FloatMode: 240
; IeeeMode: 1
; LDSByteSize: 256 bytes/workgroup (compile time only)
; SGPRBlocks: 12
; VGPRBlocks: 15
; NumSGPRsForWavesPerEU: 100
; NumVGPRsForWavesPerEU: 128
; AccumOffset: 108
; Occupancy: 4
; WaveLimiterHint : 0
; COMPUTE_PGM_RSRC2:SCRATCH_EN: 0
; COMPUTE_PGM_RSRC2:USER_SGPR: 6
; COMPUTE_PGM_RSRC2:TRAP_HANDLER: 0
; COMPUTE_PGM_RSRC2:TGID_X_EN: 1
; COMPUTE_PGM_RSRC2:TGID_Y_EN: 1
; COMPUTE_PGM_RSRC2:TGID_Z_EN: 1
; COMPUTE_PGM_RSRC2:TIDIG_COMP_CNT: 2
; COMPUTE_PGM_RSRC3_GFX90A:ACCUM_OFFSET: 26
; COMPUTE_PGM_RSRC3_GFX90A:TG_SPLIT: 0
	.section	.text._ZL9mul_mat_fI15__hip_bfloat162Li64ELi4ELi1ELb0EEvPKT_PKfPKiPfiiiiiiiiiiiiiiii,"axG",@progbits,_ZL9mul_mat_fI15__hip_bfloat162Li64ELi4ELi1ELb0EEvPKT_PKfPKiPfiiiiiiiiiiiiiiii,comdat
	.globl	_ZL9mul_mat_fI15__hip_bfloat162Li64ELi4ELi1ELb0EEvPKT_PKfPKiPfiiiiiiiiiiiiiiii ; -- Begin function _ZL9mul_mat_fI15__hip_bfloat162Li64ELi4ELi1ELb0EEvPKT_PKfPKiPfiiiiiiiiiiiiiiii
	.p2align	8
	.type	_ZL9mul_mat_fI15__hip_bfloat162Li64ELi4ELi1ELb0EEvPKT_PKfPKiPfiiiiiiiiiiiiiiii,@function
_ZL9mul_mat_fI15__hip_bfloat162Li64ELi4ELi1ELb0EEvPKT_PKfPKiPfiiiiiiiiiiiiiiii: ; @_ZL9mul_mat_fI15__hip_bfloat162Li64ELi4ELi1ELb0EEvPKT_PKfPKiPfiiiiiiiiiiiiiiii
; %bb.0:
	s_load_dwordx8 s[12:19], s[4:5], 0x40
	s_load_dword s9, s[4:5], 0x20
	s_load_dwordx4 s[0:3], s[4:5], 0x2c
	v_bfe_u32 v86, v0, 10, 10
	v_lshlrev_b32_e32 v88, 6, v86
	v_and_b32_e32 v87, 0x3ff, v0
	s_waitcnt lgkmcnt(0)
	s_abs_i32 s27, s12
	s_abs_i32 s26, s16
	v_cvt_f32_u32_e32 v1, s27
	v_cvt_f32_u32_e32 v2, s26
	v_or_b32_e32 v90, v88, v87
	s_mov_b32 s22, 0
	v_rcp_iflag_f32_e32 v1, v1
	v_rcp_iflag_f32_e32 v2, v2
	s_ashr_i32 s28, s8, 31
	v_cmp_le_i32_e32 vcc, s9, v90
	v_mul_f32_e32 v1, 0x4f7ffffe, v1
	v_mul_f32_e32 v2, 0x4f7ffffe, v2
	v_cvt_u32_f32_e32 v1, v1
	v_cvt_u32_f32_e32 v2, v2
	v_and_b32_e32 v0, 15, v87
                                        ; implicit-def: $vgpr91
	v_readfirstlane_b32 s21, v1
	v_readfirstlane_b32 s20, v2
	s_and_saveexec_b64 s[10:11], vcc
	s_xor_b64 s[10:11], exec, s[10:11]
; %bb.1:
	v_mul_u32_u24_e32 v91, 0x108, v0
                                        ; implicit-def: $vgpr90
                                        ; implicit-def: $vgpr0
; %bb.2:
	s_or_saveexec_b64 s[24:25], s[10:11]
	s_load_dwordx2 s[10:11], s[4:5], 0x18
	s_lshl_b32 s3, s6, 6
	v_accvgpr_write_b32 a0, s22
	v_accvgpr_write_b32 a1, s22
	;; [unrolled: 1-line block ×16, first 2 shown]
	v_lshlrev_b32_e32 v89, 2, v87
	s_xor_b64 exec, exec, s[24:25]
	s_cbranch_execz .LBB125_38
; %bb.3:
	s_sub_i32 s6, 0, s27
	s_sub_i32 s22, 0, s26
	s_mul_i32 s6, s6, s21
	s_mul_i32 s22, s22, s20
	s_mul_hi_u32 s6, s21, s6
	s_mul_hi_u32 s22, s20, s22
	s_abs_i32 s29, s7
	s_add_i32 s6, s21, s6
	s_add_i32 s31, s20, s22
	s_load_dwordx4 s[20:23], s[4:5], 0x0
	s_mul_hi_u32 s4, s29, s6
	s_ashr_i32 s6, s7, 31
	s_ashr_i32 s12, s12, 31
	s_xor_b32 s6, s6, s12
	s_mul_i32 s12, s4, s27
	s_abs_i32 s30, s8
	s_sub_i32 s12, s29, s12
	s_mul_hi_u32 s5, s30, s31
	s_ashr_i32 s16, s16, 31
	s_add_i32 s29, s4, 1
	s_sub_i32 s31, s12, s27
	s_cmp_ge_u32 s12, s27
	s_cselect_b32 s4, s29, s4
	s_cselect_b32 s12, s31, s12
	s_add_i32 s29, s4, 1
	s_cmp_ge_u32 s12, s27
	s_cselect_b32 s4, s29, s4
	s_mul_i32 s12, s5, s26
	s_xor_b32 s4, s4, s6
	s_sub_i32 s12, s30, s12
	s_sub_i32 s6, s4, s6
	s_xor_b32 s4, s28, s16
	s_add_i32 s16, s5, 1
	s_sub_i32 s27, s12, s26
	s_cmp_ge_u32 s12, s26
	s_cselect_b32 s5, s16, s5
	s_cselect_b32 s12, s27, s12
	s_add_i32 s16, s5, 1
	s_cmp_ge_u32 s12, s26
	s_cselect_b32 s5, s16, s5
	s_xor_b32 s5, s5, s4
	s_sub_i32 s4, s5, s4
	s_mul_hi_i32 s5, s4, s17
	s_mul_i32 s4, s4, s17
	s_mul_i32 s12, s6, s13
	s_ashr_i32 s13, s12, 31
	s_lshl_b64 s[26:27], s[4:5], 2
	s_mul_i32 s16, s3, s0
	s_waitcnt lgkmcnt(0)
	s_add_u32 s6, s20, s26
	s_addc_u32 s29, s21, s27
	s_ashr_i32 s17, s16, 31
	s_lshl_b64 s[16:17], s[16:17], 2
	s_lshl_b64 s[12:13], s[12:13], 2
	s_add_u32 s30, s12, s16
	s_addc_u32 s31, s13, s17
	s_mul_i32 s28, s7, s14
	s_add_u32 s6, s30, s6
	s_mul_hi_i32 s5, s18, s8
	s_mul_i32 s4, s18, s8
	s_addc_u32 s76, s31, s29
	s_ashr_i32 s29, s28, 31
	s_lshl_b64 s[16:17], s[4:5], 2
	s_lshl_b64 s[4:5], s[28:29], 2
	s_add_u32 s22, s22, s4
	s_addc_u32 s23, s23, s5
	s_add_u32 s14, s22, s16
	s_movk_i32 s4, 0x1080
	s_addc_u32 s18, s23, s17
	v_mad_u32_u24 v1, v86, s4, 0
	s_ashr_i32 s5, s0, 31
	s_mov_b32 s4, s0
	v_mul_u32_u24_e32 v91, 0x108, v0
	v_lshrrev_b32_e32 v0, 1, v87
	s_ashr_i32 s13, s1, 31
	s_lshl_b64 s[4:5], s[4:5], 2
	v_and_b32_e32 v0, 0x1f8, v0
	s_add_u32 s26, s30, s26
	v_add3_u32 v93, v1, v91, v0
	v_lshlrev_b32_e32 v0, 8, v86
	s_addc_u32 s27, s31, s27
	v_add_u32_e32 v92, v1, v89
	v_mov_b32_e32 v1, s27
	v_add_co_u32_e32 v0, vcc, s26, v0
	v_addc_co_u32_e32 v1, vcc, 0, v1, vcc
	v_add_co_u32_e32 v0, vcc, v0, v89
	v_addc_co_u32_e32 v1, vcc, 0, v1, vcc
	v_mov_b32_e32 v2, s21
	v_add_co_u32_e32 v16, vcc, s20, v0
	v_addc_co_u32_e32 v17, vcc, v2, v1, vcc
	v_lshlrev_b32_e32 v0, 9, v86
	v_mov_b32_e32 v1, s17
	v_add_co_u32_e32 v0, vcc, s16, v0
	v_addc_co_u32_e32 v1, vcc, 0, v1, vcc
	v_lshlrev_b32_e32 v2, 3, v87
	v_add_co_u32_e32 v0, vcc, v0, v2
	v_addc_co_u32_e32 v1, vcc, 0, v1, vcc
	s_mov_b32 s12, s1
	v_mov_b32_e32 v2, s23
	v_add_co_u32_e32 v18, vcc, s22, v0
	s_lshl_b64 s[12:13], s[12:13], 3
	v_addc_co_u32_e32 v19, vcc, v2, v1, vcc
	s_mul_i32 s20, s0, 63
	s_lshl_b32 s21, s1, 1
	s_mul_i32 s22, s1, 3
	s_lshl_b32 s23, s0, 1
	;; [unrolled: 2-line block ×3, first 2 shown]
	s_mul_i32 s28, s0, 5
	s_mul_i32 s29, s0, 6
	;; [unrolled: 1-line block ×3, first 2 shown]
	s_lshl_b32 s31, s0, 3
	s_mul_i32 s33, s0, 9
	s_mul_i32 s34, s0, 10
	;; [unrolled: 1-line block ×7, first 2 shown]
	s_lshl_b32 s40, s0, 4
	s_mul_i32 s41, s0, 17
	s_mul_i32 s42, s0, 18
	;; [unrolled: 1-line block ×15, first 2 shown]
	s_lshl_b32 s56, s0, 5
	s_mul_i32 s57, s0, 33
	s_mul_i32 s58, s0, 34
	;; [unrolled: 1-line block ×19, first 2 shown]
	v_mov_b32_e32 v94, s76
	s_mul_i32 s76, s0, 52
	v_mov_b32_e32 v95, 0
	v_accvgpr_write_b32 a15, 0
	v_accvgpr_write_b32 a14, 0
	;; [unrolled: 1-line block ×16, first 2 shown]
	v_mov_b32_e32 v96, s5
	s_mul_i32 s5, s0, 53
	s_mul_i32 s77, s0, 54
	;; [unrolled: 1-line block ×10, first 2 shown]
	s_mov_b32 s86, 0x7f800000
	s_movk_i32 s87, 0x7fff
	s_mov_b32 s88, 0x7060302
	s_mov_b64 s[0:1], 0
	s_branch .LBB125_5
.LBB125_4:                              ;   in Loop: Header=BB125_5 Depth=1
	s_or_b64 exec, exec, s[16:17]
	v_perm_b32 v84, v98, v97, s88
	v_add_u32_e32 v85, 0x200, v92
	ds_write2_b32 v85, v84, v95 offset0:70 offset1:136
	v_add_u32_e32 v84, 0x400, v92
	ds_write2_b32 v84, v95, v95 offset0:74 offset1:140
	;; [unrolled: 2-line block ×6, first 2 shown]
	ds_write_b32 v92, v95 offset:3960
	ds_read2_b64 v[98:101], v93 offset1:4
	v_accvgpr_write_b32 a0, v0
	v_accvgpr_write_b32 a4, v4
	;; [unrolled: 1-line block ×16, first 2 shown]
	s_waitcnt lgkmcnt(0)
	v_mfma_f32_16x16x16bf16_1k a[0:3], v[38:39], v[98:99], a[0:3]
	ds_read2_b64 v[0:3], v93 offset0:8 offset1:12
	v_add_co_u32_e32 v16, vcc, 0x100, v16
	v_addc_co_u32_e32 v17, vcc, 0, v17, vcc
	v_add_co_u32_e32 v18, vcc, 0x200, v18
	v_mfma_f32_16x16x16bf16_1k a[4:7], v[52:53], v[98:99], a[4:7]
	v_add_u32_e32 v90, 64, v90
	v_addc_co_u32_e32 v19, vcc, 0, v19, vcc
	v_cmp_le_i32_e32 vcc, s9, v90
	s_or_b64 s[0:1], vcc, s[0:1]
	v_mfma_f32_16x16x16bf16_1k a[8:11], v[68:69], v[98:99], a[8:11]
	v_mfma_f32_16x16x16bf16_1k a[12:15], v[82:83], v[98:99], a[12:15]
	;; [unrolled: 1-line block ×6, first 2 shown]
	s_waitcnt lgkmcnt(0)
	v_mfma_f32_16x16x16bf16_1k a[0:3], v[30:31], v[0:1], a[0:3]
	v_mfma_f32_16x16x16bf16_1k a[4:7], v[46:47], v[0:1], a[4:7]
	;; [unrolled: 1-line block ×8, first 2 shown]
	ds_read2_b64 v[0:3], v93 offset0:16 offset1:20
	s_waitcnt lgkmcnt(0)
	v_mfma_f32_16x16x16bf16_1k a[0:3], v[26:27], v[0:1], a[0:3]
	v_mfma_f32_16x16x16bf16_1k a[4:7], v[42:43], v[0:1], a[4:7]
	;; [unrolled: 1-line block ×8, first 2 shown]
	ds_read2_b64 v[0:3], v93 offset0:24 offset1:28
	s_waitcnt lgkmcnt(0)
	v_mfma_f32_16x16x16bf16_1k a[0:3], v[22:23], v[0:1], a[0:3]
	v_mfma_f32_16x16x16bf16_1k a[4:7], v[36:37], v[0:1], a[4:7]
	v_mfma_f32_16x16x16bf16_1k a[16:19], v[54:55], v[0:1], a[8:11]
	v_mfma_f32_16x16x16bf16_1k a[20:23], v[70:71], v[0:1], a[12:15]
	v_mfma_f32_16x16x16bf16_1k a[12:15], v[20:21], v[2:3], a[0:3]
	v_mfma_f32_16x16x16bf16_1k a[8:11], v[34:35], v[2:3], a[4:7]
	v_mfma_f32_16x16x16bf16_1k a[4:7], v[48:49], v[2:3], a[16:19]
	v_mfma_f32_16x16x16bf16_1k a[0:3], v[56:57], v[2:3], a[20:23]
	s_andn2_b64 exec, exec, s[0:1]
	s_cbranch_execz .LBB125_37
.LBB125_5:                              ; =>This Inner Loop Header: Depth=1
	v_add_co_u32_e32 v0, vcc, s4, v16
	v_addc_co_u32_e32 v1, vcc, v17, v96, vcc
	global_load_dword v20, v[16:17], off
	global_load_dword v21, v[0:1], off
	v_add_u32_e32 v0, s23, v90
	v_ashrrev_i32_e32 v1, 31, v0
	v_lshlrev_b64 v[0:1], 2, v[0:1]
	v_add_u32_e32 v2, s26, v90
	v_add_co_u32_e32 v0, vcc, s6, v0
	v_ashrrev_i32_e32 v3, 31, v2
	v_addc_co_u32_e32 v1, vcc, v94, v1, vcc
	v_lshlrev_b64 v[2:3], 2, v[2:3]
	v_add_u32_e32 v4, s27, v90
	v_add_co_u32_e32 v2, vcc, s6, v2
	v_ashrrev_i32_e32 v5, 31, v4
	v_addc_co_u32_e32 v3, vcc, v94, v3, vcc
	;; [unrolled: 5-line block ×6, first 2 shown]
	v_lshlrev_b64 v[12:13], 2, v[12:13]
	v_add_co_u32_e32 v12, vcc, s6, v12
	v_addc_co_u32_e32 v13, vcc, v94, v13, vcc
	global_load_dword v22, v[0:1], off
	global_load_dword v23, v[2:3], off
	;; [unrolled: 1-line block ×7, first 2 shown]
	v_add_u32_e32 v12, s33, v90
	v_ashrrev_i32_e32 v13, 31, v12
	v_lshlrev_b64 v[12:13], 2, v[12:13]
	v_add_co_u32_e32 v12, vcc, s6, v12
	v_addc_co_u32_e32 v13, vcc, v94, v13, vcc
	v_add_u32_e32 v30, s39, v90
	v_ashrrev_i32_e32 v31, 31, v30
	v_lshlrev_b64 v[30:31], 2, v[30:31]
	v_add_u32_e32 v32, s40, v90
	v_ashrrev_i32_e32 v33, 31, v32
	v_lshlrev_b64 v[32:33], 2, v[32:33]
	;; [unrolled: 3-line block ×6, first 2 shown]
	s_waitcnt vmcnt(8)
	ds_write_b32 v92, v20
	s_waitcnt vmcnt(7)
	ds_write_b32 v92, v21 offset:264
	v_add_u32_e32 v20, s34, v90
	v_ashrrev_i32_e32 v21, 31, v20
	global_load_dword v12, v[12:13], off
	v_lshlrev_b64 v[20:21], 2, v[20:21]
	v_add_co_u32_e32 v20, vcc, s6, v20
	v_addc_co_u32_e32 v21, vcc, v94, v21, vcc
	v_add_u32_e32 v42, s49, v90
	v_ashrrev_i32_e32 v43, 31, v42
	v_lshlrev_b64 v[42:43], 2, v[42:43]
	v_accvgpr_read_b32 v3, a15
	v_accvgpr_read_b32 v2, a14
	s_waitcnt vmcnt(7)
	ds_write_b32 v92, v22 offset:528
	s_waitcnt vmcnt(6)
	ds_write_b32 v92, v23 offset:792
	;; [unrolled: 2-line block ×7, first 2 shown]
	v_add_u32_e32 v22, s35, v90
	v_ashrrev_i32_e32 v23, 31, v22
	v_lshlrev_b64 v[22:23], 2, v[22:23]
	v_add_u32_e32 v24, s36, v90
	v_add_co_u32_e32 v22, vcc, s6, v22
	v_ashrrev_i32_e32 v25, 31, v24
	v_addc_co_u32_e32 v23, vcc, v94, v23, vcc
	v_lshlrev_b64 v[24:25], 2, v[24:25]
	v_add_u32_e32 v26, s37, v90
	v_add_co_u32_e32 v24, vcc, s6, v24
	v_ashrrev_i32_e32 v27, 31, v26
	v_addc_co_u32_e32 v25, vcc, v94, v25, vcc
	;; [unrolled: 5-line block ×3, first 2 shown]
	v_lshlrev_b64 v[28:29], 2, v[28:29]
	v_add_co_u32_e32 v28, vcc, s6, v28
	v_addc_co_u32_e32 v29, vcc, v94, v29, vcc
	v_add_co_u32_e32 v30, vcc, s6, v30
	v_addc_co_u32_e32 v31, vcc, v94, v31, vcc
	;; [unrolled: 2-line block ×4, first 2 shown]
	global_load_dword v20, v[20:21], off
	s_nop 0
	global_load_dword v21, v[22:23], off
	s_nop 0
	global_load_dword v22, v[24:25], off
	global_load_dword v23, v[26:27], off
	s_nop 0
	global_load_dword v24, v[28:29], off
	global_load_dword v25, v[30:31], off
	;; [unrolled: 1-line block ×3, first 2 shown]
	s_nop 0
	global_load_dword v34, v[34:35], off
	v_add_u32_e32 v26, s42, v90
	v_ashrrev_i32_e32 v27, 31, v26
	v_lshlrev_b64 v[26:27], 2, v[26:27]
	v_add_u32_e32 v28, s43, v90
	v_add_co_u32_e32 v26, vcc, s6, v26
	v_ashrrev_i32_e32 v29, 31, v28
	v_addc_co_u32_e32 v27, vcc, v94, v27, vcc
	v_lshlrev_b64 v[28:29], 2, v[28:29]
	v_add_u32_e32 v30, s44, v90
	v_add_co_u32_e32 v28, vcc, s6, v28
	v_ashrrev_i32_e32 v31, 31, v30
	v_addc_co_u32_e32 v29, vcc, v94, v29, vcc
	;; [unrolled: 5-line block ×3, first 2 shown]
	v_lshlrev_b64 v[32:33], 2, v[32:33]
	v_add_co_u32_e32 v32, vcc, s6, v32
	v_addc_co_u32_e32 v33, vcc, v94, v33, vcc
	v_add_co_u32_e32 v36, vcc, s6, v36
	v_addc_co_u32_e32 v37, vcc, v94, v37, vcc
	;; [unrolled: 2-line block ×5, first 2 shown]
	global_load_dword v35, v[26:27], off
	global_load_dword v44, v[28:29], off
	global_load_dword v45, v[30:31], off
	global_load_dword v46, v[32:33], off
	global_load_dword v47, v[36:37], off
	global_load_dword v48, v[38:39], off
	global_load_dword v49, v[40:41], off
	global_load_dword v50, v[42:43], off
	v_add_u32_e32 v26, s50, v90
	v_ashrrev_i32_e32 v27, 31, v26
	v_lshlrev_b64 v[26:27], 2, v[26:27]
	v_add_u32_e32 v28, s51, v90
	v_add_co_u32_e32 v26, vcc, s6, v26
	v_ashrrev_i32_e32 v29, 31, v28
	v_addc_co_u32_e32 v27, vcc, v94, v27, vcc
	v_lshlrev_b64 v[28:29], 2, v[28:29]
	v_add_u32_e32 v30, s52, v90
	v_add_co_u32_e32 v28, vcc, s6, v28
	v_ashrrev_i32_e32 v31, 31, v30
	v_addc_co_u32_e32 v29, vcc, v94, v29, vcc
	v_lshlrev_b64 v[30:31], 2, v[30:31]
	v_add_u32_e32 v32, s53, v90
	v_add_co_u32_e32 v30, vcc, s6, v30
	v_ashrrev_i32_e32 v33, 31, v32
	v_addc_co_u32_e32 v31, vcc, v94, v31, vcc
	v_lshlrev_b64 v[32:33], 2, v[32:33]
	v_add_u32_e32 v36, s54, v90
	v_add_co_u32_e32 v32, vcc, s6, v32
	v_ashrrev_i32_e32 v37, 31, v36
	v_addc_co_u32_e32 v33, vcc, v94, v33, vcc
	v_lshlrev_b64 v[36:37], 2, v[36:37]
	v_add_u32_e32 v38, s55, v90
	v_add_co_u32_e32 v36, vcc, s6, v36
	v_ashrrev_i32_e32 v39, 31, v38
	v_addc_co_u32_e32 v37, vcc, v94, v37, vcc
	v_lshlrev_b64 v[38:39], 2, v[38:39]
	v_add_u32_e32 v40, s56, v90
	v_add_co_u32_e32 v38, vcc, s6, v38
	v_ashrrev_i32_e32 v41, 31, v40
	v_addc_co_u32_e32 v39, vcc, v94, v39, vcc
	v_lshlrev_b64 v[40:41], 2, v[40:41]
	v_add_u32_e32 v42, s57, v90
	v_add_co_u32_e32 v40, vcc, s6, v40
	v_ashrrev_i32_e32 v43, 31, v42
	v_addc_co_u32_e32 v41, vcc, v94, v41, vcc
	v_lshlrev_b64 v[42:43], 2, v[42:43]
	v_add_co_u32_e32 v42, vcc, s6, v42
	v_addc_co_u32_e32 v43, vcc, v94, v43, vcc
	global_load_dword v51, v[26:27], off
	global_load_dword v52, v[28:29], off
	global_load_dword v53, v[30:31], off
	global_load_dword v54, v[32:33], off
	global_load_dword v55, v[36:37], off
	global_load_dword v56, v[38:39], off
	global_load_dword v57, v[40:41], off
	global_load_dword v58, v[42:43], off
	v_add_u32_e32 v26, s58, v90
	v_ashrrev_i32_e32 v27, 31, v26
	v_lshlrev_b64 v[26:27], 2, v[26:27]
	v_add_u32_e32 v28, s59, v90
	v_add_co_u32_e32 v26, vcc, s6, v26
	v_ashrrev_i32_e32 v29, 31, v28
	v_addc_co_u32_e32 v27, vcc, v94, v27, vcc
	v_lshlrev_b64 v[28:29], 2, v[28:29]
	v_add_u32_e32 v30, s60, v90
	v_add_co_u32_e32 v28, vcc, s6, v28
	v_ashrrev_i32_e32 v31, 31, v30
	v_addc_co_u32_e32 v29, vcc, v94, v29, vcc
	v_lshlrev_b64 v[30:31], 2, v[30:31]
	v_add_u32_e32 v32, s61, v90
	v_add_co_u32_e32 v30, vcc, s6, v30
	v_ashrrev_i32_e32 v33, 31, v32
	v_addc_co_u32_e32 v31, vcc, v94, v31, vcc
	v_lshlrev_b64 v[32:33], 2, v[32:33]
	v_add_u32_e32 v36, s62, v90
	v_add_co_u32_e32 v32, vcc, s6, v32
	v_ashrrev_i32_e32 v37, 31, v36
	v_addc_co_u32_e32 v33, vcc, v94, v33, vcc
	v_lshlrev_b64 v[36:37], 2, v[36:37]
	v_add_u32_e32 v38, s63, v90
	v_add_co_u32_e32 v36, vcc, s6, v36
	v_ashrrev_i32_e32 v39, 31, v38
	v_addc_co_u32_e32 v37, vcc, v94, v37, vcc
	v_lshlrev_b64 v[38:39], 2, v[38:39]
	v_add_u32_e32 v40, s64, v90
	v_add_co_u32_e32 v38, vcc, s6, v38
	v_ashrrev_i32_e32 v41, 31, v40
	v_addc_co_u32_e32 v39, vcc, v94, v39, vcc
	v_lshlrev_b64 v[40:41], 2, v[40:41]
	v_add_u32_e32 v42, s65, v90
	v_add_co_u32_e32 v40, vcc, s6, v40
	v_ashrrev_i32_e32 v43, 31, v42
	v_addc_co_u32_e32 v41, vcc, v94, v41, vcc
	v_lshlrev_b64 v[42:43], 2, v[42:43]
	v_add_co_u32_e32 v42, vcc, s6, v42
	v_addc_co_u32_e32 v43, vcc, v94, v43, vcc
	;; [unrolled: 48-line block ×4, first 2 shown]
	global_load_dword v75, v[26:27], off
	global_load_dword v76, v[28:29], off
	global_load_dword v77, v[30:31], off
	global_load_dword v78, v[32:33], off
	global_load_dword v79, v[36:37], off
	global_load_dword v80, v[38:39], off
	global_load_dword v81, v[40:41], off
	global_load_dword v82, v[42:43], off
	v_add_u32_e32 v26, s81, v90
	v_ashrrev_i32_e32 v27, 31, v26
	v_lshlrev_b64 v[26:27], 2, v[26:27]
	v_add_u32_e32 v28, s82, v90
	v_add_co_u32_e32 v26, vcc, s6, v26
	v_ashrrev_i32_e32 v29, 31, v28
	v_addc_co_u32_e32 v27, vcc, v94, v27, vcc
	v_lshlrev_b64 v[28:29], 2, v[28:29]
	v_add_u32_e32 v30, s83, v90
	v_add_co_u32_e32 v28, vcc, s6, v28
	v_ashrrev_i32_e32 v31, 31, v30
	v_addc_co_u32_e32 v29, vcc, v94, v29, vcc
	;; [unrolled: 5-line block ×5, first 2 shown]
	v_lshlrev_b64 v[38:39], 2, v[38:39]
	v_add_co_u32_e32 v38, vcc, s6, v38
	v_addc_co_u32_e32 v39, vcc, v94, v39, vcc
	global_load_dword v83, v[26:27], off
	global_load_dword v97, v[28:29], off
	;; [unrolled: 1-line block ×6, first 2 shown]
	s_waitcnt vmcnt(54)
	ds_write_b32 v92, v12 offset:2376
	s_waitcnt vmcnt(53)
	ds_write_b32 v92, v20 offset:2640
	;; [unrolled: 2-line block ×7, first 2 shown]
	global_load_dwordx2 v[84:85], v[18:19], off
	ds_read_b64 v[38:39], v93
	ds_read_b64 v[32:33], v93 offset:32
	ds_read_b64 v[30:31], v93 offset:64
	ds_read_b64 v[28:29], v93 offset:96
	ds_read_b64 v[26:27], v93 offset:128
	ds_read_b64 v[24:25], v93 offset:160
	ds_read_b64 v[22:23], v93 offset:192
	ds_read_b64 v[20:21], v93 offset:224
	s_waitcnt vmcnt(48)
	ds_write_b32 v92, v13
	s_waitcnt vmcnt(47)
	ds_write_b32 v92, v34 offset:264
	s_waitcnt vmcnt(46)
	ds_write_b32 v92, v35 offset:528
	s_waitcnt vmcnt(45)
	ds_write_b32 v92, v44 offset:792
	s_waitcnt vmcnt(44)
	ds_write_b32 v92, v45 offset:1056
	s_waitcnt vmcnt(43)
	ds_write_b32 v92, v46 offset:1320
	s_waitcnt vmcnt(42)
	ds_write_b32 v92, v47 offset:1584
	s_waitcnt vmcnt(41)
	ds_write_b32 v92, v48 offset:1848
	s_waitcnt vmcnt(40)
	ds_write_b32 v92, v49 offset:2112
	s_waitcnt vmcnt(39)
	ds_write_b32 v92, v50 offset:2376
	s_waitcnt vmcnt(38)
	ds_write_b32 v92, v51 offset:2640
	s_waitcnt vmcnt(37)
	ds_write_b32 v92, v52 offset:2904
	s_waitcnt vmcnt(36)
	ds_write_b32 v92, v53 offset:3168
	s_waitcnt vmcnt(35)
	ds_write_b32 v92, v54 offset:3432
	s_waitcnt vmcnt(34)
	ds_write_b32 v92, v55 offset:3696
	s_waitcnt vmcnt(33)
	ds_write_b32 v92, v56 offset:3960
	ds_read_b64 v[52:53], v93
	ds_read_b64 v[50:51], v93 offset:32
	ds_read_b64 v[46:47], v93 offset:64
	ds_read_b64 v[44:45], v93 offset:96
	ds_read_b64 v[42:43], v93 offset:128
	ds_read_b64 v[40:41], v93 offset:160
	ds_read_b64 v[36:37], v93 offset:192
	ds_read_b64 v[34:35], v93 offset:224
	s_waitcnt vmcnt(32)
	ds_write_b32 v92, v57
	s_waitcnt vmcnt(31)
	ds_write_b32 v92, v58 offset:264
	s_waitcnt vmcnt(30)
	ds_write_b32 v92, v59 offset:528
	s_waitcnt vmcnt(29)
	ds_write_b32 v92, v60 offset:792
	s_waitcnt vmcnt(28)
	ds_write_b32 v92, v61 offset:1056
	s_waitcnt vmcnt(27)
	ds_write_b32 v92, v62 offset:1320
	s_waitcnt vmcnt(26)
	ds_write_b32 v92, v63 offset:1584
	s_waitcnt vmcnt(25)
	ds_write_b32 v92, v64 offset:1848
	s_waitcnt vmcnt(24)
	ds_write_b32 v92, v65 offset:2112
	s_waitcnt vmcnt(23)
	ds_write_b32 v92, v66 offset:2376
	s_waitcnt vmcnt(22)
	ds_write_b32 v92, v67 offset:2640
	s_waitcnt vmcnt(21)
	ds_write_b32 v92, v68 offset:2904
	s_waitcnt vmcnt(20)
	ds_write_b32 v92, v69 offset:3168
	s_waitcnt vmcnt(19)
	ds_write_b32 v92, v70 offset:3432
	s_waitcnt vmcnt(18)
	ds_write_b32 v92, v71 offset:3696
	s_waitcnt vmcnt(17)
	ds_write_b32 v92, v72 offset:3960
	;; [unrolled: 40-line block ×3, first 2 shown]
	ds_read_b64 v[82:83], v93
	ds_read_b64 v[80:81], v93 offset:32
	ds_read_b64 v[78:79], v93 offset:64
	;; [unrolled: 1-line block ×7, first 2 shown]
	s_waitcnt vmcnt(0)
	v_and_b32_e32 v97, 0x7f800000, v84
	v_accvgpr_read_b32 v1, a13
	v_accvgpr_read_b32 v0, a12
	;; [unrolled: 1-line block ×14, first 2 shown]
	v_cmp_ne_u32_e32 vcc, s86, v97
                                        ; implicit-def: $vgpr97
	s_and_saveexec_b64 s[16:17], vcc
	s_xor_b64 s[16:17], exec, s[16:17]
; %bb.6:                                ;   in Loop: Header=BB125_5 Depth=1
	v_bfe_u32 v97, v84, 16, 1
	v_add3_u32 v97, v84, v97, s87
; %bb.7:                                ;   in Loop: Header=BB125_5 Depth=1
	s_andn2_saveexec_b64 s[16:17], s[16:17]
; %bb.8:                                ;   in Loop: Header=BB125_5 Depth=1
	v_or_b32_e32 v97, 0x10000, v84
	v_cmp_eq_u32_sdwa vcc, v84, v95 src0_sel:WORD_0 src1_sel:DWORD
	v_cndmask_b32_e32 v97, v97, v84, vcc
; %bb.9:                                ;   in Loop: Header=BB125_5 Depth=1
	s_or_b64 exec, exec, s[16:17]
	v_and_b32_e32 v84, 0x7f800000, v85
	v_cmp_ne_u32_e32 vcc, s86, v84
                                        ; implicit-def: $vgpr98
	s_and_saveexec_b64 s[16:17], vcc
	s_xor_b64 s[16:17], exec, s[16:17]
; %bb.10:                               ;   in Loop: Header=BB125_5 Depth=1
	v_bfe_u32 v84, v85, 16, 1
	v_add3_u32 v98, v85, v84, s87
                                        ; implicit-def: $vgpr84_vgpr85
; %bb.11:                               ;   in Loop: Header=BB125_5 Depth=1
	s_andn2_saveexec_b64 s[16:17], s[16:17]
; %bb.12:                               ;   in Loop: Header=BB125_5 Depth=1
	v_or_b32_e32 v84, 0x10000, v85
	v_cmp_eq_u32_sdwa vcc, v85, v95 src0_sel:WORD_0 src1_sel:DWORD
	v_cndmask_b32_e32 v98, v84, v85, vcc
; %bb.13:                               ;   in Loop: Header=BB125_5 Depth=1
	s_or_b64 exec, exec, s[16:17]
	v_mov_b32_e32 v85, s13
	v_add_co_u32_e32 v84, vcc, s12, v18
	v_addc_co_u32_e32 v85, vcc, v19, v85, vcc
	global_load_dwordx2 v[84:85], v[84:85], off
	v_perm_b32 v97, v98, v97, s88
	ds_write_b32 v92, v97
	s_waitcnt vmcnt(0)
	v_and_b32_e32 v97, 0x7f800000, v84
	v_cmp_ne_u32_e32 vcc, s86, v97
                                        ; implicit-def: $vgpr97
	s_and_saveexec_b64 s[16:17], vcc
	s_xor_b64 s[16:17], exec, s[16:17]
; %bb.14:                               ;   in Loop: Header=BB125_5 Depth=1
	v_bfe_u32 v97, v84, 16, 1
	v_add3_u32 v97, v84, v97, s87
; %bb.15:                               ;   in Loop: Header=BB125_5 Depth=1
	s_andn2_saveexec_b64 s[16:17], s[16:17]
; %bb.16:                               ;   in Loop: Header=BB125_5 Depth=1
	v_or_b32_e32 v97, 0x10000, v84
	v_cmp_eq_u32_sdwa vcc, v84, v95 src0_sel:WORD_0 src1_sel:DWORD
	v_cndmask_b32_e32 v97, v97, v84, vcc
; %bb.17:                               ;   in Loop: Header=BB125_5 Depth=1
	s_or_b64 exec, exec, s[16:17]
	v_and_b32_e32 v84, 0x7f800000, v85
	v_cmp_ne_u32_e32 vcc, s86, v84
                                        ; implicit-def: $vgpr98
	s_and_saveexec_b64 s[16:17], vcc
	s_xor_b64 s[16:17], exec, s[16:17]
; %bb.18:                               ;   in Loop: Header=BB125_5 Depth=1
	v_bfe_u32 v84, v85, 16, 1
	v_add3_u32 v98, v85, v84, s87
                                        ; implicit-def: $vgpr84_vgpr85
; %bb.19:                               ;   in Loop: Header=BB125_5 Depth=1
	s_andn2_saveexec_b64 s[16:17], s[16:17]
; %bb.20:                               ;   in Loop: Header=BB125_5 Depth=1
	v_or_b32_e32 v84, 0x10000, v85
	v_cmp_eq_u32_sdwa vcc, v85, v95 src0_sel:WORD_0 src1_sel:DWORD
	v_cndmask_b32_e32 v98, v84, v85, vcc
; %bb.21:                               ;   in Loop: Header=BB125_5 Depth=1
	s_or_b64 exec, exec, s[16:17]
	v_add_u32_e32 v84, s21, v90
	v_ashrrev_i32_e32 v85, 31, v84
	v_lshlrev_b64 v[84:85], 3, v[84:85]
	v_mov_b32_e32 v99, s18
	v_add_co_u32_e32 v84, vcc, s14, v84
	v_addc_co_u32_e32 v85, vcc, v99, v85, vcc
	global_load_dwordx2 v[84:85], v[84:85], off
	v_perm_b32 v97, v98, v97, s88
	ds_write_b32 v92, v97 offset:264
	s_waitcnt vmcnt(0)
	v_and_b32_e32 v97, 0x7f800000, v84
	v_cmp_ne_u32_e32 vcc, s86, v97
                                        ; implicit-def: $vgpr97
	s_and_saveexec_b64 s[16:17], vcc
	s_xor_b64 s[16:17], exec, s[16:17]
; %bb.22:                               ;   in Loop: Header=BB125_5 Depth=1
	v_bfe_u32 v97, v84, 16, 1
	v_add3_u32 v97, v84, v97, s87
; %bb.23:                               ;   in Loop: Header=BB125_5 Depth=1
	s_andn2_saveexec_b64 s[16:17], s[16:17]
; %bb.24:                               ;   in Loop: Header=BB125_5 Depth=1
	v_or_b32_e32 v97, 0x10000, v84
	v_cmp_eq_u32_sdwa vcc, v84, v95 src0_sel:WORD_0 src1_sel:DWORD
	v_cndmask_b32_e32 v97, v97, v84, vcc
; %bb.25:                               ;   in Loop: Header=BB125_5 Depth=1
	s_or_b64 exec, exec, s[16:17]
	v_and_b32_e32 v84, 0x7f800000, v85
	v_cmp_ne_u32_e32 vcc, s86, v84
                                        ; implicit-def: $vgpr98
	s_and_saveexec_b64 s[16:17], vcc
	s_xor_b64 s[16:17], exec, s[16:17]
; %bb.26:                               ;   in Loop: Header=BB125_5 Depth=1
	v_bfe_u32 v84, v85, 16, 1
	v_add3_u32 v98, v85, v84, s87
                                        ; implicit-def: $vgpr84_vgpr85
; %bb.27:                               ;   in Loop: Header=BB125_5 Depth=1
	s_andn2_saveexec_b64 s[16:17], s[16:17]
; %bb.28:                               ;   in Loop: Header=BB125_5 Depth=1
	v_or_b32_e32 v84, 0x10000, v85
	v_cmp_eq_u32_sdwa vcc, v85, v95 src0_sel:WORD_0 src1_sel:DWORD
	v_cndmask_b32_e32 v98, v84, v85, vcc
; %bb.29:                               ;   in Loop: Header=BB125_5 Depth=1
	s_or_b64 exec, exec, s[16:17]
	v_add_u32_e32 v84, s22, v90
	v_ashrrev_i32_e32 v85, 31, v84
	v_lshlrev_b64 v[84:85], 3, v[84:85]
	v_mov_b32_e32 v99, s18
	v_add_co_u32_e32 v84, vcc, s14, v84
	v_addc_co_u32_e32 v85, vcc, v99, v85, vcc
	global_load_dwordx2 v[84:85], v[84:85], off
	v_perm_b32 v97, v98, v97, s88
	ds_write_b32 v92, v97 offset:528
	s_waitcnt vmcnt(0)
	v_and_b32_e32 v97, 0x7f800000, v84
	v_cmp_ne_u32_e32 vcc, s86, v97
                                        ; implicit-def: $vgpr97
	s_and_saveexec_b64 s[16:17], vcc
	s_xor_b64 s[16:17], exec, s[16:17]
; %bb.30:                               ;   in Loop: Header=BB125_5 Depth=1
	v_bfe_u32 v97, v84, 16, 1
	v_add3_u32 v97, v84, v97, s87
; %bb.31:                               ;   in Loop: Header=BB125_5 Depth=1
	s_andn2_saveexec_b64 s[16:17], s[16:17]
; %bb.32:                               ;   in Loop: Header=BB125_5 Depth=1
	v_or_b32_e32 v97, 0x10000, v84
	v_cmp_eq_u32_sdwa vcc, v84, v95 src0_sel:WORD_0 src1_sel:DWORD
	v_cndmask_b32_e32 v97, v97, v84, vcc
; %bb.33:                               ;   in Loop: Header=BB125_5 Depth=1
	s_or_b64 exec, exec, s[16:17]
	v_and_b32_e32 v84, 0x7f800000, v85
	v_cmp_ne_u32_e32 vcc, s86, v84
                                        ; implicit-def: $vgpr98
	s_and_saveexec_b64 s[16:17], vcc
	s_xor_b64 s[16:17], exec, s[16:17]
; %bb.34:                               ;   in Loop: Header=BB125_5 Depth=1
	v_bfe_u32 v84, v85, 16, 1
	v_add3_u32 v98, v85, v84, s87
                                        ; implicit-def: $vgpr84_vgpr85
; %bb.35:                               ;   in Loop: Header=BB125_5 Depth=1
	s_andn2_saveexec_b64 s[16:17], s[16:17]
	s_cbranch_execz .LBB125_4
; %bb.36:                               ;   in Loop: Header=BB125_5 Depth=1
	v_or_b32_e32 v84, 0x10000, v85
	v_cmp_eq_u32_sdwa vcc, v85, v95 src0_sel:WORD_0 src1_sel:DWORD
	v_cndmask_b32_e32 v98, v84, v85, vcc
	s_branch .LBB125_4
.LBB125_37:
	s_or_b64 exec, exec, s[0:1]
.LBB125_38:
	s_or_b64 exec, exec, s[24:25]
	v_lshlrev_b32_e32 v0, 2, v88
	v_or_b32_e32 v2, 12, v87
	v_add3_u32 v0, 0, v91, v0
	v_and_b32_e32 v1, 0x3f0, v87
	v_and_b32_e32 v2, 0x3fc, v2
	s_mul_hi_i32 s1, s19, s8
	s_mul_i32 s0, s19, s8
	v_add_u32_e32 v1, v0, v1
	v_add_u32_e32 v0, v0, v2
	s_lshl_b64 s[0:1], s[0:1], 2
	ds_write2_b32 v1, a12, a13 offset1:1
	ds_write_b32 v1, a14 offset:8
	ds_write_b32 v0, a15
	ds_write2_b32 v1, a8, a9 offset0:16 offset1:17
	ds_write_b32 v1, a10 offset:72
	ds_write_b32 v0, a11 offset:64
	ds_write2_b32 v1, a4, a5 offset0:32 offset1:33
	ds_write_b32 v1, a6 offset:136
	ds_write_b32 v0, a7 offset:128
	ds_write2_b32 v1, a0, a1 offset0:48 offset1:49
	ds_write_b32 v1, a2 offset:200
	ds_write_b32 v0, a3 offset:192
	v_mul_u32_u24_e32 v0, 0x108, v86
	s_waitcnt lgkmcnt(0)
	s_add_u32 s4, s10, s0
	s_mul_i32 s0, s7, s15
	v_add3_u32 v6, 0, v89, v0
	s_addc_u32 s5, s11, s1
	ds_read2_b32 v[0:1], v6 offset1:66
	s_ashr_i32 s1, s0, 31
	s_lshl_b64 s[0:1], s[0:1], 2
	v_mul_lo_u32 v2, v86, s2
	s_add_u32 s0, s4, s0
	v_add3_u32 v2, s3, v87, v2
	v_mov_b32_e32 v3, 0
	s_addc_u32 s1, s5, s1
	v_lshlrev_b64 v[4:5], 2, v[2:3]
	v_mov_b32_e32 v7, s1
	v_add_co_u32_e32 v4, vcc, s0, v4
	s_waitcnt lgkmcnt(0)
	v_add_f32_e32 v0, 0, v0
	v_addc_co_u32_e32 v5, vcc, v7, v5, vcc
	v_add_u32_e32 v2, s2, v2
	global_store_dword v[4:5], v0, off
	v_add_f32_e32 v7, 0, v1
	v_lshlrev_b64 v[0:1], 2, v[2:3]
	ds_read2_b32 v[4:5], v6 offset0:132 offset1:198
	v_mov_b32_e32 v8, s1
	v_add_co_u32_e32 v0, vcc, s0, v0
	v_addc_co_u32_e32 v1, vcc, v8, v1, vcc
	v_add_u32_e32 v2, s2, v2
	global_store_dword v[0:1], v7, off
	v_lshlrev_b64 v[0:1], 2, v[2:3]
	v_mov_b32_e32 v6, s1
	v_add_co_u32_e32 v0, vcc, s0, v0
	s_waitcnt lgkmcnt(0)
	v_add_f32_e32 v4, 0, v4
	v_addc_co_u32_e32 v1, vcc, v6, v1, vcc
	v_add_u32_e32 v2, s2, v2
	global_store_dword v[0:1], v4, off
	v_lshlrev_b64 v[0:1], 2, v[2:3]
	v_mov_b32_e32 v2, s1
	v_add_co_u32_e32 v0, vcc, s0, v0
	v_add_f32_e32 v4, 0, v5
	v_addc_co_u32_e32 v1, vcc, v2, v1, vcc
	global_store_dword v[0:1], v4, off
	s_endpgm
	.section	.rodata,"a",@progbits
	.p2align	6, 0x0
	.amdhsa_kernel _ZL9mul_mat_fI15__hip_bfloat162Li64ELi4ELi1ELb0EEvPKT_PKfPKiPfiiiiiiiiiiiiiiii
		.amdhsa_group_segment_fixed_size 0
		.amdhsa_private_segment_fixed_size 0
		.amdhsa_kernarg_size 96
		.amdhsa_user_sgpr_count 6
		.amdhsa_user_sgpr_private_segment_buffer 1
		.amdhsa_user_sgpr_dispatch_ptr 0
		.amdhsa_user_sgpr_queue_ptr 0
		.amdhsa_user_sgpr_kernarg_segment_ptr 1
		.amdhsa_user_sgpr_dispatch_id 0
		.amdhsa_user_sgpr_flat_scratch_init 0
		.amdhsa_user_sgpr_kernarg_preload_length 0
		.amdhsa_user_sgpr_kernarg_preload_offset 0
		.amdhsa_user_sgpr_private_segment_size 0
		.amdhsa_uses_dynamic_stack 0
		.amdhsa_system_sgpr_private_segment_wavefront_offset 0
		.amdhsa_system_sgpr_workgroup_id_x 1
		.amdhsa_system_sgpr_workgroup_id_y 1
		.amdhsa_system_sgpr_workgroup_id_z 1
		.amdhsa_system_sgpr_workgroup_info 0
		.amdhsa_system_vgpr_workitem_id 1
		.amdhsa_next_free_vgpr 128
		.amdhsa_next_free_sgpr 89
		.amdhsa_accum_offset 104
		.amdhsa_reserve_vcc 1
		.amdhsa_reserve_flat_scratch 0
		.amdhsa_float_round_mode_32 0
		.amdhsa_float_round_mode_16_64 0
		.amdhsa_float_denorm_mode_32 3
		.amdhsa_float_denorm_mode_16_64 3
		.amdhsa_dx10_clamp 1
		.amdhsa_ieee_mode 1
		.amdhsa_fp16_overflow 0
		.amdhsa_tg_split 0
		.amdhsa_exception_fp_ieee_invalid_op 0
		.amdhsa_exception_fp_denorm_src 0
		.amdhsa_exception_fp_ieee_div_zero 0
		.amdhsa_exception_fp_ieee_overflow 0
		.amdhsa_exception_fp_ieee_underflow 0
		.amdhsa_exception_fp_ieee_inexact 0
		.amdhsa_exception_int_div_zero 0
	.end_amdhsa_kernel
	.section	.text._ZL9mul_mat_fI15__hip_bfloat162Li64ELi4ELi1ELb0EEvPKT_PKfPKiPfiiiiiiiiiiiiiiii,"axG",@progbits,_ZL9mul_mat_fI15__hip_bfloat162Li64ELi4ELi1ELb0EEvPKT_PKfPKiPfiiiiiiiiiiiiiiii,comdat
.Lfunc_end125:
	.size	_ZL9mul_mat_fI15__hip_bfloat162Li64ELi4ELi1ELb0EEvPKT_PKfPKiPfiiiiiiiiiiiiiiii, .Lfunc_end125-_ZL9mul_mat_fI15__hip_bfloat162Li64ELi4ELi1ELb0EEvPKT_PKfPKiPfiiiiiiiiiiiiiiii
                                        ; -- End function
	.section	.AMDGPU.csdata,"",@progbits
; Kernel info:
; codeLenInByte = 5988
; NumSgprs: 93
; NumVgprs: 102
; NumAgprs: 24
; TotalNumVgprs: 128
; ScratchSize: 0
; MemoryBound: 0
; FloatMode: 240
; IeeeMode: 1
; LDSByteSize: 0 bytes/workgroup (compile time only)
; SGPRBlocks: 11
; VGPRBlocks: 15
; NumSGPRsForWavesPerEU: 93
; NumVGPRsForWavesPerEU: 128
; AccumOffset: 104
; Occupancy: 4
; WaveLimiterHint : 0
; COMPUTE_PGM_RSRC2:SCRATCH_EN: 0
; COMPUTE_PGM_RSRC2:USER_SGPR: 6
; COMPUTE_PGM_RSRC2:TRAP_HANDLER: 0
; COMPUTE_PGM_RSRC2:TGID_X_EN: 1
; COMPUTE_PGM_RSRC2:TGID_Y_EN: 1
; COMPUTE_PGM_RSRC2:TGID_Z_EN: 1
; COMPUTE_PGM_RSRC2:TIDIG_COMP_CNT: 1
; COMPUTE_PGM_RSRC3_GFX90A:ACCUM_OFFSET: 25
; COMPUTE_PGM_RSRC3_GFX90A:TG_SPLIT: 0
	.section	.text._ZL13mul_mat_f_idsI15__hip_bfloat162Li64ELi4ELi2EEvPKT_PKfPKiS7_S7_Pfiiiiiiiiiiiiii15HIP_vector_typeIjLj3EESA_,"axG",@progbits,_ZL13mul_mat_f_idsI15__hip_bfloat162Li64ELi4ELi2EEvPKT_PKfPKiS7_S7_Pfiiiiiiiiiiiiii15HIP_vector_typeIjLj3EESA_,comdat
	.globl	_ZL13mul_mat_f_idsI15__hip_bfloat162Li64ELi4ELi2EEvPKT_PKfPKiS7_S7_Pfiiiiiiiiiiiiii15HIP_vector_typeIjLj3EESA_ ; -- Begin function _ZL13mul_mat_f_idsI15__hip_bfloat162Li64ELi4ELi2EEvPKT_PKfPKiS7_S7_Pfiiiiiiiiiiiiii15HIP_vector_typeIjLj3EESA_
	.p2align	8
	.type	_ZL13mul_mat_f_idsI15__hip_bfloat162Li64ELi4ELi2EEvPKT_PKfPKiS7_S7_Pfiiiiiiiiiiiiii15HIP_vector_typeIjLj3EESA_,@function
_ZL13mul_mat_f_idsI15__hip_bfloat162Li64ELi4ELi2EEvPKT_PKfPKiS7_S7_Pfiiiiiiiiiiiiii15HIP_vector_typeIjLj3EESA_: ; @_ZL13mul_mat_f_idsI15__hip_bfloat162Li64ELi4ELi2EEvPKT_PKfPKiS7_S7_Pfiiiiiiiiiiiiii15HIP_vector_typeIjLj3EESA_
; %bb.0:
	s_load_dwordx2 s[0:1], s[4:5], 0x20
	s_mov_b32 s34, s7
	s_ashr_i32 s35, s7, 31
	s_lshl_b64 s[2:3], s[34:35], 2
	s_waitcnt lgkmcnt(0)
	s_add_u32 s0, s0, s2
	s_addc_u32 s1, s1, s3
	s_load_dwordx2 s[28:29], s[0:1], 0x0
	s_waitcnt lgkmcnt(0)
	s_sub_i32 s33, s29, s28
	s_add_i32 s0, s33, 3
	s_ashr_i32 s1, s0, 31
	s_lshr_b32 s1, s1, 30
	s_add_i32 s0, s0, s1
	s_ashr_i32 s0, s0, 2
	s_cmp_ge_i32 s8, s0
	s_cbranch_scc1 .LBB126_57
; %bb.1:
	v_bfe_u32 v74, v0, 10, 10
	v_lshlrev_b32_e32 v76, 6, v74
	v_and_b32_e32 v75, 0x3ff, v0
	s_load_dwordx4 s[12:15], s[4:5], 0x30
	s_load_dwordx2 s[20:21], s[4:5], 0x40
	s_load_dwordx4 s[0:3], s[4:5], 0x4c
	s_load_dwordx4 s[16:19], s[4:5], 0x68
	s_load_dwordx2 s[24:25], s[4:5], 0x78
	v_add_u32_e32 v78, v76, v75
	s_ashr_i32 s29, s28, 31
	s_waitcnt lgkmcnt(0)
	v_cmp_le_i32_e32 vcc, s12, v78
	v_and_b32_e32 v77, 15, v75
                                        ; implicit-def: $sgpr3
	s_and_saveexec_b64 s[10:11], vcc
	s_xor_b64 s[10:11], exec, s[10:11]
; %bb.2:
	v_and_b32_e32 v77, 15, v75
	s_mov_b32 s3, 0
                                        ; implicit-def: $vgpr78
; %bb.3:
	s_or_saveexec_b64 s[30:31], s[10:11]
	s_load_dwordx2 s[10:11], s[4:5], 0x18
                                        ; implicit-def: $vgpr85 : SGPR spill to VGPR lane
	s_lshl_b32 s22, s6, 6
	s_lshl_b32 s26, s8, 2
	v_accvgpr_write_b32 a0, s3
	v_accvgpr_write_b32 a1, s3
	s_waitcnt lgkmcnt(0)
	v_writelane_b32 v85, s10, 0
	v_writelane_b32 v85, s11, 1
	s_load_dwordx2 s[10:11], s[4:5], 0x28
	v_accvgpr_write_b32 a2, s3
	v_accvgpr_write_b32 a3, s3
	;; [unrolled: 1-line block ×4, first 2 shown]
	s_waitcnt lgkmcnt(0)
	v_writelane_b32 v85, s10, 2
	v_writelane_b32 v85, s11, 3
	v_accvgpr_write_b32 a6, s3
	v_accvgpr_write_b32 a7, s3
	;; [unrolled: 1-line block ×10, first 2 shown]
	v_writelane_b32 v85, s30, 4
	v_writelane_b32 v85, s31, 5
	s_xor_b64 exec, exec, s[30:31]
	s_cbranch_execz .LBB126_51
; %bb.4:
	v_writelane_b32 v85, s24, 6
	v_writelane_b32 v85, s25, 7
	s_load_dwordx4 s[8:11], s[4:5], 0x0
	s_load_dwordx2 s[6:7], s[4:5], 0x10
	s_mul_i32 s4, s34, s0
	v_writelane_b32 v85, s22, 8
	s_mul_i32 s22, s22, s15
	s_ashr_i32 s5, s4, 31
	s_ashr_i32 s23, s22, 31
	s_lshl_b64 s[22:23], s[22:23], 2
	s_lshl_b64 s[4:5], s[4:5], 2
	s_add_u32 s3, s4, s22
	s_addc_u32 s22, s5, s23
	s_waitcnt lgkmcnt(0)
	s_add_u32 s0, s3, s8
	s_addc_u32 s23, s22, s9
	v_writelane_b32 v85, s28, 9
	s_lshl_b64 s[4:5], s[28:29], 2
	s_add_u32 s24, s6, s4
	s_addc_u32 s25, s7, s5
	s_movk_i32 s4, 0x1080
	s_cmp_lt_i32 s26, s33
	v_mad_u32_u24 v0, v74, s4, 0
	s_cselect_b64 s[4:5], -1, 0
	s_ashr_i32 s27, s26, 31
	s_lshl_b64 s[6:7], s[26:27], 2
	s_add_u32 s34, s24, s6
	s_addc_u32 s35, s25, s7
	s_or_b32 s6, s26, 1
	v_lshrrev_b32_e32 v3, 1, v75
	s_cmp_lt_i32 s6, s33
	v_lshlrev_b32_e32 v1, 2, v75
	v_mul_u32_u24_e32 v2, 0x108, v77
	v_and_b32_e32 v3, 0x1f8, v3
	s_cselect_b64 s[36:37], -1, 0
	s_or_b32 s6, s26, 2
	v_writelane_b32 v85, s29, 10
	v_add_u32_e32 v79, v0, v1
	v_add3_u32 v80, v0, v2, v3
	s_cmp_lt_i32 s6, s33
	s_mov_b32 s6, s26
	v_lshlrev_b32_e32 v0, 8, v74
	v_writelane_b32 v85, s6, 11
	v_mov_b32_e32 v2, s22
	v_add_co_u32_e32 v0, vcc, s3, v0
	s_cselect_b64 s[38:39], -1, 0
	v_writelane_b32 v85, s7, 12
	s_or_b32 s6, s26, 3
	v_addc_co_u32_e32 v2, vcc, 0, v2, vcc
	s_cmp_lt_i32 s6, s33
	v_add_co_u32_e32 v0, vcc, v0, v1
	s_cselect_b64 s[40:41], -1, 0
	s_ashr_i32 s7, s15, 31
	s_mov_b32 s6, s15
	v_addc_co_u32_e32 v1, vcc, 0, v2, vcc
	s_lshl_b64 s[42:43], s[6:7], 2
	v_mov_b32_e32 v2, s9
	v_add_co_u32_e32 v0, vcc, s8, v0
	v_addc_co_u32_e32 v1, vcc, v2, v1, vcc
	s_lshl_b32 s7, s15, 1
	s_mul_i32 s46, s15, 3
	s_lshl_b32 s47, s15, 2
	s_mul_i32 s48, s15, 5
	s_mul_i32 s49, s15, 6
	;; [unrolled: 1-line block ×3, first 2 shown]
	s_lshl_b32 s51, s15, 3
	s_mul_i32 s52, s15, 9
	s_mul_i32 s53, s15, 10
	;; [unrolled: 1-line block ×7, first 2 shown]
	s_lshl_b32 s59, s15, 4
	s_mul_i32 s60, s15, 17
	s_mul_i32 s61, s15, 18
	;; [unrolled: 1-line block ×15, first 2 shown]
	s_lshl_b32 s75, s15, 5
	s_mul_i32 s76, s15, 33
	s_mul_i32 s77, s15, 34
	;; [unrolled: 1-line block ×15, first 2 shown]
	v_mov_b32_e32 v81, s23
	s_mul_i32 s91, s15, 48
	v_mov_b32_e32 v82, 0
	v_accvgpr_write_b32 a15, 0
	v_accvgpr_write_b32 a14, 0
	v_accvgpr_write_b32 a13, 0
	v_accvgpr_write_b32 a12, 0
	v_accvgpr_write_b32 a11, 0
	v_accvgpr_write_b32 a10, 0
	v_accvgpr_write_b32 a9, 0
	v_accvgpr_write_b32 a8, 0
	v_accvgpr_write_b32 a7, 0
	v_accvgpr_write_b32 a6, 0
	v_accvgpr_write_b32 a5, 0
	v_accvgpr_write_b32 a4, 0
	v_accvgpr_write_b32 a3, 0
	v_accvgpr_write_b32 a2, 0
	v_accvgpr_write_b32 a1, 0
	v_accvgpr_write_b32 a0, 0
	v_mov_b32_e32 v83, s43
	s_mul_i32 s43, s15, 49
	s_mul_i32 s92, s15, 50
	;; [unrolled: 1-line block ×15, first 2 shown]
	s_mov_b32 s6, 0x7f800000
	s_movk_i32 s26, 0x7fff
	s_mov_b32 s27, 0x7060302
	s_mov_b64 s[8:9], 0
	s_branch .LBB126_6
.LBB126_5:                              ;   in Loop: Header=BB126_6 Depth=1
	s_or_b64 exec, exec, s[44:45]
	v_perm_b32 v66, v67, v66, s27
	v_add_u32_e32 v67, 0x200, v79
	ds_write2_b32 v67, v66, v82 offset0:70 offset1:136
	v_add_u32_e32 v66, 0x400, v79
	ds_write2_b32 v66, v82, v82 offset0:74 offset1:140
	;; [unrolled: 2-line block ×6, first 2 shown]
	ds_write_b32 v79, v82 offset:3960
	ds_read2_b64 v[66:69], v80 offset1:4
	s_waitcnt lgkmcnt(0)
	v_mfma_f32_16x16x16bf16_1k a[0:3], v[16:17], v[66:67], a[0:3]
	v_add_co_u32_e32 v0, vcc, 0x200, v0
	v_add_u32_e32 v78, 0x80, v78
	v_addc_co_u32_e32 v1, vcc, 0, v1, vcc
	v_cmp_le_i32_e32 vcc, s12, v78
	s_or_b64 s[8:9], vcc, s[8:9]
	v_mfma_f32_16x16x16bf16_1k a[4:7], v[34:35], v[66:67], a[4:7]
	v_mfma_f32_16x16x16bf16_1k a[8:11], v[48:49], v[66:67], a[8:11]
	;; [unrolled: 1-line block ×4, first 2 shown]
	ds_read2_b64 v[14:17], v80 offset0:8 offset1:12
	v_mfma_f32_16x16x16bf16_1k a[4:7], v[30:31], v[68:69], a[4:7]
	v_mfma_f32_16x16x16bf16_1k a[8:11], v[46:47], v[68:69], a[8:11]
	v_mfma_f32_16x16x16bf16_1k a[12:15], v[62:63], v[68:69], a[12:15]
	s_waitcnt lgkmcnt(0)
	v_mfma_f32_16x16x16bf16_1k a[0:3], v[10:11], v[14:15], a[0:3]
	v_mfma_f32_16x16x16bf16_1k a[4:7], v[28:29], v[14:15], a[4:7]
	;; [unrolled: 1-line block ×8, first 2 shown]
	ds_read2_b64 v[14:17], v80 offset0:16 offset1:20
	s_waitcnt lgkmcnt(0)
	v_mfma_f32_16x16x16bf16_1k a[0:3], v[12:13], v[14:15], a[0:3]
	v_mfma_f32_16x16x16bf16_1k a[4:7], v[24:25], v[14:15], a[4:7]
	;; [unrolled: 1-line block ×5, first 2 shown]
	ds_read2_b64 v[6:9], v80 offset0:24 offset1:28
	v_mfma_f32_16x16x16bf16_1k a[4:7], v[22:23], v[16:17], a[4:7]
	v_mfma_f32_16x16x16bf16_1k a[8:11], v[38:39], v[16:17], a[8:11]
	;; [unrolled: 1-line block ×3, first 2 shown]
	s_waitcnt lgkmcnt(0)
	v_mfma_f32_16x16x16bf16_1k a[0:3], v[4:5], v[6:7], a[0:3]
	v_mfma_f32_16x16x16bf16_1k a[4:7], v[20:21], v[6:7], a[4:7]
	v_mfma_f32_16x16x16bf16_1k a[8:11], v[36:37], v[6:7], a[8:11]
	v_mfma_f32_16x16x16bf16_1k a[12:15], v[52:53], v[6:7], a[12:15]
	v_mfma_f32_16x16x16bf16_1k a[0:3], v[2:3], v[8:9], a[0:3]
	v_mfma_f32_16x16x16bf16_1k a[4:7], v[18:19], v[8:9], a[4:7]
	v_mfma_f32_16x16x16bf16_1k a[8:11], v[32:33], v[8:9], a[8:11]
	v_mfma_f32_16x16x16bf16_1k a[12:15], v[50:51], v[8:9], a[12:15]
	s_andn2_b64 exec, exec, s[8:9]
	s_cbranch_execz .LBB126_50
.LBB126_6:                              ; =>This Inner Loop Header: Depth=1
	v_add_co_u32_e32 v2, vcc, s42, v0
	v_addc_co_u32_e32 v3, vcc, v1, v83, vcc
	global_load_dword v18, v[0:1], off
	global_load_dword v19, v[2:3], off
	v_add_u32_e32 v2, s7, v78
	v_ashrrev_i32_e32 v3, 31, v2
	v_lshlrev_b64 v[2:3], 2, v[2:3]
	v_add_u32_e32 v4, s46, v78
	v_add_co_u32_e32 v2, vcc, s0, v2
	v_ashrrev_i32_e32 v5, 31, v4
	v_addc_co_u32_e32 v3, vcc, v81, v3, vcc
	v_lshlrev_b64 v[4:5], 2, v[4:5]
	v_add_u32_e32 v6, s47, v78
	v_add_co_u32_e32 v4, vcc, s0, v4
	v_ashrrev_i32_e32 v7, 31, v6
	v_addc_co_u32_e32 v5, vcc, v81, v5, vcc
	;; [unrolled: 5-line block ×7, first 2 shown]
	v_lshlrev_b64 v[16:17], 2, v[16:17]
	v_add_co_u32_e32 v16, vcc, s0, v16
	v_addc_co_u32_e32 v17, vcc, v81, v17, vcc
	global_load_dword v20, v[2:3], off
	global_load_dword v21, v[4:5], off
	;; [unrolled: 1-line block ×6, first 2 shown]
	s_nop 0
	global_load_dword v14, v[14:15], off
	s_nop 0
	global_load_dword v15, v[16:17], off
	v_add_u32_e32 v2, s53, v78
	v_ashrrev_i32_e32 v3, 31, v2
	v_lshlrev_b64 v[2:3], 2, v[2:3]
	v_add_u32_e32 v4, s54, v78
	v_add_co_u32_e32 v2, vcc, s0, v2
	v_ashrrev_i32_e32 v5, 31, v4
	v_addc_co_u32_e32 v3, vcc, v81, v3, vcc
	v_lshlrev_b64 v[4:5], 2, v[4:5]
	v_add_u32_e32 v6, s55, v78
	v_add_co_u32_e32 v4, vcc, s0, v4
	v_ashrrev_i32_e32 v7, 31, v6
	v_addc_co_u32_e32 v5, vcc, v81, v5, vcc
	v_lshlrev_b64 v[6:7], 2, v[6:7]
	v_add_u32_e32 v8, s56, v78
	v_add_co_u32_e32 v6, vcc, s0, v6
	v_ashrrev_i32_e32 v9, 31, v8
	v_addc_co_u32_e32 v7, vcc, v81, v7, vcc
	v_lshlrev_b64 v[8:9], 2, v[8:9]
	v_add_u32_e32 v10, s57, v78
	v_add_co_u32_e32 v8, vcc, s0, v8
	v_ashrrev_i32_e32 v11, 31, v10
	v_addc_co_u32_e32 v9, vcc, v81, v9, vcc
	v_lshlrev_b64 v[10:11], 2, v[10:11]
	v_add_u32_e32 v12, s58, v78
	v_add_co_u32_e32 v10, vcc, s0, v10
	v_ashrrev_i32_e32 v13, 31, v12
	v_addc_co_u32_e32 v11, vcc, v81, v11, vcc
	v_lshlrev_b64 v[12:13], 2, v[12:13]
	v_add_co_u32_e32 v12, vcc, s0, v12
	v_addc_co_u32_e32 v13, vcc, v81, v13, vcc
	global_load_dword v16, v[2:3], off
	global_load_dword v17, v[4:5], off
	s_nop 0
	global_load_dword v6, v[6:7], off
	s_nop 0
	global_load_dword v7, v[8:9], off
	s_nop 0
	global_load_dword v8, v[10:11], off
	global_load_dword v9, v[12:13], off
	v_add_u32_e32 v2, s59, v78
	v_ashrrev_i32_e32 v3, 31, v2
	v_lshlrev_b64 v[2:3], 2, v[2:3]
	v_add_u32_e32 v4, s60, v78
	v_add_co_u32_e32 v2, vcc, s0, v2
	v_ashrrev_i32_e32 v5, 31, v4
	v_addc_co_u32_e32 v3, vcc, v81, v3, vcc
	v_lshlrev_b64 v[4:5], 2, v[4:5]
	s_waitcnt vmcnt(15)
	ds_write_b32 v79, v18
	s_waitcnt vmcnt(14)
	ds_write_b32 v79, v19 offset:264
	s_waitcnt vmcnt(13)
	ds_write_b32 v79, v20 offset:528
	;; [unrolled: 2-line block ×9, first 2 shown]
	v_add_co_u32_e32 v4, vcc, s0, v4
	v_addc_co_u32_e32 v5, vcc, v81, v5, vcc
	global_load_dword v18, v[2:3], off
	global_load_dword v19, v[4:5], off
	v_add_u32_e32 v2, s61, v78
	v_ashrrev_i32_e32 v3, 31, v2
	v_lshlrev_b64 v[2:3], 2, v[2:3]
	v_add_u32_e32 v4, s62, v78
	v_add_co_u32_e32 v2, vcc, s0, v2
	v_ashrrev_i32_e32 v5, 31, v4
	s_waitcnt vmcnt(7)
	ds_write_b32 v79, v16 offset:2640
	s_waitcnt vmcnt(6)
	ds_write_b32 v79, v17 offset:2904
	;; [unrolled: 2-line block ×6, first 2 shown]
	v_addc_co_u32_e32 v3, vcc, v81, v3, vcc
	v_lshlrev_b64 v[4:5], 2, v[4:5]
	v_add_u32_e32 v6, s63, v78
	v_add_co_u32_e32 v4, vcc, s0, v4
	v_ashrrev_i32_e32 v7, 31, v6
	v_addc_co_u32_e32 v5, vcc, v81, v5, vcc
	v_lshlrev_b64 v[6:7], 2, v[6:7]
	v_add_u32_e32 v8, s64, v78
	v_add_co_u32_e32 v6, vcc, s0, v6
	v_ashrrev_i32_e32 v9, 31, v8
	v_addc_co_u32_e32 v7, vcc, v81, v7, vcc
	v_lshlrev_b64 v[8:9], 2, v[8:9]
	v_add_u32_e32 v10, s65, v78
	v_add_co_u32_e32 v8, vcc, s0, v8
	v_ashrrev_i32_e32 v11, 31, v10
	v_addc_co_u32_e32 v9, vcc, v81, v9, vcc
	v_lshlrev_b64 v[10:11], 2, v[10:11]
	v_add_u32_e32 v12, s66, v78
	v_add_co_u32_e32 v10, vcc, s0, v10
	v_ashrrev_i32_e32 v13, 31, v12
	v_addc_co_u32_e32 v11, vcc, v81, v11, vcc
	v_lshlrev_b64 v[12:13], 2, v[12:13]
	v_add_u32_e32 v14, s67, v78
	v_add_co_u32_e32 v12, vcc, s0, v12
	v_ashrrev_i32_e32 v15, 31, v14
	v_addc_co_u32_e32 v13, vcc, v81, v13, vcc
	v_lshlrev_b64 v[14:15], 2, v[14:15]
	v_add_u32_e32 v16, s68, v78
	v_add_co_u32_e32 v14, vcc, s0, v14
	v_ashrrev_i32_e32 v17, 31, v16
	v_addc_co_u32_e32 v15, vcc, v81, v15, vcc
	v_lshlrev_b64 v[16:17], 2, v[16:17]
	v_add_co_u32_e32 v16, vcc, s0, v16
	v_addc_co_u32_e32 v17, vcc, v81, v17, vcc
	global_load_dword v24, v[2:3], off
	global_load_dword v25, v[4:5], off
	global_load_dword v26, v[6:7], off
	global_load_dword v27, v[8:9], off
	global_load_dword v28, v[10:11], off
	global_load_dword v29, v[12:13], off
	global_load_dword v30, v[14:15], off
	global_load_dword v31, v[16:17], off
	v_add_u32_e32 v2, s69, v78
	v_ashrrev_i32_e32 v3, 31, v2
	v_lshlrev_b64 v[2:3], 2, v[2:3]
	v_add_u32_e32 v4, s70, v78
	v_add_co_u32_e32 v2, vcc, s0, v2
	v_ashrrev_i32_e32 v5, 31, v4
	v_addc_co_u32_e32 v3, vcc, v81, v3, vcc
	v_lshlrev_b64 v[4:5], 2, v[4:5]
	v_add_u32_e32 v6, s71, v78
	v_add_co_u32_e32 v4, vcc, s0, v4
	v_ashrrev_i32_e32 v7, 31, v6
	v_addc_co_u32_e32 v5, vcc, v81, v5, vcc
	v_lshlrev_b64 v[6:7], 2, v[6:7]
	v_add_u32_e32 v8, s72, v78
	v_add_co_u32_e32 v6, vcc, s0, v6
	v_ashrrev_i32_e32 v9, 31, v8
	v_addc_co_u32_e32 v7, vcc, v81, v7, vcc
	v_lshlrev_b64 v[8:9], 2, v[8:9]
	v_add_u32_e32 v10, s73, v78
	v_add_co_u32_e32 v8, vcc, s0, v8
	v_ashrrev_i32_e32 v11, 31, v10
	v_addc_co_u32_e32 v9, vcc, v81, v9, vcc
	v_lshlrev_b64 v[10:11], 2, v[10:11]
	v_add_u32_e32 v12, s74, v78
	v_add_co_u32_e32 v10, vcc, s0, v10
	v_ashrrev_i32_e32 v13, 31, v12
	v_addc_co_u32_e32 v11, vcc, v81, v11, vcc
	v_lshlrev_b64 v[12:13], 2, v[12:13]
	v_add_u32_e32 v14, s75, v78
	v_add_co_u32_e32 v12, vcc, s0, v12
	v_ashrrev_i32_e32 v15, 31, v14
	v_addc_co_u32_e32 v13, vcc, v81, v13, vcc
	v_lshlrev_b64 v[14:15], 2, v[14:15]
	v_add_u32_e32 v16, s76, v78
	v_add_co_u32_e32 v14, vcc, s0, v14
	v_ashrrev_i32_e32 v17, 31, v16
	v_addc_co_u32_e32 v15, vcc, v81, v15, vcc
	v_lshlrev_b64 v[16:17], 2, v[16:17]
	v_add_co_u32_e32 v16, vcc, s0, v16
	v_addc_co_u32_e32 v17, vcc, v81, v17, vcc
	global_load_dword v32, v[2:3], off
	global_load_dword v33, v[4:5], off
	global_load_dword v34, v[6:7], off
	global_load_dword v35, v[8:9], off
	global_load_dword v36, v[10:11], off
	global_load_dword v37, v[12:13], off
	global_load_dword v38, v[14:15], off
	global_load_dword v39, v[16:17], off
	v_add_u32_e32 v2, s77, v78
	v_ashrrev_i32_e32 v3, 31, v2
	v_lshlrev_b64 v[2:3], 2, v[2:3]
	v_add_u32_e32 v4, s78, v78
	v_add_co_u32_e32 v2, vcc, s0, v2
	v_ashrrev_i32_e32 v5, 31, v4
	;; [unrolled: 48-line block ×5, first 2 shown]
	v_addc_co_u32_e32 v3, vcc, v81, v3, vcc
	v_lshlrev_b64 v[4:5], 2, v[4:5]
	v_add_u32_e32 v6, s3, v78
	v_add_co_u32_e32 v4, vcc, s0, v4
	v_ashrrev_i32_e32 v7, 31, v6
	v_addc_co_u32_e32 v5, vcc, v81, v5, vcc
	v_lshlrev_b64 v[6:7], 2, v[6:7]
	v_add_co_u32_e32 v8, vcc, s0, v6
	v_add_u32_e32 v6, s30, v78
	v_addc_co_u32_e32 v9, vcc, v81, v7, vcc
	v_ashrrev_i32_e32 v7, 31, v6
	v_lshlrev_b64 v[6:7], 2, v[6:7]
	v_add_co_u32_e32 v12, vcc, s0, v6
	v_add_u32_e32 v6, s31, v78
	v_addc_co_u32_e32 v13, vcc, v81, v7, vcc
	v_ashrrev_i32_e32 v7, 31, v6
	;; [unrolled: 5-line block ×3, first 2 shown]
	v_lshlrev_b64 v[6:7], 2, v[6:7]
	v_add_co_u32_e32 v22, vcc, s0, v6
	v_addc_co_u32_e32 v23, vcc, v81, v7, vcc
	ds_read_b64 v[16:17], v80
	ds_read_b64 v[14:15], v80 offset:32
	ds_read_b64 v[10:11], v80 offset:64
	;; [unrolled: 1-line block ×3, first 2 shown]
	global_load_dword v64, v[2:3], off
	global_load_dword v65, v[4:5], off
	;; [unrolled: 1-line block ×6, first 2 shown]
	ds_read_b64 v[12:13], v80 offset:128
	ds_read_b64 v[8:9], v80 offset:160
	ds_read_b64 v[4:5], v80 offset:192
	ds_read_b64 v[2:3], v80 offset:224
	s_waitcnt vmcnt(47)
	ds_write_b32 v79, v18
	s_waitcnt vmcnt(46)
	ds_write_b32 v79, v19 offset:264
	s_waitcnt vmcnt(45)
	ds_write_b32 v79, v24 offset:528
	s_waitcnt vmcnt(44)
	ds_write_b32 v79, v25 offset:792
	s_waitcnt vmcnt(43)
	ds_write_b32 v79, v26 offset:1056
	s_waitcnt vmcnt(42)
	ds_write_b32 v79, v27 offset:1320
	s_waitcnt vmcnt(41)
	ds_write_b32 v79, v28 offset:1584
	s_waitcnt vmcnt(40)
	ds_write_b32 v79, v29 offset:1848
	s_waitcnt vmcnt(39)
	ds_write_b32 v79, v30 offset:2112
	s_waitcnt vmcnt(38)
	ds_write_b32 v79, v31 offset:2376
	s_waitcnt vmcnt(37)
	ds_write_b32 v79, v32 offset:2640
	s_waitcnt vmcnt(36)
	ds_write_b32 v79, v33 offset:2904
	s_waitcnt vmcnt(35)
	ds_write_b32 v79, v34 offset:3168
	s_waitcnt vmcnt(34)
	ds_write_b32 v79, v35 offset:3432
	s_waitcnt vmcnt(33)
	ds_write_b32 v79, v36 offset:3696
	s_waitcnt vmcnt(32)
	ds_write_b32 v79, v37 offset:3960
	ds_read_b64 v[34:35], v80
	ds_read_b64 v[30:31], v80 offset:32
	ds_read_b64 v[28:29], v80 offset:64
	ds_read_b64 v[26:27], v80 offset:96
	ds_read_b64 v[24:25], v80 offset:128
	ds_read_b64 v[22:23], v80 offset:160
	ds_read_b64 v[20:21], v80 offset:192
	ds_read_b64 v[18:19], v80 offset:224
	s_waitcnt vmcnt(31)
	ds_write_b32 v79, v38
	s_waitcnt vmcnt(30)
	ds_write_b32 v79, v39 offset:264
	s_waitcnt vmcnt(29)
	ds_write_b32 v79, v40 offset:528
	s_waitcnt vmcnt(28)
	ds_write_b32 v79, v41 offset:792
	s_waitcnt vmcnt(27)
	ds_write_b32 v79, v42 offset:1056
	s_waitcnt vmcnt(26)
	ds_write_b32 v79, v43 offset:1320
	s_waitcnt vmcnt(25)
	ds_write_b32 v79, v44 offset:1584
	s_waitcnt vmcnt(24)
	ds_write_b32 v79, v45 offset:1848
	s_waitcnt vmcnt(23)
	ds_write_b32 v79, v46 offset:2112
	s_waitcnt vmcnt(22)
	ds_write_b32 v79, v47 offset:2376
	s_waitcnt vmcnt(21)
	ds_write_b32 v79, v48 offset:2640
	s_waitcnt vmcnt(20)
	ds_write_b32 v79, v49 offset:2904
	s_waitcnt vmcnt(19)
	ds_write_b32 v79, v50 offset:3168
	s_waitcnt vmcnt(18)
	ds_write_b32 v79, v51 offset:3432
	s_waitcnt vmcnt(17)
	ds_write_b32 v79, v52 offset:3696
	s_waitcnt vmcnt(16)
	ds_write_b32 v79, v53 offset:3960
	ds_read_b64 v[48:49], v80
	ds_read_b64 v[46:47], v80 offset:32
	ds_read_b64 v[44:45], v80 offset:64
	ds_read_b64 v[42:43], v80 offset:96
	;; [unrolled: 40-line block ×3, first 2 shown]
	ds_read_b64 v[60:61], v80 offset:128
	ds_read_b64 v[56:57], v80 offset:160
	;; [unrolled: 1-line block ×4, first 2 shown]
	s_andn2_b64 vcc, exec, s[4:5]
	v_mov_b32_e32 v72, 0
	v_mov_b32_e32 v73, 0
	s_cbranch_vccnz .LBB126_9
; %bb.7:                                ;   in Loop: Header=BB126_6 Depth=1
	s_load_dword s44, s[34:35], 0x0
	v_mov_b32_e32 v73, 0
	v_mov_b32_e32 v72, 0
	s_waitcnt lgkmcnt(0)
	s_mul_hi_u32 s45, s44, s16
	s_add_i32 s45, s44, s45
	s_lshr_b32 s45, s45, s17
	s_cmp_ge_i32 s45, s13
	s_cbranch_scc1 .LBB126_9
; %bb.8:                                ;   in Loop: Header=BB126_6 Depth=1
	s_mul_i32 vcc_lo, s45, s18
	s_sub_i32 s44, s44, vcc_lo
	s_mul_i32 s45, s45, s20
	s_mul_i32 s44, s44, s1
	v_add_u32_e32 v66, s45, v78
	v_lshl_add_u32 v66, v66, 1, s44
	v_ashrrev_i32_e32 v67, 31, v66
	v_lshlrev_b64 v[66:67], 2, v[66:67]
	v_mov_b32_e32 v68, s11
	v_add_co_u32_e32 v66, vcc, s10, v66
	v_addc_co_u32_e32 v67, vcc, v68, v67, vcc
	global_load_dwordx2 v[72:73], v[66:67], off
.LBB126_9:                              ;   in Loop: Header=BB126_6 Depth=1
	s_andn2_b64 vcc, exec, s[36:37]
	v_mov_b32_e32 v66, 0
	v_mov_b32_e32 v70, 0
	;; [unrolled: 1-line block ×3, first 2 shown]
	s_cbranch_vccnz .LBB126_12
; %bb.10:                               ;   in Loop: Header=BB126_6 Depth=1
	s_load_dword s44, s[34:35], 0x4
	v_mov_b32_e32 v71, 0
	v_mov_b32_e32 v70, 0
	s_waitcnt lgkmcnt(0)
	s_mul_hi_u32 s45, s44, s16
	s_add_i32 s45, s44, s45
	s_lshr_b32 s45, s45, s17
	s_cmp_ge_i32 s45, s13
	s_cbranch_scc1 .LBB126_12
; %bb.11:                               ;   in Loop: Header=BB126_6 Depth=1
	s_mul_i32 vcc_lo, s45, s18
	s_sub_i32 s44, s44, vcc_lo
	s_mul_i32 s45, s45, s20
	s_mul_i32 s44, s44, s1
	v_add_u32_e32 v67, s45, v78
	v_lshl_add_u32 v68, v67, 1, s44
	v_ashrrev_i32_e32 v69, 31, v68
	v_lshlrev_b64 v[68:69], 2, v[68:69]
	v_mov_b32_e32 v67, s11
	v_add_co_u32_e32 v68, vcc, s10, v68
	v_addc_co_u32_e32 v69, vcc, v67, v69, vcc
	global_load_dwordx2 v[70:71], v[68:69], off
.LBB126_12:                             ;   in Loop: Header=BB126_6 Depth=1
	s_andn2_b64 vcc, exec, s[38:39]
	v_mov_b32_e32 v67, 0
	s_cbranch_vccnz .LBB126_15
; %bb.13:                               ;   in Loop: Header=BB126_6 Depth=1
	s_load_dword s44, s[34:35], 0x8
	v_mov_b32_e32 v67, 0
	v_mov_b32_e32 v66, 0
	s_waitcnt lgkmcnt(0)
	s_mul_hi_u32 s45, s44, s16
	s_add_i32 s45, s44, s45
	s_lshr_b32 s45, s45, s17
	s_cmp_ge_i32 s45, s13
	s_cbranch_scc1 .LBB126_15
; %bb.14:                               ;   in Loop: Header=BB126_6 Depth=1
	s_mul_i32 vcc_lo, s45, s18
	s_sub_i32 s44, s44, vcc_lo
	s_mul_i32 s45, s45, s20
	s_mul_i32 s44, s44, s1
	v_add_u32_e32 v66, s45, v78
	v_lshl_add_u32 v66, v66, 1, s44
	v_ashrrev_i32_e32 v67, 31, v66
	v_lshlrev_b64 v[66:67], 2, v[66:67]
	v_mov_b32_e32 v68, s11
	v_add_co_u32_e32 v66, vcc, s10, v66
	v_addc_co_u32_e32 v67, vcc, v68, v67, vcc
	global_load_dwordx2 v[66:67], v[66:67], off
.LBB126_15:                             ;   in Loop: Header=BB126_6 Depth=1
	s_andn2_b64 vcc, exec, s[40:41]
	v_mov_b32_e32 v68, 0
	v_mov_b32_e32 v69, 0
	s_cbranch_vccnz .LBB126_18
; %bb.16:                               ;   in Loop: Header=BB126_6 Depth=1
	s_load_dword s44, s[34:35], 0xc
	v_mov_b32_e32 v69, 0
	v_mov_b32_e32 v68, 0
	s_waitcnt lgkmcnt(0)
	s_mul_hi_u32 s45, s44, s16
	s_add_i32 s45, s44, s45
	s_lshr_b32 s45, s45, s17
	s_cmp_ge_i32 s45, s13
	s_cbranch_scc1 .LBB126_18
; %bb.17:                               ;   in Loop: Header=BB126_6 Depth=1
	s_mul_i32 vcc_lo, s45, s18
	s_sub_i32 s44, s44, vcc_lo
	s_mul_i32 s45, s45, s20
	s_mul_i32 s44, s44, s1
	v_add_u32_e32 v68, s45, v78
	v_lshl_add_u32 v68, v68, 1, s44
	v_ashrrev_i32_e32 v69, 31, v68
	v_lshlrev_b64 v[68:69], 2, v[68:69]
	v_mov_b32_e32 v84, s11
	v_add_co_u32_e32 v68, vcc, s10, v68
	v_addc_co_u32_e32 v69, vcc, v84, v69, vcc
	global_load_dwordx2 v[68:69], v[68:69], off
.LBB126_18:                             ;   in Loop: Header=BB126_6 Depth=1
	s_waitcnt vmcnt(0)
	v_and_b32_e32 v84, 0x7f800000, v72
	v_cmp_ne_u32_e32 vcc, s6, v84
                                        ; implicit-def: $vgpr84
	s_and_saveexec_b64 s[44:45], vcc
	s_xor_b64 s[44:45], exec, s[44:45]
; %bb.19:                               ;   in Loop: Header=BB126_6 Depth=1
	v_bfe_u32 v84, v72, 16, 1
	v_add3_u32 v84, v72, v84, s26
; %bb.20:                               ;   in Loop: Header=BB126_6 Depth=1
	s_andn2_saveexec_b64 s[44:45], s[44:45]
; %bb.21:                               ;   in Loop: Header=BB126_6 Depth=1
	v_or_b32_e32 v84, 0x10000, v72
	v_cmp_eq_u32_sdwa vcc, v72, v82 src0_sel:WORD_0 src1_sel:DWORD
	v_cndmask_b32_e32 v84, v84, v72, vcc
; %bb.22:                               ;   in Loop: Header=BB126_6 Depth=1
	s_or_b64 exec, exec, s[44:45]
	v_and_b32_e32 v72, 0x7f800000, v73
	v_cmp_ne_u32_e32 vcc, s6, v72
                                        ; implicit-def: $vgpr72
	s_and_saveexec_b64 s[44:45], vcc
	s_xor_b64 s[44:45], exec, s[44:45]
; %bb.23:                               ;   in Loop: Header=BB126_6 Depth=1
	v_bfe_u32 v72, v73, 16, 1
	v_add3_u32 v72, v73, v72, s26
                                        ; implicit-def: $vgpr73
; %bb.24:                               ;   in Loop: Header=BB126_6 Depth=1
	s_andn2_saveexec_b64 s[44:45], s[44:45]
; %bb.25:                               ;   in Loop: Header=BB126_6 Depth=1
	v_or_b32_e32 v72, 0x10000, v73
	v_cmp_eq_u32_sdwa vcc, v73, v82 src0_sel:WORD_0 src1_sel:DWORD
	v_cndmask_b32_e32 v72, v72, v73, vcc
; %bb.26:                               ;   in Loop: Header=BB126_6 Depth=1
	s_or_b64 exec, exec, s[44:45]
	v_perm_b32 v72, v72, v84, s27
	ds_write_b32 v79, v72
	v_and_b32_e32 v72, 0x7f800000, v70
	v_cmp_ne_u32_e32 vcc, s6, v72
                                        ; implicit-def: $vgpr72
	s_and_saveexec_b64 s[44:45], vcc
	s_xor_b64 s[44:45], exec, s[44:45]
; %bb.27:                               ;   in Loop: Header=BB126_6 Depth=1
	v_bfe_u32 v72, v70, 16, 1
	v_add3_u32 v72, v70, v72, s26
; %bb.28:                               ;   in Loop: Header=BB126_6 Depth=1
	s_andn2_saveexec_b64 s[44:45], s[44:45]
; %bb.29:                               ;   in Loop: Header=BB126_6 Depth=1
	v_or_b32_e32 v72, 0x10000, v70
	v_cmp_eq_u32_sdwa vcc, v70, v82 src0_sel:WORD_0 src1_sel:DWORD
	v_cndmask_b32_e32 v72, v72, v70, vcc
; %bb.30:                               ;   in Loop: Header=BB126_6 Depth=1
	s_or_b64 exec, exec, s[44:45]
	v_and_b32_e32 v70, 0x7f800000, v71
	v_cmp_ne_u32_e32 vcc, s6, v70
                                        ; implicit-def: $vgpr70
	s_and_saveexec_b64 s[44:45], vcc
	s_xor_b64 s[44:45], exec, s[44:45]
; %bb.31:                               ;   in Loop: Header=BB126_6 Depth=1
	v_bfe_u32 v70, v71, 16, 1
	v_add3_u32 v70, v71, v70, s26
                                        ; implicit-def: $vgpr71
; %bb.32:                               ;   in Loop: Header=BB126_6 Depth=1
	s_andn2_saveexec_b64 s[44:45], s[44:45]
; %bb.33:                               ;   in Loop: Header=BB126_6 Depth=1
	v_or_b32_e32 v70, 0x10000, v71
	v_cmp_eq_u32_sdwa vcc, v71, v82 src0_sel:WORD_0 src1_sel:DWORD
	v_cndmask_b32_e32 v70, v70, v71, vcc
; %bb.34:                               ;   in Loop: Header=BB126_6 Depth=1
	s_or_b64 exec, exec, s[44:45]
	v_perm_b32 v70, v70, v72, s27
	ds_write_b32 v79, v70 offset:264
	v_and_b32_e32 v70, 0x7f800000, v66
	v_cmp_ne_u32_e32 vcc, s6, v70
                                        ; implicit-def: $vgpr70
	s_and_saveexec_b64 s[44:45], vcc
	s_xor_b64 s[44:45], exec, s[44:45]
; %bb.35:                               ;   in Loop: Header=BB126_6 Depth=1
	v_bfe_u32 v70, v66, 16, 1
	v_add3_u32 v70, v66, v70, s26
; %bb.36:                               ;   in Loop: Header=BB126_6 Depth=1
	s_andn2_saveexec_b64 s[44:45], s[44:45]
; %bb.37:                               ;   in Loop: Header=BB126_6 Depth=1
	v_or_b32_e32 v70, 0x10000, v66
	v_cmp_eq_u32_sdwa vcc, v66, v82 src0_sel:WORD_0 src1_sel:DWORD
	v_cndmask_b32_e32 v70, v70, v66, vcc
; %bb.38:                               ;   in Loop: Header=BB126_6 Depth=1
	s_or_b64 exec, exec, s[44:45]
	v_and_b32_e32 v66, 0x7f800000, v67
	v_cmp_ne_u32_e32 vcc, s6, v66
                                        ; implicit-def: $vgpr66
	s_and_saveexec_b64 s[44:45], vcc
	s_xor_b64 s[44:45], exec, s[44:45]
; %bb.39:                               ;   in Loop: Header=BB126_6 Depth=1
	v_bfe_u32 v66, v67, 16, 1
	v_add3_u32 v66, v67, v66, s26
                                        ; implicit-def: $vgpr67
; %bb.40:                               ;   in Loop: Header=BB126_6 Depth=1
	s_andn2_saveexec_b64 s[44:45], s[44:45]
; %bb.41:                               ;   in Loop: Header=BB126_6 Depth=1
	v_or_b32_e32 v66, 0x10000, v67
	v_cmp_eq_u32_sdwa vcc, v67, v82 src0_sel:WORD_0 src1_sel:DWORD
	v_cndmask_b32_e32 v66, v66, v67, vcc
; %bb.42:                               ;   in Loop: Header=BB126_6 Depth=1
	s_or_b64 exec, exec, s[44:45]
	v_perm_b32 v66, v66, v70, s27
	ds_write_b32 v79, v66 offset:528
	v_and_b32_e32 v66, 0x7f800000, v68
	v_cmp_ne_u32_e32 vcc, s6, v66
                                        ; implicit-def: $vgpr66
	s_and_saveexec_b64 s[44:45], vcc
	s_xor_b64 s[44:45], exec, s[44:45]
; %bb.43:                               ;   in Loop: Header=BB126_6 Depth=1
	v_bfe_u32 v66, v68, 16, 1
	v_add3_u32 v66, v68, v66, s26
; %bb.44:                               ;   in Loop: Header=BB126_6 Depth=1
	s_andn2_saveexec_b64 s[44:45], s[44:45]
; %bb.45:                               ;   in Loop: Header=BB126_6 Depth=1
	v_or_b32_e32 v66, 0x10000, v68
	v_cmp_eq_u32_sdwa vcc, v68, v82 src0_sel:WORD_0 src1_sel:DWORD
	v_cndmask_b32_e32 v66, v66, v68, vcc
; %bb.46:                               ;   in Loop: Header=BB126_6 Depth=1
	s_or_b64 exec, exec, s[44:45]
	v_and_b32_e32 v67, 0x7f800000, v69
	v_cmp_ne_u32_e32 vcc, s6, v67
                                        ; implicit-def: $vgpr67
	s_and_saveexec_b64 s[44:45], vcc
	s_xor_b64 s[44:45], exec, s[44:45]
; %bb.47:                               ;   in Loop: Header=BB126_6 Depth=1
	v_bfe_u32 v67, v69, 16, 1
	v_add3_u32 v67, v69, v67, s26
                                        ; implicit-def: $vgpr69
; %bb.48:                               ;   in Loop: Header=BB126_6 Depth=1
	s_andn2_saveexec_b64 s[44:45], s[44:45]
	s_cbranch_execz .LBB126_5
; %bb.49:                               ;   in Loop: Header=BB126_6 Depth=1
	v_or_b32_e32 v67, 0x10000, v69
	v_cmp_eq_u32_sdwa vcc, v69, v82 src0_sel:WORD_0 src1_sel:DWORD
	v_cndmask_b32_e32 v67, v67, v69, vcc
	s_branch .LBB126_5
.LBB126_50:
	s_or_b64 exec, exec, s[8:9]
	v_readlane_b32 s24, v85, 6
	v_readlane_b32 s28, v85, 9
	;; [unrolled: 1-line block ×7, first 2 shown]
.LBB126_51:
	v_readlane_b32 s0, v85, 4
	v_readlane_b32 s1, v85, 5
	s_or_b64 exec, exec, s[0:1]
	s_lshl_b64 s[0:1], s[28:29], 2
	v_readlane_b32 s4, v85, 0
	v_mul_u32_u24_e32 v0, 0x208, v77
	v_lshlrev_b32_e32 v1, 2, v76
	v_or_b32_e32 v2, 12, v75
	v_readlane_b32 s5, v85, 1
	s_add_u32 s3, s4, s0
	v_add3_u32 v0, 0, v0, v1
	v_and_b32_e32 v1, 0x3f0, v75
	v_and_b32_e32 v2, 0x3fc, v2
	s_addc_u32 s6, s5, s1
	v_add_u32_e32 v1, v0, v1
	v_add_u32_e32 v0, v0, v2
	s_barrier
	ds_write2_b32 v1, a0, a1 offset1:1
	ds_write_b32 v1, a2 offset:8
	ds_write_b32 v0, a3
	ds_write2_b32 v1, a4, a5 offset0:16 offset1:17
	ds_write_b32 v1, a6 offset:72
	ds_write_b32 v0, a7 offset:64
	ds_write2_b32 v1, a8, a9 offset0:32 offset1:33
	ds_write_b32 v1, a10 offset:136
	ds_write_b32 v0, a11 offset:128
	;; [unrolled: 3-line block ×3, first 2 shown]
	s_cmp_gt_i32 s14, 0
	v_add_u32_e32 v0, s26, v74
	s_cselect_b64 s[4:5], -1, 0
	v_cmp_gt_i32_e64 s[0:1], s33, v0
	v_cmp_gt_u32_e32 vcc, 4, v74
	s_and_b64 s[0:1], s[4:5], s[0:1]
	v_lshl_add_u32 v3, v75, 2, 0
	v_add_u32_e32 v2, s22, v75
	v_mul_u32_u24_e32 v4, 0x208, v74
	s_and_b64 s[8:9], vcc, s[0:1]
	s_waitcnt lgkmcnt(0)
	s_barrier
	s_and_saveexec_b64 s[0:1], s[8:9]
	s_cbranch_execz .LBB126_54
; %bb.52:
	v_ashrrev_i32_e32 v1, 31, v0
	v_lshlrev_b64 v[6:7], 2, v[0:1]
	v_mov_b32_e32 v1, s6
	v_add_co_u32_e32 v6, vcc, s3, v6
	v_addc_co_u32_e32 v7, vcc, v1, v7, vcc
	global_load_dword v1, v[6:7], off
	s_waitcnt vmcnt(0)
	v_mul_hi_u32 v5, v1, s19
	v_add_u32_e32 v5, v1, v5
	v_lshrrev_b32_e32 v5, s24, v5
	v_cmp_gt_i32_e32 vcc, s13, v5
	s_and_b64 exec, exec, vcc
	s_cbranch_execz .LBB126_54
; %bb.53:
	v_add_u32_e32 v6, v3, v4
	ds_read2st64_b32 v[6:7], v6 offset1:1
	v_mul_lo_u32 v8, v5, s25
	v_sub_u32_e32 v1, v1, v8
	v_mul_lo_u32 v5, v5, s21
	v_mul_lo_u32 v1, v1, s2
	s_waitcnt lgkmcnt(0)
	v_add_f32_e32 v6, 0, v6
	v_add_f32_e32 v8, v6, v7
	v_add3_u32 v6, v2, v5, v1
	v_mov_b32_e32 v7, 0
	v_readlane_b32 s8, v85, 2
	v_lshlrev_b64 v[6:7], 2, v[6:7]
	v_readlane_b32 s9, v85, 3
	v_mov_b32_e32 v1, s9
	v_add_co_u32_e32 v6, vcc, s8, v6
	v_addc_co_u32_e32 v7, vcc, v1, v7, vcc
	global_store_dword v[6:7], v8, off
.LBB126_54:
	s_or_b64 exec, exec, s[0:1]
	v_add_u32_e32 v0, 2, v0
	v_cmp_gt_i32_e64 s[0:1], s33, v0
	v_cmp_gt_u32_e32 vcc, 2, v74
	s_and_b64 s[0:1], s[4:5], s[0:1]
	s_and_b64 s[0:1], vcc, s[0:1]
	s_and_saveexec_b64 s[4:5], s[0:1]
	s_cbranch_execz .LBB126_57
; %bb.55:
	s_ashr_i32 s0, s26, 31
	v_mov_b32_e32 v1, s0
	v_add_co_u32_e32 v0, vcc, s26, v74
	v_addc_co_u32_e32 v1, vcc, 0, v1, vcc
	v_lshlrev_b64 v[0:1], 2, v[0:1]
	v_mov_b32_e32 v5, s6
	v_add_co_u32_e32 v0, vcc, s3, v0
	v_addc_co_u32_e32 v1, vcc, v5, v1, vcc
	global_load_dword v0, v[0:1], off offset:8
	v_mov_b32_e32 v1, 0
	s_waitcnt vmcnt(0)
	v_mul_hi_u32 v5, v0, s19
	v_add_u32_e32 v5, v0, v5
	v_lshrrev_b32_e32 v5, s24, v5
	v_cmp_gt_i32_e32 vcc, s13, v5
	s_and_b64 exec, exec, vcc
	s_cbranch_execz .LBB126_57
; %bb.56:
	v_add_u32_e32 v3, v4, v3
	v_add_u32_e32 v3, 16, v3
	ds_read2st64_b32 v[6:7], v3 offset0:4 offset1:5
	v_mul_lo_u32 v3, v5, s25
	v_sub_u32_e32 v0, v0, v3
	v_mul_lo_u32 v4, v5, s21
	v_mul_lo_u32 v0, v0, s2
	v_add3_u32 v0, v2, v4, v0
	v_readlane_b32 s0, v85, 2
	v_lshlrev_b64 v[0:1], 2, v[0:1]
	v_readlane_b32 s1, v85, 3
	s_waitcnt lgkmcnt(0)
	v_add_f32_e32 v3, 0, v6
	v_mov_b32_e32 v2, s1
	v_add_co_u32_e32 v0, vcc, s0, v0
	v_add_f32_e32 v3, v3, v7
	v_addc_co_u32_e32 v1, vcc, v2, v1, vcc
	global_store_dword v[0:1], v3, off
.LBB126_57:
	s_endpgm
	.section	.rodata,"a",@progbits
	.p2align	6, 0x0
	.amdhsa_kernel _ZL13mul_mat_f_idsI15__hip_bfloat162Li64ELi4ELi2EEvPKT_PKfPKiS7_S7_Pfiiiiiiiiiiiiii15HIP_vector_typeIjLj3EESA_
		.amdhsa_group_segment_fixed_size 0
		.amdhsa_private_segment_fixed_size 0
		.amdhsa_kernarg_size 128
		.amdhsa_user_sgpr_count 6
		.amdhsa_user_sgpr_private_segment_buffer 1
		.amdhsa_user_sgpr_dispatch_ptr 0
		.amdhsa_user_sgpr_queue_ptr 0
		.amdhsa_user_sgpr_kernarg_segment_ptr 1
		.amdhsa_user_sgpr_dispatch_id 0
		.amdhsa_user_sgpr_flat_scratch_init 0
		.amdhsa_user_sgpr_kernarg_preload_length 0
		.amdhsa_user_sgpr_kernarg_preload_offset 0
		.amdhsa_user_sgpr_private_segment_size 0
		.amdhsa_uses_dynamic_stack 0
		.amdhsa_system_sgpr_private_segment_wavefront_offset 0
		.amdhsa_system_sgpr_workgroup_id_x 1
		.amdhsa_system_sgpr_workgroup_id_y 1
		.amdhsa_system_sgpr_workgroup_id_z 1
		.amdhsa_system_sgpr_workgroup_info 0
		.amdhsa_system_vgpr_workitem_id 1
		.amdhsa_next_free_vgpr 104
		.amdhsa_next_free_sgpr 96
		.amdhsa_accum_offset 88
		.amdhsa_reserve_vcc 1
		.amdhsa_reserve_flat_scratch 0
		.amdhsa_float_round_mode_32 0
		.amdhsa_float_round_mode_16_64 0
		.amdhsa_float_denorm_mode_32 3
		.amdhsa_float_denorm_mode_16_64 3
		.amdhsa_dx10_clamp 1
		.amdhsa_ieee_mode 1
		.amdhsa_fp16_overflow 0
		.amdhsa_tg_split 0
		.amdhsa_exception_fp_ieee_invalid_op 0
		.amdhsa_exception_fp_denorm_src 0
		.amdhsa_exception_fp_ieee_div_zero 0
		.amdhsa_exception_fp_ieee_overflow 0
		.amdhsa_exception_fp_ieee_underflow 0
		.amdhsa_exception_fp_ieee_inexact 0
		.amdhsa_exception_int_div_zero 0
	.end_amdhsa_kernel
	.section	.text._ZL13mul_mat_f_idsI15__hip_bfloat162Li64ELi4ELi2EEvPKT_PKfPKiS7_S7_Pfiiiiiiiiiiiiii15HIP_vector_typeIjLj3EESA_,"axG",@progbits,_ZL13mul_mat_f_idsI15__hip_bfloat162Li64ELi4ELi2EEvPKT_PKfPKiS7_S7_Pfiiiiiiiiiiiiii15HIP_vector_typeIjLj3EESA_,comdat
.Lfunc_end126:
	.size	_ZL13mul_mat_f_idsI15__hip_bfloat162Li64ELi4ELi2EEvPKT_PKfPKiS7_S7_Pfiiiiiiiiiiiiii15HIP_vector_typeIjLj3EESA_, .Lfunc_end126-_ZL13mul_mat_f_idsI15__hip_bfloat162Li64ELi4ELi2EEvPKT_PKfPKiS7_S7_Pfiiiiiiiiiiiiii15HIP_vector_typeIjLj3EESA_
                                        ; -- End function
	.section	.AMDGPU.csdata,"",@progbits
; Kernel info:
; codeLenInByte = 6360
; NumSgprs: 100
; NumVgprs: 86
; NumAgprs: 16
; TotalNumVgprs: 104
; ScratchSize: 0
; MemoryBound: 0
; FloatMode: 240
; IeeeMode: 1
; LDSByteSize: 0 bytes/workgroup (compile time only)
; SGPRBlocks: 12
; VGPRBlocks: 12
; NumSGPRsForWavesPerEU: 100
; NumVGPRsForWavesPerEU: 104
; AccumOffset: 88
; Occupancy: 4
; WaveLimiterHint : 1
; COMPUTE_PGM_RSRC2:SCRATCH_EN: 0
; COMPUTE_PGM_RSRC2:USER_SGPR: 6
; COMPUTE_PGM_RSRC2:TRAP_HANDLER: 0
; COMPUTE_PGM_RSRC2:TGID_X_EN: 1
; COMPUTE_PGM_RSRC2:TGID_Y_EN: 1
; COMPUTE_PGM_RSRC2:TGID_Z_EN: 1
; COMPUTE_PGM_RSRC2:TIDIG_COMP_CNT: 1
; COMPUTE_PGM_RSRC3_GFX90A:ACCUM_OFFSET: 21
; COMPUTE_PGM_RSRC3_GFX90A:TG_SPLIT: 0
	.section	.text._ZL9mul_mat_fI15__hip_bfloat162Li64ELi4ELi2ELb1EEvPKT_PKfPKiPfiiiiiiiiiiiiiiii,"axG",@progbits,_ZL9mul_mat_fI15__hip_bfloat162Li64ELi4ELi2ELb1EEvPKT_PKfPKiPfiiiiiiiiiiiiiiii,comdat
	.globl	_ZL9mul_mat_fI15__hip_bfloat162Li64ELi4ELi2ELb1EEvPKT_PKfPKiPfiiiiiiiiiiiiiiii ; -- Begin function _ZL9mul_mat_fI15__hip_bfloat162Li64ELi4ELi2ELb1EEvPKT_PKfPKiPfiiiiiiiiiiiiiiii
	.p2align	8
	.type	_ZL9mul_mat_fI15__hip_bfloat162Li64ELi4ELi2ELb1EEvPKT_PKfPKiPfiiiiiiiiiiiiiiii,@function
_ZL9mul_mat_fI15__hip_bfloat162Li64ELi4ELi2ELb1EEvPKT_PKfPKiPfiiiiiiiiiiiiiiii: ; @_ZL9mul_mat_fI15__hip_bfloat162Li64ELi4ELi2ELb1EEvPKT_PKfPKiPfiiiiiiiiiiiiiiii
; %bb.0:
	s_load_dwordx8 s[16:23], s[4:5], 0x20
	v_and_b32_e32 v16, 0x3ff, v0
	v_bfe_u32 v17, v0, 10, 10
	v_cmp_eq_u32_e32 vcc, 0, v16
	s_waitcnt lgkmcnt(0)
	s_add_i32 s0, s17, 3
	s_ashr_i32 s1, s0, 31
	s_lshr_b32 s1, s1, 30
	s_add_i32 s0, s0, s1
	s_ashr_i32 s0, s0, 2
	v_cvt_f32_u32_e32 v1, s0
	s_load_dwordx4 s[24:27], s[4:5], 0x44
	s_load_dword s1, s[4:5], 0x64
	s_sub_i32 s2, 0, s0
	s_add_u32 s34, s4, 0x60
	v_rcp_iflag_f32_e32 v1, v1
	s_addc_u32 s35, s5, 0
	v_mul_f32_e32 v1, 0x4f7ffffe, v1
	v_cvt_u32_f32_e32 v1, v1
	v_readfirstlane_b32 s3, v1
	s_mul_i32 s2, s2, s3
	s_mul_hi_u32 s2, s3, s2
	s_add_i32 s3, s3, s2
	s_waitcnt lgkmcnt(0)
	s_mul_hi_u32 s2, s1, s3
	s_mul_i32 s3, s2, s0
	s_sub_i32 s1, s1, s3
	s_add_i32 s9, s2, 1
	s_sub_i32 s3, s1, s0
	s_cmp_ge_u32 s1, s0
	s_cselect_b32 s2, s9, s2
	s_cselect_b32 s1, s3, s1
	s_add_i32 s3, s2, 1
	s_cmp_ge_u32 s1, s0
	s_cselect_b32 s9, s3, s2
	v_cvt_f32_u32_e32 v1, s9
	s_abs_i32 s33, s27
	v_cvt_f32_u32_e32 v2, s33
	s_load_dwordx2 s[0:1], s[4:5], 0x10
	v_rcp_iflag_f32_e32 v1, v1
	s_sub_i32 s2, 0, s9
	v_rcp_iflag_f32_e32 v2, v2
	s_sub_i32 s41, 0, s33
	v_mul_f32_e32 v1, 0x4f7ffffe, v1
	v_cvt_u32_f32_e32 v1, v1
	v_mul_f32_e32 v2, 0x4f7ffffe, v2
	v_cvt_u32_f32_e32 v2, v2
	v_readfirstlane_b32 s3, v1
	s_mul_i32 s2, s2, s3
	s_mul_hi_u32 s2, s3, s2
	s_add_i32 s3, s3, s2
	v_readfirstlane_b32 s38, v2
	s_mul_hi_u32 s10, s7, s3
	s_and_saveexec_b64 s[2:3], vcc
	s_cbranch_execz .LBB127_2
; %bb.1:
	v_mov_b32_e32 v1, 0x100
	v_lshl_add_u32 v1, v17, 2, v1
	v_mov_b32_e32 v2, -1
	ds_write_b32 v1, v2
.LBB127_2:
	s_or_b64 exec, exec, s[2:3]
	s_mul_i32 s2, s10, s9
	s_sub_i32 s2, s7, s2
	s_add_i32 s3, s10, 1
	s_sub_i32 s11, s2, s9
	s_cmp_ge_u32 s2, s9
	s_cselect_b32 s3, s3, s10
	s_cselect_b32 s2, s11, s2
	s_add_i32 s10, s3, 1
	s_cmp_ge_u32 s2, s9
	s_cselect_b32 s2, s10, s3
	s_mul_i32 s3, s2, s9
	s_lshl_b32 s9, s2, 2
	s_sub_i32 s7, s7, s3
	s_mul_hi_i32 s3, s9, s23
	s_mul_i32 s2, s9, s23
	s_lshl_b64 s[2:3], s[2:3], 2
	s_waitcnt lgkmcnt(0)
	s_add_u32 s39, s0, s2
	v_add_u32_e32 v1, s9, v17
	s_mul_i32 s41, s41, s38
	s_addc_u32 s40, s1, s3
	v_cmp_gt_i32_e64 s[10:11], s18, v16
	v_cmp_gt_i32_e64 s[0:1], s17, v1
	v_mov_b32_e32 v1, 0
	s_and_saveexec_b64 s[14:15], s[0:1]
	s_cbranch_execz .LBB127_10
; %bb.3:
	v_mov_b32_e32 v1, 0
	s_and_saveexec_b64 s[28:29], s[10:11]
	s_cbranch_execz .LBB127_9
; %bb.4:
	v_mul_lo_u32 v2, v17, s23
	v_ashrrev_i32_e32 v3, 31, v2
	v_lshlrev_b64 v[2:3], 2, v[2:3]
	v_mov_b32_e32 v1, s40
	v_add_co_u32_e64 v4, s[2:3], s39, v2
	v_addc_co_u32_e64 v5, s[2:3], v1, v3, s[2:3]
	v_mov_b32_e32 v1, 0x100
	v_lshl_add_u32 v6, v17, 2, v1
	v_mul_lo_u32 v2, v16, s22
	s_lshl_b32 s42, s22, 6
	s_mov_b64 s[30:31], 0
	v_mov_b32_e32 v1, 0
	v_mov_b32_e32 v7, v16
	s_branch .LBB127_6
.LBB127_5:                              ;   in Loop: Header=BB127_6 Depth=1
	s_or_b64 exec, exec, s[36:37]
	v_add_u32_e32 v7, 64, v7
	v_cmp_le_i32_e64 s[12:13], s18, v7
	s_xor_b64 s[2:3], s[2:3], -1
	s_or_b64 s[2:3], s[2:3], s[12:13]
	s_and_b64 s[2:3], exec, s[2:3]
	s_or_b64 s[30:31], s[2:3], s[30:31]
	v_add_u32_e32 v2, s42, v2
	s_andn2_b64 exec, exec, s[30:31]
	s_cbranch_execz .LBB127_8
.LBB127_6:                              ; =>This Inner Loop Header: Depth=1
	v_ashrrev_i32_e32 v3, 31, v2
	v_lshlrev_b64 v[8:9], 2, v[2:3]
	v_add_co_u32_e64 v8, s[2:3], v4, v8
	v_addc_co_u32_e64 v9, s[2:3], v5, v9, s[2:3]
	global_load_dword v3, v[8:9], off
	s_waitcnt vmcnt(0)
	v_cmp_ne_u32_e64 s[2:3], s7, v3
	v_cmp_eq_u32_e64 s[12:13], s7, v3
	s_and_saveexec_b64 s[36:37], s[12:13]
	s_cbranch_execz .LBB127_5
; %bb.7:                                ;   in Loop: Header=BB127_6 Depth=1
	v_mov_b32_e32 v1, 1
	ds_write_b32 v6, v7
	s_branch .LBB127_5
.LBB127_8:
	s_or_b64 exec, exec, s[30:31]
.LBB127_9:
	s_or_b64 exec, exec, s[28:29]
.LBB127_10:
	s_or_b64 exec, exec, s[14:15]
	s_mul_hi_u32 s13, s38, s41
	s_and_saveexec_b64 s[2:3], vcc
	s_cbranch_execz .LBB127_12
; %bb.11:
	v_mov_b32_e32 v2, 0x100
	v_lshl_add_u32 v2, v17, 2, v2
	v_mov_b32_e32 v3, -1
	ds_write_b32 v2, v3 offset:8
.LBB127_12:
	s_or_b64 exec, exec, s[2:3]
	s_load_dwordx4 s[44:47], s[4:5], 0x54
	v_add_u32_e32 v86, 2, v17
	v_add_u32_e32 v2, s9, v86
	s_abs_i32 s12, s8
	s_add_i32 s38, s38, s13
	v_cmp_gt_i32_e64 s[2:3], s17, v2
	s_and_saveexec_b64 s[28:29], s[2:3]
	s_cbranch_execz .LBB127_20
; %bb.13:
	s_and_saveexec_b64 s[30:31], s[10:11]
	s_cbranch_execz .LBB127_19
; %bb.14:
	v_mul_lo_u32 v2, v86, s23
	v_ashrrev_i32_e32 v3, 31, v2
	v_lshlrev_b64 v[2:3], 2, v[2:3]
	v_mov_b32_e32 v5, s40
	v_add_co_u32_e32 v4, vcc, s39, v2
	v_mov_b32_e32 v2, 0x100
	v_addc_co_u32_e32 v5, vcc, v5, v3, vcc
	v_lshl_add_u32 v6, v17, 2, v2
	v_mul_lo_u32 v2, v16, s22
	s_lshl_b32 s13, s22, 6
	s_mov_b64 s[22:23], 0
	v_mov_b32_e32 v7, v16
	s_branch .LBB127_16
.LBB127_15:                             ;   in Loop: Header=BB127_16 Depth=1
	s_or_b64 exec, exec, s[36:37]
	v_add_u32_e32 v7, 64, v7
	v_cmp_le_i32_e64 s[10:11], s18, v7
	s_xor_b64 s[14:15], vcc, -1
	s_or_b64 s[10:11], s[14:15], s[10:11]
	s_and_b64 s[10:11], exec, s[10:11]
	s_or_b64 s[22:23], s[10:11], s[22:23]
	v_add_u32_e32 v2, s13, v2
	s_andn2_b64 exec, exec, s[22:23]
	s_cbranch_execz .LBB127_18
.LBB127_16:                             ; =>This Inner Loop Header: Depth=1
	v_ashrrev_i32_e32 v3, 31, v2
	v_lshlrev_b64 v[8:9], 2, v[2:3]
	v_add_co_u32_e32 v8, vcc, v4, v8
	v_addc_co_u32_e32 v9, vcc, v5, v9, vcc
	global_load_dword v3, v[8:9], off
	s_waitcnt vmcnt(0)
	v_cmp_ne_u32_e32 vcc, s7, v3
	v_cmp_eq_u32_e64 s[10:11], s7, v3
	s_and_saveexec_b64 s[36:37], s[10:11]
	s_cbranch_execz .LBB127_15
; %bb.17:                               ;   in Loop: Header=BB127_16 Depth=1
	v_mov_b32_e32 v1, 1
	ds_write_b32 v6, v7 offset:8
	s_branch .LBB127_15
.LBB127_18:
	s_or_b64 exec, exec, s[22:23]
.LBB127_19:
	s_or_b64 exec, exec, s[30:31]
.LBB127_20:
	s_or_b64 exec, exec, s[28:29]
	s_load_dwordx2 s[14:15], s[34:35], 0xc
	s_load_dwordx4 s[28:31], s[4:5], 0x0
	s_load_dwordx2 s[36:37], s[4:5], 0x18
	v_cmp_ne_u32_e32 vcc, 0, v1
	v_cndmask_b32_e64 v1, 0, 1, vcc
	s_waitcnt lgkmcnt(0)
	s_lshr_b32 s5, s14, 16
	s_and_b32 s4, s14, 0xffff
	v_or_b32_dpp v1, v1, v1 row_shl:1 row_mask:0xf bank_mask:0xf bound_ctrl:1
	s_mul_i32 s13, s5, s4
	s_and_b32 s11, s15, 0xffff
	v_or_b32_dpp v1, v1, v1 row_shl:2 row_mask:0xf bank_mask:0xf bound_ctrl:1
	s_bfe_i32 s13, s13, 0x180000
	s_mul_i32 s11, s13, s11
	v_or_b32_dpp v1, v1, v1 row_shl:4 row_mask:0xf bank_mask:0xf bound_ctrl:1
	s_add_i32 s13, s11, 63
	s_bitcmp1_b32 exec_hi, 0
	v_or_b32_dpp v1, v1, v1 row_shl:8 row_mask:0xf bank_mask:0xf bound_ctrl:1
	s_mul_hi_u32 s10, s12, s38
	s_nop 0
	v_mov_b32_dpp v2, v1 wave_shl:1 row_mask:0xf bank_mask:0xf bound_ctrl:1
	s_nop 1
	v_or_b32_dpp v1, v2, v1 row_mirror row_mask:0xf bank_mask:0xf bound_ctrl:1
	v_readlane_b32 s11, v1, 32
	s_cselect_b32 s11, s11, 0
	v_readlane_b32 s14, v1, 0
	s_or_b32 s11, s11, s14
	s_andn2_b32 s13, s13, 63
	s_cmp_lg_u32 s13, 64
	v_mov_b32_e32 v1, s11
	s_cbranch_scc0 .LBB127_27
; %bb.21:
	v_bfe_u32 v0, v0, 20, 10
	v_mbcnt_lo_u32_b32 v1, -1, 0
	v_mad_u32_u24 v0, v0, s5, v17
	v_mbcnt_hi_u32_b32 v2, -1, v1
	v_mad_u64_u32 v[0:1], s[4:5], v0, s4, v[16:17]
	v_lshrrev_b32_e32 v1, 6, v0
	v_or_b32_e32 v1, v2, v1
	v_cmp_eq_u32_e32 vcc, 0, v1
	s_and_saveexec_b64 s[4:5], vcc
	s_cbranch_execz .LBB127_23
; %bb.22:
	v_mov_b32_e32 v1, 0
	v_mov_b32_e32 v3, s11
	ds_write_b32 v1, v3
.LBB127_23:
	s_or_b64 exec, exec, s[4:5]
	v_cmp_eq_u32_e32 vcc, 0, v2
	v_cmp_lt_u32_e64 s[4:5], 63, v0
	s_and_b64 s[14:15], s[4:5], vcc
	s_waitcnt lgkmcnt(0)
	s_barrier
	s_and_saveexec_b64 s[4:5], s[14:15]
	s_cbranch_execz .LBB127_26
; %bb.24:
	v_mbcnt_lo_u32_b32 v0, exec_lo, 0
	v_mbcnt_hi_u32_b32 v0, exec_hi, v0
	v_cmp_eq_u32_e32 vcc, 0, v0
	s_and_b64 exec, exec, vcc
	s_cbranch_execz .LBB127_26
; %bb.25:
	v_mov_b32_e32 v0, 0
	v_mov_b32_e32 v1, s11
	ds_or_b32 v0, v1
.LBB127_26:
	s_or_b64 exec, exec, s[4:5]
	v_mov_b32_e32 v0, 0
	s_waitcnt lgkmcnt(0)
	s_barrier
	ds_read_b32 v1, v0
	s_waitcnt lgkmcnt(0)
	s_barrier
.LBB127_27:
	v_cmp_ne_u32_e32 vcc, 0, v1
	s_ashr_i32 s11, s8, 31
	s_ashr_i32 s13, s27, 31
	s_cbranch_vccz .LBB127_86
; %bb.28:
	v_lshlrev_b32_e32 v87, 6, v17
	v_add_u32_e32 v89, v87, v16
	v_cmp_le_i32_e32 vcc, s16, v89
	v_and_b32_e32 v88, 15, v16
                                        ; implicit-def: $sgpr14
	s_and_saveexec_b64 s[4:5], vcc
	s_xor_b64 s[4:5], exec, s[4:5]
; %bb.29:
	v_and_b32_e32 v88, 15, v16
	s_mov_b32 s14, 0
                                        ; implicit-def: $vgpr89
; %bb.30:
	s_or_saveexec_b64 s[4:5], s[4:5]
	s_lshl_b32 s15, s6, 6
	v_accvgpr_write_b32 a8, s14
	v_accvgpr_write_b32 a9, s14
	;; [unrolled: 1-line block ×16, first 2 shown]
	s_xor_b64 exec, exec, s[4:5]
	s_cbranch_execz .LBB127_78
; %bb.31:
	s_xor_b32 s6, s11, s13
	s_mul_i32 s11, s10, s33
	s_sub_i32 s11, s12, s11
	s_add_i32 s12, s10, 1
	s_sub_i32 s13, s11, s33
	s_cmp_ge_u32 s11, s33
	s_cselect_b32 s10, s12, s10
	s_cselect_b32 s11, s13, s11
	s_add_i32 s12, s10, 1
	s_cmp_ge_u32 s11, s33
	s_cselect_b32 s10, s12, s10
	s_xor_b32 s10, s10, s6
	s_sub_i32 s6, s10, s6
                                        ; implicit-def: $vgpr103 : SGPR spill to VGPR lane
	s_mul_hi_i32 s11, s6, s44
	s_mul_i32 s10, s6, s44
	s_mul_i32 s6, s7, s24
	v_writelane_b32 v103, s36, 0
	s_ashr_i32 s7, s6, 31
	s_lshl_b64 s[10:11], s[10:11], 2
	v_writelane_b32 v103, s37, 1
	s_add_u32 s13, s28, s10
	v_writelane_b32 v103, s15, 2
	s_mul_i32 s12, s15, s19
	s_addc_u32 s18, s29, s11
	s_lshl_b64 s[14:15], s[6:7], 2
	s_add_u32 s6, s13, s14
	s_addc_u32 s7, s18, s15
	s_ashr_i32 s13, s12, 31
	s_lshl_b64 s[38:39], s[12:13], 2
	s_add_u32 s24, s6, s38
	s_movk_i32 s6, 0x1080
	v_mov_b32_e32 v90, 0x100
	s_addc_u32 s18, s7, s39
	v_mad_u32_u24 v0, v17, s6, v90
	s_mul_hi_i32 s7, s45, s8
	v_writelane_b32 v103, s44, 3
	s_mul_i32 s6, s45, s8
	s_mul_hi_i32 s13, s20, s9
	s_mul_i32 s12, s20, s9
	s_lshl_b64 s[12:13], s[12:13], 3
	s_lshl_b64 s[6:7], s[6:7], 2
	s_add_u32 s6, s30, s6
	s_addc_u32 s7, s31, s7
	s_add_u32 s27, s6, s12
	s_addc_u32 s33, s7, s13
	s_cmp_lt_i32 s9, s17
	s_cselect_b64 s[6:7], -1, 0
	s_or_b32 s12, s9, 1
	s_cmp_lt_i32 s12, s17
	s_cselect_b64 s[12:13], -1, 0
	s_or_b32 s22, s9, 2
	s_cmp_lt_i32 s22, s17
	s_cselect_b64 s[22:23], -1, 0
	s_lshl_b32 s36, s20, 2
	s_or_b32 s30, s9, 3
	s_cmp_lt_i32 s30, s17
	s_cselect_b64 s[30:31], -1, 0
	s_ashr_i32 s35, s19, 31
	s_mov_b32 s34, s19
	s_lshl_b64 s[34:35], s[34:35], 2
	s_add_u32 s10, s10, s38
	s_addc_u32 s11, s11, s39
	v_lshrrev_b32_e32 v2, 1, v16
	s_add_u32 s10, s10, s14
	v_mul_u32_u24_e32 v1, 0x108, v88
	v_and_b32_e32 v2, 0x1f8, v2
	s_addc_u32 s11, s11, s15
	v_writelane_b32 v103, s45, 4
	v_lshl_add_u32 v91, v16, 2, v0
	v_add3_u32 v92, v0, v1, v2
	v_lshlrev_b32_e32 v0, 1, v16
	s_add_u32 s10, s28, s10
	v_writelane_b32 v103, s46, 5
	v_lshl_add_u32 v93, v17, 7, v0
	v_lshlrev_b32_e32 v0, 2, v89
	s_addc_u32 s11, s29, s11
	v_writelane_b32 v103, s47, 6
	v_mov_b32_e32 v1, s11
	v_add_co_u32_e32 v18, vcc, s10, v0
	s_mul_i32 s10, s20, 6
	v_addc_co_u32_e32 v19, vcc, 0, v1, vcc
	v_writelane_b32 v103, s10, 7
	s_lshl_b32 s20, s20, 1
	s_lshl_b32 s37, s19, 1
	s_mul_i32 s38, s19, 3
	s_lshl_b32 s39, s19, 2
	s_mul_i32 s40, s19, 5
	s_mul_i32 s41, s19, 6
	;; [unrolled: 1-line block ×3, first 2 shown]
	s_lshl_b32 s43, s19, 3
	s_mul_i32 s44, s19, 9
	s_mul_i32 s45, s19, 10
	;; [unrolled: 1-line block ×7, first 2 shown]
	s_lshl_b32 s51, s19, 4
	s_mul_i32 s52, s19, 17
	s_mul_i32 s53, s19, 18
	;; [unrolled: 1-line block ×15, first 2 shown]
	s_lshl_b32 s67, s19, 5
	s_mul_i32 s68, s19, 33
	s_mul_i32 s69, s19, 34
	;; [unrolled: 1-line block ×11, first 2 shown]
	v_mov_b32_e32 v94, s18
	s_mul_i32 s79, s19, 44
	v_mov_b32_e32 v95, 0
	v_accvgpr_write_b32 a15, 0
	v_accvgpr_write_b32 a14, 0
	;; [unrolled: 1-line block ×16, first 2 shown]
	v_mov_b32_e32 v96, s35
	s_mul_i32 s35, s19, 45
	s_mul_i32 s80, s19, 46
	;; [unrolled: 1-line block ×19, first 2 shown]
	s_mov_b32 s15, 0x7f800000
	s_movk_i32 s14, 0x7fff
	s_mov_b32 s17, 0x7060302
	s_mov_b64 s[18:19], 0
	s_branch .LBB127_33
.LBB127_32:                             ;   in Loop: Header=BB127_33 Depth=1
	s_or_b64 exec, exec, s[28:29]
	v_perm_b32 v84, v84, v97, s17
	v_add_u32_e32 v85, 0x200, v91
	ds_write2_b32 v85, v84, v95 offset0:86 offset1:152
	v_add_u32_e32 v84, 0x400, v91
	ds_write2_b32 v84, v95, v95 offset0:90 offset1:156
	;; [unrolled: 2-line block ×6, first 2 shown]
	ds_write_b32 v91, v95 offset:4024
	ds_read2_b64 v[98:101], v92 offset0:8 offset1:12
	v_accvgpr_write_b32 a0, v0
	v_accvgpr_write_b32 a4, v4
	;; [unrolled: 1-line block ×16, first 2 shown]
	s_waitcnt lgkmcnt(0)
	v_mfma_f32_16x16x16bf16_1k a[0:3], v[38:39], v[98:99], a[0:3]
	ds_read2_b64 v[0:3], v92 offset0:16 offset1:20
	v_add_co_u32_e32 v18, vcc, 0x200, v18
	v_add_u32_e32 v89, 0x80, v89
	v_addc_co_u32_e32 v19, vcc, 0, v19, vcc
	v_cmp_le_i32_e32 vcc, s16, v89
	v_mfma_f32_16x16x16bf16_1k a[4:7], v[52:53], v[98:99], a[4:7]
	v_add_u32_e32 v93, 0x100, v93
	s_or_b64 s[18:19], vcc, s[18:19]
	v_mfma_f32_16x16x16bf16_1k a[8:11], v[66:67], v[98:99], a[8:11]
	v_mfma_f32_16x16x16bf16_1k a[12:15], v[82:83], v[98:99], a[12:15]
	;; [unrolled: 1-line block ×6, first 2 shown]
	s_waitcnt lgkmcnt(0)
	v_mfma_f32_16x16x16bf16_1k a[0:3], v[30:31], v[0:1], a[0:3]
	v_mfma_f32_16x16x16bf16_1k a[4:7], v[46:47], v[0:1], a[4:7]
	;; [unrolled: 1-line block ×8, first 2 shown]
	ds_read2_b64 v[0:3], v92 offset0:24 offset1:28
	s_waitcnt lgkmcnt(0)
	v_mfma_f32_16x16x16bf16_1k a[0:3], v[26:27], v[0:1], a[0:3]
	v_mfma_f32_16x16x16bf16_1k a[4:7], v[42:43], v[0:1], a[4:7]
	;; [unrolled: 1-line block ×8, first 2 shown]
	ds_read2_b64 v[0:3], v92 offset0:32 offset1:36
	s_waitcnt lgkmcnt(0)
	v_mfma_f32_16x16x16bf16_1k a[0:3], v[22:23], v[0:1], a[0:3]
	v_mfma_f32_16x16x16bf16_1k a[4:7], v[36:37], v[0:1], a[4:7]
	;; [unrolled: 1-line block ×8, first 2 shown]
	s_andn2_b64 exec, exec, s[18:19]
	s_cbranch_execz .LBB127_77
.LBB127_33:                             ; =>This Inner Loop Header: Depth=1
	v_add_co_u32_e32 v0, vcc, s34, v18
	v_addc_co_u32_e32 v1, vcc, v19, v96, vcc
	global_load_dword v24, v[18:19], off
	global_load_dword v25, v[0:1], off
	v_add_u32_e32 v0, s37, v89
	v_ashrrev_i32_e32 v1, 31, v0
	v_lshlrev_b64 v[0:1], 2, v[0:1]
	v_add_u32_e32 v2, s38, v89
	v_add_co_u32_e32 v0, vcc, s24, v0
	v_ashrrev_i32_e32 v3, 31, v2
	v_addc_co_u32_e32 v1, vcc, v94, v1, vcc
	v_lshlrev_b64 v[2:3], 2, v[2:3]
	v_add_u32_e32 v4, s39, v89
	v_add_co_u32_e32 v2, vcc, s24, v2
	v_ashrrev_i32_e32 v5, 31, v4
	v_addc_co_u32_e32 v3, vcc, v94, v3, vcc
	;; [unrolled: 5-line block ×5, first 2 shown]
	v_lshlrev_b64 v[10:11], 2, v[10:11]
	v_add_co_u32_e32 v10, vcc, s24, v10
	v_addc_co_u32_e32 v11, vcc, v94, v11, vcc
	global_load_dword v26, v[0:1], off
	global_load_dword v27, v[2:3], off
	global_load_dword v28, v[4:5], off
	global_load_dword v29, v[6:7], off
	global_load_dword v30, v[8:9], off
	global_load_dword v31, v[10:11], off
	v_add_u32_e32 v20, s43, v89
	v_ashrrev_i32_e32 v21, 31, v20
	v_add_u32_e32 v22, s44, v89
	v_lshlrev_b64 v[20:21], 2, v[20:21]
	v_ashrrev_i32_e32 v23, 31, v22
	v_add_co_u32_e32 v20, vcc, s24, v20
	v_lshlrev_b64 v[22:23], 2, v[22:23]
	v_addc_co_u32_e32 v21, vcc, v94, v21, vcc
	v_add_co_u32_e32 v22, vcc, s24, v22
	v_addc_co_u32_e32 v23, vcc, v94, v23, vcc
	v_add_u32_e32 v32, s50, v89
	v_ashrrev_i32_e32 v33, 31, v32
	v_lshlrev_b64 v[32:33], 2, v[32:33]
	v_add_u32_e32 v34, s51, v89
	v_ashrrev_i32_e32 v35, 31, v34
	v_lshlrev_b64 v[34:35], 2, v[34:35]
	;; [unrolled: 3-line block ×4, first 2 shown]
	v_accvgpr_read_b32 v3, a15
	v_accvgpr_read_b32 v2, a14
	;; [unrolled: 1-line block ×6, first 2 shown]
	s_waitcnt vmcnt(7)
	ds_write_b32 v91, v24 offset:64
	s_waitcnt vmcnt(6)
	ds_write_b32 v91, v25 offset:328
	global_load_dword v20, v[20:21], off
	s_nop 0
	global_load_dword v21, v[22:23], off
	v_add_u32_e32 v22, s45, v89
	v_ashrrev_i32_e32 v23, 31, v22
	v_lshlrev_b64 v[22:23], 2, v[22:23]
	v_add_u32_e32 v24, s46, v89
	v_add_co_u32_e32 v22, vcc, s24, v22
	v_ashrrev_i32_e32 v25, 31, v24
	v_addc_co_u32_e32 v23, vcc, v94, v23, vcc
	v_lshlrev_b64 v[24:25], 2, v[24:25]
	s_waitcnt vmcnt(7)
	ds_write_b32 v91, v26 offset:592
	s_waitcnt vmcnt(6)
	ds_write_b32 v91, v27 offset:856
	;; [unrolled: 2-line block ×6, first 2 shown]
	v_add_u32_e32 v26, s47, v89
	v_add_co_u32_e32 v24, vcc, s24, v24
	v_ashrrev_i32_e32 v27, 31, v26
	v_addc_co_u32_e32 v25, vcc, v94, v25, vcc
	v_lshlrev_b64 v[26:27], 2, v[26:27]
	v_add_u32_e32 v28, s48, v89
	v_add_co_u32_e32 v26, vcc, s24, v26
	v_ashrrev_i32_e32 v29, 31, v28
	v_addc_co_u32_e32 v27, vcc, v94, v27, vcc
	v_lshlrev_b64 v[28:29], 2, v[28:29]
	;; [unrolled: 5-line block ×3, first 2 shown]
	v_add_co_u32_e32 v30, vcc, s24, v30
	v_addc_co_u32_e32 v31, vcc, v94, v31, vcc
	v_add_co_u32_e32 v32, vcc, s24, v32
	v_addc_co_u32_e32 v33, vcc, v94, v33, vcc
	;; [unrolled: 2-line block ×4, first 2 shown]
	global_load_dword v22, v[22:23], off
	s_nop 0
	global_load_dword v23, v[24:25], off
	s_nop 0
	global_load_dword v24, v[26:27], off
	global_load_dword v25, v[28:29], off
	s_nop 0
	global_load_dword v26, v[30:31], off
	;; [unrolled: 3-line block ×3, first 2 shown]
	s_nop 0
	global_load_dword v35, v[36:37], off
	v_add_u32_e32 v28, s53, v89
	v_ashrrev_i32_e32 v29, 31, v28
	v_lshlrev_b64 v[28:29], 2, v[28:29]
	v_add_u32_e32 v30, s54, v89
	v_add_co_u32_e32 v28, vcc, s24, v28
	v_ashrrev_i32_e32 v31, 31, v30
	v_addc_co_u32_e32 v29, vcc, v94, v29, vcc
	v_lshlrev_b64 v[30:31], 2, v[30:31]
	v_add_u32_e32 v32, s55, v89
	v_add_co_u32_e32 v30, vcc, s24, v30
	v_ashrrev_i32_e32 v33, 31, v32
	v_addc_co_u32_e32 v31, vcc, v94, v31, vcc
	;; [unrolled: 5-line block ×3, first 2 shown]
	v_lshlrev_b64 v[36:37], 2, v[36:37]
	v_add_co_u32_e32 v38, vcc, s24, v36
	v_add_u32_e32 v36, s57, v89
	v_addc_co_u32_e32 v39, vcc, v94, v37, vcc
	v_ashrrev_i32_e32 v37, 31, v36
	v_lshlrev_b64 v[36:37], 2, v[36:37]
	v_add_co_u32_e32 v42, vcc, s24, v36
	v_add_u32_e32 v36, s58, v89
	v_addc_co_u32_e32 v43, vcc, v94, v37, vcc
	v_ashrrev_i32_e32 v37, 31, v36
	v_lshlrev_b64 v[36:37], 2, v[36:37]
	v_add_co_u32_e32 v44, vcc, s24, v36
	v_add_u32_e32 v36, s59, v89
	v_addc_co_u32_e32 v45, vcc, v94, v37, vcc
	v_ashrrev_i32_e32 v37, 31, v36
	v_lshlrev_b64 v[36:37], 2, v[36:37]
	v_add_co_u32_e32 v46, vcc, s24, v36
	v_add_u32_e32 v36, s60, v89
	v_addc_co_u32_e32 v47, vcc, v94, v37, vcc
	v_ashrrev_i32_e32 v37, 31, v36
	v_lshlrev_b64 v[36:37], 2, v[36:37]
	v_add_co_u32_e32 v48, vcc, s24, v36
	v_addc_co_u32_e32 v49, vcc, v94, v37, vcc
	global_load_dword v36, v[28:29], off
	global_load_dword v37, v[30:31], off
	;; [unrolled: 1-line block ×4, first 2 shown]
	s_nop 0
	global_load_dword v42, v[42:43], off
	s_nop 0
	global_load_dword v43, v[44:45], off
	;; [unrolled: 2-line block ×3, first 2 shown]
	global_load_dword v45, v[48:49], off
	v_add_u32_e32 v28, s61, v89
	v_ashrrev_i32_e32 v29, 31, v28
	v_lshlrev_b64 v[28:29], 2, v[28:29]
	v_add_u32_e32 v30, s62, v89
	v_add_co_u32_e32 v28, vcc, s24, v28
	v_ashrrev_i32_e32 v31, 31, v30
	v_addc_co_u32_e32 v29, vcc, v94, v29, vcc
	v_lshlrev_b64 v[30:31], 2, v[30:31]
	v_add_u32_e32 v32, s63, v89
	v_add_co_u32_e32 v30, vcc, s24, v30
	v_ashrrev_i32_e32 v33, 31, v32
	v_addc_co_u32_e32 v31, vcc, v94, v31, vcc
	;; [unrolled: 5-line block ×4, first 2 shown]
	v_lshlrev_b64 v[46:47], 2, v[46:47]
	v_add_co_u32_e32 v48, vcc, s24, v46
	v_add_u32_e32 v46, s66, v89
	v_addc_co_u32_e32 v49, vcc, v94, v47, vcc
	v_ashrrev_i32_e32 v47, 31, v46
	v_lshlrev_b64 v[46:47], 2, v[46:47]
	v_add_co_u32_e32 v54, vcc, s24, v46
	v_add_u32_e32 v46, s67, v89
	v_addc_co_u32_e32 v55, vcc, v94, v47, vcc
	v_ashrrev_i32_e32 v47, 31, v46
	;; [unrolled: 5-line block ×3, first 2 shown]
	v_lshlrev_b64 v[46:47], 2, v[46:47]
	v_add_co_u32_e32 v58, vcc, s24, v46
	v_addc_co_u32_e32 v59, vcc, v94, v47, vcc
	global_load_dword v46, v[28:29], off
	global_load_dword v47, v[30:31], off
	;; [unrolled: 1-line block ×6, first 2 shown]
	s_nop 0
	global_load_dword v48, v[56:57], off
	global_load_dword v49, v[58:59], off
	v_add_u32_e32 v28, s69, v89
	v_ashrrev_i32_e32 v29, 31, v28
	v_lshlrev_b64 v[28:29], 2, v[28:29]
	v_add_u32_e32 v30, s70, v89
	v_add_co_u32_e32 v28, vcc, s24, v28
	v_ashrrev_i32_e32 v31, 31, v30
	v_addc_co_u32_e32 v29, vcc, v94, v29, vcc
	v_lshlrev_b64 v[30:31], 2, v[30:31]
	v_add_u32_e32 v32, s71, v89
	v_add_co_u32_e32 v30, vcc, s24, v30
	v_ashrrev_i32_e32 v33, 31, v32
	v_addc_co_u32_e32 v31, vcc, v94, v31, vcc
	;; [unrolled: 5-line block ×6, first 2 shown]
	v_lshlrev_b64 v[58:59], 2, v[58:59]
	v_add_co_u32_e32 v58, vcc, s24, v58
	v_addc_co_u32_e32 v59, vcc, v94, v59, vcc
	v_add_co_u32_e32 v60, vcc, s24, v60
	v_addc_co_u32_e32 v61, vcc, v94, v61, vcc
	global_load_dword v62, v[28:29], off
	global_load_dword v63, v[30:31], off
	;; [unrolled: 1-line block ×8, first 2 shown]
	v_add_u32_e32 v28, s77, v89
	v_ashrrev_i32_e32 v29, 31, v28
	v_lshlrev_b64 v[28:29], 2, v[28:29]
	v_add_u32_e32 v30, s78, v89
	v_add_co_u32_e32 v28, vcc, s24, v28
	v_ashrrev_i32_e32 v31, 31, v30
	v_addc_co_u32_e32 v29, vcc, v94, v29, vcc
	v_lshlrev_b64 v[30:31], 2, v[30:31]
	v_add_u32_e32 v32, s79, v89
	v_add_co_u32_e32 v30, vcc, s24, v30
	v_ashrrev_i32_e32 v33, 31, v32
	v_addc_co_u32_e32 v31, vcc, v94, v31, vcc
	v_lshlrev_b64 v[32:33], 2, v[32:33]
	v_add_u32_e32 v38, s35, v89
	v_add_co_u32_e32 v32, vcc, s24, v32
	v_ashrrev_i32_e32 v39, 31, v38
	v_addc_co_u32_e32 v33, vcc, v94, v33, vcc
	v_lshlrev_b64 v[38:39], 2, v[38:39]
	v_add_u32_e32 v54, s80, v89
	v_add_co_u32_e32 v38, vcc, s24, v38
	v_ashrrev_i32_e32 v55, 31, v54
	v_addc_co_u32_e32 v39, vcc, v94, v39, vcc
	v_lshlrev_b64 v[54:55], 2, v[54:55]
	v_add_u32_e32 v56, s81, v89
	v_add_co_u32_e32 v54, vcc, s24, v54
	v_ashrrev_i32_e32 v57, 31, v56
	v_addc_co_u32_e32 v55, vcc, v94, v55, vcc
	v_lshlrev_b64 v[56:57], 2, v[56:57]
	v_add_u32_e32 v58, s82, v89
	v_add_co_u32_e32 v56, vcc, s24, v56
	v_ashrrev_i32_e32 v59, 31, v58
	v_addc_co_u32_e32 v57, vcc, v94, v57, vcc
	v_lshlrev_b64 v[58:59], 2, v[58:59]
	v_add_u32_e32 v60, s83, v89
	v_add_co_u32_e32 v58, vcc, s24, v58
	v_ashrrev_i32_e32 v61, 31, v60
	v_addc_co_u32_e32 v59, vcc, v94, v59, vcc
	v_lshlrev_b64 v[60:61], 2, v[60:61]
	v_add_co_u32_e32 v60, vcc, s24, v60
	v_addc_co_u32_e32 v61, vcc, v94, v61, vcc
	global_load_dword v70, v[28:29], off
	global_load_dword v71, v[30:31], off
	;; [unrolled: 1-line block ×8, first 2 shown]
	v_add_u32_e32 v28, s84, v89
	v_ashrrev_i32_e32 v29, 31, v28
	v_lshlrev_b64 v[28:29], 2, v[28:29]
	v_add_u32_e32 v30, s85, v89
	v_add_co_u32_e32 v28, vcc, s24, v28
	v_ashrrev_i32_e32 v31, 31, v30
	v_addc_co_u32_e32 v29, vcc, v94, v29, vcc
	v_lshlrev_b64 v[30:31], 2, v[30:31]
	v_add_u32_e32 v32, s86, v89
	v_add_co_u32_e32 v30, vcc, s24, v30
	v_ashrrev_i32_e32 v33, 31, v32
	v_addc_co_u32_e32 v31, vcc, v94, v31, vcc
	;; [unrolled: 5-line block ×7, first 2 shown]
	v_lshlrev_b64 v[60:61], 2, v[60:61]
	v_add_co_u32_e32 v60, vcc, s24, v60
	v_addc_co_u32_e32 v61, vcc, v94, v61, vcc
	global_load_dword v78, v[28:29], off
	global_load_dword v79, v[30:31], off
	;; [unrolled: 1-line block ×8, first 2 shown]
	v_add_u32_e32 v28, s92, v89
	v_ashrrev_i32_e32 v29, 31, v28
	v_lshlrev_b64 v[28:29], 2, v[28:29]
	v_add_u32_e32 v30, s93, v89
	v_add_co_u32_e32 v28, vcc, s24, v28
	v_ashrrev_i32_e32 v31, 31, v30
	v_addc_co_u32_e32 v29, vcc, v94, v29, vcc
	v_lshlrev_b64 v[30:31], 2, v[30:31]
	v_add_u32_e32 v32, s94, v89
	v_add_co_u32_e32 v30, vcc, s24, v30
	v_ashrrev_i32_e32 v33, 31, v32
	v_addc_co_u32_e32 v31, vcc, v94, v31, vcc
	;; [unrolled: 5-line block ×5, first 2 shown]
	v_lshlrev_b64 v[56:57], 2, v[56:57]
	v_add_co_u32_e32 v56, vcc, s24, v56
	v_addc_co_u32_e32 v57, vcc, v94, v57, vcc
	global_load_dword v97, v[28:29], off
	global_load_dword v98, v[30:31], off
	;; [unrolled: 1-line block ×6, first 2 shown]
	s_waitcnt vmcnt(55)
	ds_write_b32 v91, v20 offset:2176
	s_waitcnt vmcnt(54)
	ds_write_b32 v91, v21 offset:2440
	s_waitcnt vmcnt(53)
	ds_write_b32 v91, v22 offset:2704
	s_waitcnt vmcnt(52)
	ds_write_b32 v91, v23 offset:2968
	s_waitcnt vmcnt(51)
	ds_write_b32 v91, v24 offset:3232
	s_waitcnt vmcnt(50)
	ds_write_b32 v91, v25 offset:3496
	s_waitcnt vmcnt(49)
	ds_write_b32 v91, v26 offset:3760
	s_waitcnt vmcnt(48)
	ds_write_b32 v91, v27 offset:4024
	ds_read_b64 v[38:39], v92 offset:64
	ds_read_b64 v[32:33], v92 offset:96
	ds_read_b64 v[30:31], v92 offset:128
	ds_read_b64 v[28:29], v92 offset:160
	ds_read_b64 v[26:27], v92 offset:192
	ds_read_b64 v[24:25], v92 offset:224
	ds_read_b64 v[22:23], v92 offset:256
	ds_read_b64 v[20:21], v92 offset:288
	s_waitcnt vmcnt(47)
	ds_write_b32 v91, v34 offset:64
	s_waitcnt vmcnt(46)
	ds_write_b32 v91, v35 offset:328
	s_waitcnt vmcnt(45)
	ds_write_b32 v91, v36 offset:592
	s_waitcnt vmcnt(44)
	ds_write_b32 v91, v37 offset:856
	s_waitcnt vmcnt(43)
	ds_write_b32 v91, v40 offset:1120
	s_waitcnt vmcnt(42)
	ds_write_b32 v91, v41 offset:1384
	s_waitcnt vmcnt(41)
	ds_write_b32 v91, v42 offset:1648
	s_waitcnt vmcnt(40)
	ds_write_b32 v91, v43 offset:1912
	s_waitcnt vmcnt(39)
	ds_write_b32 v91, v44 offset:2176
	s_waitcnt vmcnt(38)
	ds_write_b32 v91, v45 offset:2440
	s_waitcnt vmcnt(37)
	ds_write_b32 v91, v46 offset:2704
	s_waitcnt vmcnt(36)
	ds_write_b32 v91, v47 offset:2968
	s_waitcnt vmcnt(35)
	ds_write_b32 v91, v50 offset:3232
	s_waitcnt vmcnt(34)
	ds_write_b32 v91, v51 offset:3496
	s_waitcnt vmcnt(33)
	ds_write_b32 v91, v52 offset:3760
	s_waitcnt vmcnt(32)
	ds_write_b32 v91, v53 offset:4024
	ds_read_b64 v[52:53], v92 offset:64
	ds_read_b64 v[50:51], v92 offset:96
	ds_read_b64 v[46:47], v92 offset:128
	ds_read_b64 v[44:45], v92 offset:160
	ds_read_b64 v[42:43], v92 offset:192
	ds_read_b64 v[40:41], v92 offset:224
	ds_read_b64 v[36:37], v92 offset:256
	ds_read_b64 v[34:35], v92 offset:288
	s_waitcnt vmcnt(31)
	ds_write_b32 v91, v48 offset:64
	s_waitcnt vmcnt(30)
	ds_write_b32 v91, v49 offset:328
	s_waitcnt vmcnt(29)
	ds_write_b32 v91, v62 offset:592
	s_waitcnt vmcnt(28)
	ds_write_b32 v91, v63 offset:856
	s_waitcnt vmcnt(27)
	ds_write_b32 v91, v64 offset:1120
	s_waitcnt vmcnt(26)
	ds_write_b32 v91, v65 offset:1384
	s_waitcnt vmcnt(25)
	ds_write_b32 v91, v66 offset:1648
	s_waitcnt vmcnt(24)
	ds_write_b32 v91, v67 offset:1912
	s_waitcnt vmcnt(23)
	ds_write_b32 v91, v68 offset:2176
	s_waitcnt vmcnt(22)
	ds_write_b32 v91, v69 offset:2440
	s_waitcnt vmcnt(21)
	ds_write_b32 v91, v70 offset:2704
	s_waitcnt vmcnt(20)
	ds_write_b32 v91, v71 offset:2968
	s_waitcnt vmcnt(19)
	ds_write_b32 v91, v72 offset:3232
	s_waitcnt vmcnt(18)
	ds_write_b32 v91, v73 offset:3496
	s_waitcnt vmcnt(17)
	ds_write_b32 v91, v74 offset:3760
	s_waitcnt vmcnt(16)
	ds_write_b32 v91, v75 offset:4024
	ds_read_b64 v[66:67], v92 offset:64
	ds_read_b64 v[64:65], v92 offset:96
	ds_read_b64 v[62:63], v92 offset:128
	ds_read_b64 v[60:61], v92 offset:160
	ds_read_b64 v[58:59], v92 offset:192
	ds_read_b64 v[56:57], v92 offset:224
	ds_read_b64 v[54:55], v92 offset:256
	ds_read_b64 v[48:49], v92 offset:288
	s_waitcnt vmcnt(15)
	ds_write_b32 v91, v76 offset:64
	s_waitcnt vmcnt(14)
	ds_write_b32 v91, v77 offset:328
	s_waitcnt vmcnt(13)
	ds_write_b32 v91, v78 offset:592
	s_waitcnt vmcnt(12)
	ds_write_b32 v91, v79 offset:856
	s_waitcnt vmcnt(11)
	ds_write_b32 v91, v80 offset:1120
	s_waitcnt vmcnt(10)
	ds_write_b32 v91, v81 offset:1384
	s_waitcnt vmcnt(9)
	ds_write_b32 v91, v82 offset:1648
	s_waitcnt vmcnt(8)
	ds_write_b32 v91, v83 offset:1912
	s_waitcnt vmcnt(7)
	ds_write_b32 v91, v84 offset:2176
	s_waitcnt vmcnt(6)
	ds_write_b32 v91, v85 offset:2440
	;; [unrolled: 2-line block ×8, first 2 shown]
	ds_read_b64 v[82:83], v92 offset:64
	ds_read_b64 v[80:81], v92 offset:96
	;; [unrolled: 1-line block ×8, first 2 shown]
	v_accvgpr_read_b32 v5, a5
	v_accvgpr_read_b32 v4, a4
	;; [unrolled: 1-line block ×10, first 2 shown]
	s_andn2_b64 vcc, exec, s[6:7]
	v_mov_b32_e32 v84, 0
	v_mov_b32_e32 v85, 0
	s_cbranch_vccnz .LBB127_36
; %bb.34:                               ;   in Loop: Header=BB127_33 Depth=1
	ds_read_b32 v97, v90
	v_mov_b32_e32 v85, 0
	v_mov_b32_e32 v84, 0
	s_waitcnt lgkmcnt(0)
	v_cmp_gt_i32_e32 vcc, 0, v97
	s_cbranch_vccnz .LBB127_36
; %bb.35:                               ;   in Loop: Header=BB127_33 Depth=1
	v_mul_lo_u32 v84, v97, s25
	v_add_u32_e32 v84, v93, v84
	v_ashrrev_i32_e32 v85, 31, v84
	v_lshlrev_b64 v[84:85], 2, v[84:85]
	v_mov_b32_e32 v97, s33
	v_add_co_u32_e32 v84, vcc, s27, v84
	v_addc_co_u32_e32 v85, vcc, v97, v85, vcc
	global_load_dwordx2 v[84:85], v[84:85], off
.LBB127_36:                             ;   in Loop: Header=BB127_33 Depth=1
	s_waitcnt vmcnt(0)
	v_and_b32_e32 v97, 0x7f800000, v84
	v_cmp_ne_u32_e32 vcc, s15, v97
                                        ; implicit-def: $vgpr97
	s_and_saveexec_b64 s[28:29], vcc
	s_xor_b64 s[28:29], exec, s[28:29]
; %bb.37:                               ;   in Loop: Header=BB127_33 Depth=1
	v_bfe_u32 v97, v84, 16, 1
	v_add3_u32 v97, v84, v97, s14
; %bb.38:                               ;   in Loop: Header=BB127_33 Depth=1
	s_andn2_saveexec_b64 s[28:29], s[28:29]
; %bb.39:                               ;   in Loop: Header=BB127_33 Depth=1
	v_or_b32_e32 v97, 0x10000, v84
	v_cmp_eq_u32_sdwa vcc, v84, v95 src0_sel:WORD_0 src1_sel:DWORD
	v_cndmask_b32_e32 v97, v97, v84, vcc
; %bb.40:                               ;   in Loop: Header=BB127_33 Depth=1
	s_or_b64 exec, exec, s[28:29]
	v_and_b32_e32 v84, 0x7f800000, v85
	v_cmp_ne_u32_e32 vcc, s15, v84
                                        ; implicit-def: $vgpr84
	s_and_saveexec_b64 s[28:29], vcc
	s_xor_b64 s[28:29], exec, s[28:29]
; %bb.41:                               ;   in Loop: Header=BB127_33 Depth=1
	v_bfe_u32 v84, v85, 16, 1
	v_add3_u32 v84, v85, v84, s14
                                        ; implicit-def: $vgpr85
; %bb.42:                               ;   in Loop: Header=BB127_33 Depth=1
	s_andn2_saveexec_b64 s[28:29], s[28:29]
; %bb.43:                               ;   in Loop: Header=BB127_33 Depth=1
	v_or_b32_e32 v84, 0x10000, v85
	v_cmp_eq_u32_sdwa vcc, v85, v95 src0_sel:WORD_0 src1_sel:DWORD
	v_cndmask_b32_e32 v84, v84, v85, vcc
; %bb.44:                               ;   in Loop: Header=BB127_33 Depth=1
	s_or_b64 exec, exec, s[28:29]
	v_perm_b32 v84, v84, v97, s17
	ds_write_b32 v91, v84 offset:64
	s_andn2_b64 vcc, exec, s[12:13]
	v_mov_b32_e32 v84, 0
	v_mov_b32_e32 v85, 0
	s_cbranch_vccnz .LBB127_47
; %bb.45:                               ;   in Loop: Header=BB127_33 Depth=1
	ds_read_b32 v97, v90 offset:4
	v_mov_b32_e32 v85, 0
	v_mov_b32_e32 v84, 0
	s_waitcnt lgkmcnt(0)
	v_cmp_gt_i32_e32 vcc, 0, v97
	s_cbranch_vccnz .LBB127_47
; %bb.46:                               ;   in Loop: Header=BB127_33 Depth=1
	v_mul_lo_u32 v84, v97, s25
	v_add_u32_e32 v84, s20, v84
	v_add_u32_e32 v84, v84, v93
	v_ashrrev_i32_e32 v85, 31, v84
	v_lshlrev_b64 v[84:85], 2, v[84:85]
	v_mov_b32_e32 v97, s33
	v_add_co_u32_e32 v84, vcc, s27, v84
	v_addc_co_u32_e32 v85, vcc, v97, v85, vcc
	global_load_dwordx2 v[84:85], v[84:85], off
.LBB127_47:                             ;   in Loop: Header=BB127_33 Depth=1
	s_waitcnt vmcnt(0)
	v_and_b32_e32 v97, 0x7f800000, v84
	v_cmp_ne_u32_e32 vcc, s15, v97
                                        ; implicit-def: $vgpr97
	s_and_saveexec_b64 s[28:29], vcc
	s_xor_b64 s[28:29], exec, s[28:29]
; %bb.48:                               ;   in Loop: Header=BB127_33 Depth=1
	v_bfe_u32 v97, v84, 16, 1
	v_add3_u32 v97, v84, v97, s14
; %bb.49:                               ;   in Loop: Header=BB127_33 Depth=1
	s_andn2_saveexec_b64 s[28:29], s[28:29]
; %bb.50:                               ;   in Loop: Header=BB127_33 Depth=1
	v_or_b32_e32 v97, 0x10000, v84
	v_cmp_eq_u32_sdwa vcc, v84, v95 src0_sel:WORD_0 src1_sel:DWORD
	v_cndmask_b32_e32 v97, v97, v84, vcc
; %bb.51:                               ;   in Loop: Header=BB127_33 Depth=1
	s_or_b64 exec, exec, s[28:29]
	v_and_b32_e32 v84, 0x7f800000, v85
	v_cmp_ne_u32_e32 vcc, s15, v84
                                        ; implicit-def: $vgpr84
	s_and_saveexec_b64 s[28:29], vcc
	s_xor_b64 s[28:29], exec, s[28:29]
; %bb.52:                               ;   in Loop: Header=BB127_33 Depth=1
	v_bfe_u32 v84, v85, 16, 1
	v_add3_u32 v84, v85, v84, s14
                                        ; implicit-def: $vgpr85
; %bb.53:                               ;   in Loop: Header=BB127_33 Depth=1
	s_andn2_saveexec_b64 s[28:29], s[28:29]
; %bb.54:                               ;   in Loop: Header=BB127_33 Depth=1
	v_or_b32_e32 v84, 0x10000, v85
	v_cmp_eq_u32_sdwa vcc, v85, v95 src0_sel:WORD_0 src1_sel:DWORD
	v_cndmask_b32_e32 v84, v84, v85, vcc
; %bb.55:                               ;   in Loop: Header=BB127_33 Depth=1
	s_or_b64 exec, exec, s[28:29]
	v_perm_b32 v84, v84, v97, s17
	ds_write_b32 v91, v84 offset:328
	s_andn2_b64 vcc, exec, s[22:23]
	v_mov_b32_e32 v84, 0
	v_mov_b32_e32 v85, 0
	s_cbranch_vccnz .LBB127_58
; %bb.56:                               ;   in Loop: Header=BB127_33 Depth=1
	ds_read_b32 v97, v90 offset:8
	v_mov_b32_e32 v85, 0
	v_mov_b32_e32 v84, 0
	s_waitcnt lgkmcnt(0)
	v_cmp_gt_i32_e32 vcc, 0, v97
	s_cbranch_vccnz .LBB127_58
; %bb.57:                               ;   in Loop: Header=BB127_33 Depth=1
	v_mul_lo_u32 v84, v97, s25
	v_add_u32_e32 v84, s36, v84
	v_add_u32_e32 v84, v84, v93
	v_ashrrev_i32_e32 v85, 31, v84
	v_lshlrev_b64 v[84:85], 2, v[84:85]
	v_mov_b32_e32 v97, s33
	v_add_co_u32_e32 v84, vcc, s27, v84
	v_addc_co_u32_e32 v85, vcc, v97, v85, vcc
	global_load_dwordx2 v[84:85], v[84:85], off
.LBB127_58:                             ;   in Loop: Header=BB127_33 Depth=1
	s_waitcnt vmcnt(0)
	v_and_b32_e32 v97, 0x7f800000, v84
	v_cmp_ne_u32_e32 vcc, s15, v97
                                        ; implicit-def: $vgpr97
	s_and_saveexec_b64 s[28:29], vcc
	s_xor_b64 s[28:29], exec, s[28:29]
; %bb.59:                               ;   in Loop: Header=BB127_33 Depth=1
	v_bfe_u32 v97, v84, 16, 1
	v_add3_u32 v97, v84, v97, s14
; %bb.60:                               ;   in Loop: Header=BB127_33 Depth=1
	s_andn2_saveexec_b64 s[28:29], s[28:29]
; %bb.61:                               ;   in Loop: Header=BB127_33 Depth=1
	v_or_b32_e32 v97, 0x10000, v84
	v_cmp_eq_u32_sdwa vcc, v84, v95 src0_sel:WORD_0 src1_sel:DWORD
	v_cndmask_b32_e32 v97, v97, v84, vcc
; %bb.62:                               ;   in Loop: Header=BB127_33 Depth=1
	s_or_b64 exec, exec, s[28:29]
	v_and_b32_e32 v84, 0x7f800000, v85
	v_cmp_ne_u32_e32 vcc, s15, v84
                                        ; implicit-def: $vgpr84
	s_and_saveexec_b64 s[28:29], vcc
	s_xor_b64 s[28:29], exec, s[28:29]
; %bb.63:                               ;   in Loop: Header=BB127_33 Depth=1
	v_bfe_u32 v84, v85, 16, 1
	v_add3_u32 v84, v85, v84, s14
                                        ; implicit-def: $vgpr85
; %bb.64:                               ;   in Loop: Header=BB127_33 Depth=1
	s_andn2_saveexec_b64 s[28:29], s[28:29]
; %bb.65:                               ;   in Loop: Header=BB127_33 Depth=1
	v_or_b32_e32 v84, 0x10000, v85
	v_cmp_eq_u32_sdwa vcc, v85, v95 src0_sel:WORD_0 src1_sel:DWORD
	v_cndmask_b32_e32 v84, v84, v85, vcc
; %bb.66:                               ;   in Loop: Header=BB127_33 Depth=1
	s_or_b64 exec, exec, s[28:29]
	v_perm_b32 v84, v84, v97, s17
	ds_write_b32 v91, v84 offset:592
	s_andn2_b64 vcc, exec, s[30:31]
	v_mov_b32_e32 v84, 0
	v_mov_b32_e32 v85, 0
	s_cbranch_vccnz .LBB127_69
; %bb.67:                               ;   in Loop: Header=BB127_33 Depth=1
	ds_read_b32 v97, v90 offset:12
	v_mov_b32_e32 v85, 0
	v_mov_b32_e32 v84, 0
	s_waitcnt lgkmcnt(0)
	v_cmp_gt_i32_e32 vcc, 0, v97
	s_cbranch_vccnz .LBB127_69
; %bb.68:                               ;   in Loop: Header=BB127_33 Depth=1
	v_mul_lo_u32 v84, v97, s25
	v_readlane_b32 s28, v103, 7
	v_add_u32_e32 v84, s28, v84
	v_add_u32_e32 v84, v84, v93
	v_ashrrev_i32_e32 v85, 31, v84
	v_lshlrev_b64 v[84:85], 2, v[84:85]
	v_mov_b32_e32 v97, s33
	v_add_co_u32_e32 v84, vcc, s27, v84
	v_addc_co_u32_e32 v85, vcc, v97, v85, vcc
	global_load_dwordx2 v[84:85], v[84:85], off
.LBB127_69:                             ;   in Loop: Header=BB127_33 Depth=1
	s_waitcnt vmcnt(0)
	v_and_b32_e32 v97, 0x7f800000, v84
	v_cmp_ne_u32_e32 vcc, s15, v97
                                        ; implicit-def: $vgpr97
	s_and_saveexec_b64 s[28:29], vcc
	s_xor_b64 s[28:29], exec, s[28:29]
; %bb.70:                               ;   in Loop: Header=BB127_33 Depth=1
	v_bfe_u32 v97, v84, 16, 1
	v_add3_u32 v97, v84, v97, s14
; %bb.71:                               ;   in Loop: Header=BB127_33 Depth=1
	s_andn2_saveexec_b64 s[28:29], s[28:29]
; %bb.72:                               ;   in Loop: Header=BB127_33 Depth=1
	v_or_b32_e32 v97, 0x10000, v84
	v_cmp_eq_u32_sdwa vcc, v84, v95 src0_sel:WORD_0 src1_sel:DWORD
	v_cndmask_b32_e32 v97, v97, v84, vcc
; %bb.73:                               ;   in Loop: Header=BB127_33 Depth=1
	s_or_b64 exec, exec, s[28:29]
	v_and_b32_e32 v84, 0x7f800000, v85
	v_cmp_ne_u32_e32 vcc, s15, v84
                                        ; implicit-def: $vgpr84
	s_and_saveexec_b64 s[28:29], vcc
	s_xor_b64 s[28:29], exec, s[28:29]
; %bb.74:                               ;   in Loop: Header=BB127_33 Depth=1
	v_bfe_u32 v84, v85, 16, 1
	v_add3_u32 v84, v85, v84, s14
                                        ; implicit-def: $vgpr85
; %bb.75:                               ;   in Loop: Header=BB127_33 Depth=1
	s_andn2_saveexec_b64 s[28:29], s[28:29]
	s_cbranch_execz .LBB127_32
; %bb.76:                               ;   in Loop: Header=BB127_33 Depth=1
	v_or_b32_e32 v84, 0x10000, v85
	v_cmp_eq_u32_sdwa vcc, v85, v95 src0_sel:WORD_0 src1_sel:DWORD
	v_cndmask_b32_e32 v84, v84, v85, vcc
	s_branch .LBB127_32
.LBB127_77:
	s_or_b64 exec, exec, s[18:19]
	v_readlane_b32 s44, v103, 3
	v_readlane_b32 s36, v103, 0
	;; [unrolled: 1-line block ×7, first 2 shown]
.LBB127_78:
	s_or_b64 exec, exec, s[4:5]
	v_mul_u32_u24_e32 v0, 0x208, v88
	s_movk_i32 s5, 0x100
	v_lshlrev_b32_e32 v1, 2, v87
	v_add3_u32 v0, s5, v0, v1
	v_and_b32_e32 v2, 0x3f0, v16
	v_add_u32_e32 v3, v0, v2
	s_barrier
	ds_write2_b32 v3, a12, a13 offset0:16 offset1:17
	v_or_b32_e32 v3, 12, v16
	v_add_u32_e32 v1, 64, v0
	v_and_b32_e32 v3, 0x3fc, v3
	v_add_u32_e32 v2, v1, v2
	v_add_u32_e32 v0, v0, v3
	ds_write_b32 v2, a14 offset:8
	ds_write_b32 v0, a15 offset:64
	ds_write2_b32 v2, a4, a5 offset0:16 offset1:17
	ds_write_b32 v2, a6 offset:72
	v_add_u32_e32 v0, v1, v3
	ds_write_b32 v0, a7 offset:64
	ds_write2_b32 v2, a0, a1 offset0:32 offset1:33
	ds_write_b32 v2, a2 offset:136
	ds_write_b32 v0, a3 offset:128
	ds_write2_b32 v2, a8, a9 offset0:48 offset1:49
	ds_write_b32 v2, a10 offset:200
	ds_write_b32 v0, a11 offset:192
	v_mov_b32_e32 v2, 0x100
	s_movk_i32 s4, 0x208
	v_lshl_add_u32 v3, v16, 2, v2
	v_mad_u32_u24 v0, v17, s4, v3
	s_waitcnt lgkmcnt(0)
	s_barrier
	ds_read2_b32 v[0:1], v0 offset0:16 offset1:80
	v_cmp_gt_u32_e32 vcc, 4, v17
	v_mov_b32_e32 v5, -1
	s_and_saveexec_b64 s[4:5], vcc
	s_cbranch_execz .LBB127_80
; %bb.79:
	v_lshl_add_u32 v2, v17, 2, v2
	ds_read_b32 v5, v2
.LBB127_80:
	s_or_b64 exec, exec, s[4:5]
	s_mul_hi_i32 s5, s46, s8
	s_mul_i32 s4, s46, s8
	s_lshl_b64 s[4:5], s[4:5], 2
	s_mul_hi_i32 s7, s9, s21
	s_mul_i32 s6, s9, s21
	s_add_u32 s8, s36, s4
	s_addc_u32 s9, s37, s5
	s_lshl_b64 s[4:5], s[6:7], 2
	s_add_u32 s4, s8, s4
	s_waitcnt lgkmcnt(0)
	v_cmp_lt_i32_e32 vcc, -1, v5
	v_mul_u32_u24_e32 v4, 0x208, v17
	v_add_u32_e32 v2, s15, v16
	s_addc_u32 s5, s9, s5
	s_and_b64 s[6:7], vcc, s[0:1]
	s_and_saveexec_b64 s[0:1], s[6:7]
	s_cbranch_execz .LBB127_82
; %bb.81:
	v_add_f32_e32 v0, 0, v0
	v_add_f32_e32 v6, v0, v1
	v_mul_lo_u32 v0, v5, s26
	v_mul_lo_u32 v1, v17, s21
	v_add3_u32 v0, v2, v1, v0
	v_mov_b32_e32 v1, 0
	v_lshlrev_b64 v[0:1], 2, v[0:1]
	v_mov_b32_e32 v5, s5
	v_add_co_u32_e32 v0, vcc, s4, v0
	v_addc_co_u32_e32 v1, vcc, v5, v1, vcc
	global_store_dword v[0:1], v6, off
.LBB127_82:
	s_or_b64 exec, exec, s[0:1]
	v_add_u32_e32 v0, v4, v3
	v_add_u32_e32 v0, 0x50, v0
	ds_read2st64_b32 v[0:1], v0 offset0:4 offset1:5
	v_cmp_gt_u32_e32 vcc, 2, v17
	v_mov_b32_e32 v3, -1
	s_and_saveexec_b64 s[0:1], vcc
	s_cbranch_execz .LBB127_84
; %bb.83:
	v_mov_b32_e32 v3, 0x100
	v_lshl_add_u32 v3, v17, 2, v3
	ds_read_b32 v3, v3 offset:8
.LBB127_84:
	s_or_b64 exec, exec, s[0:1]
	s_waitcnt lgkmcnt(0)
	v_cmp_lt_i32_e32 vcc, -1, v3
	s_and_b64 s[0:1], vcc, s[2:3]
	s_and_saveexec_b64 s[2:3], s[0:1]
	s_cbranch_execz .LBB127_86
; %bb.85:
	v_add_f32_e32 v0, 0, v0
	v_add_f32_e32 v4, v0, v1
	v_mul_lo_u32 v0, v3, s26
	v_mul_lo_u32 v1, v86, s21
	v_add3_u32 v0, v2, v1, v0
	v_mov_b32_e32 v1, 0
	v_lshlrev_b64 v[0:1], 2, v[0:1]
	v_mov_b32_e32 v2, s5
	v_add_co_u32_e32 v0, vcc, s4, v0
	v_addc_co_u32_e32 v1, vcc, v2, v1, vcc
	global_store_dword v[0:1], v4, off
.LBB127_86:
	s_endpgm
	.section	.rodata,"a",@progbits
	.p2align	6, 0x0
	.amdhsa_kernel _ZL9mul_mat_fI15__hip_bfloat162Li64ELi4ELi2ELb1EEvPKT_PKfPKiPfiiiiiiiiiiiiiiii
		.amdhsa_group_segment_fixed_size 256
		.amdhsa_private_segment_fixed_size 0
		.amdhsa_kernarg_size 352
		.amdhsa_user_sgpr_count 6
		.amdhsa_user_sgpr_private_segment_buffer 1
		.amdhsa_user_sgpr_dispatch_ptr 0
		.amdhsa_user_sgpr_queue_ptr 0
		.amdhsa_user_sgpr_kernarg_segment_ptr 1
		.amdhsa_user_sgpr_dispatch_id 0
		.amdhsa_user_sgpr_flat_scratch_init 0
		.amdhsa_user_sgpr_kernarg_preload_length 0
		.amdhsa_user_sgpr_kernarg_preload_offset 0
		.amdhsa_user_sgpr_private_segment_size 0
		.amdhsa_uses_dynamic_stack 0
		.amdhsa_system_sgpr_private_segment_wavefront_offset 0
		.amdhsa_system_sgpr_workgroup_id_x 1
		.amdhsa_system_sgpr_workgroup_id_y 1
		.amdhsa_system_sgpr_workgroup_id_z 1
		.amdhsa_system_sgpr_workgroup_info 0
		.amdhsa_system_vgpr_workitem_id 2
		.amdhsa_next_free_vgpr 124
		.amdhsa_next_free_sgpr 96
		.amdhsa_accum_offset 104
		.amdhsa_reserve_vcc 1
		.amdhsa_reserve_flat_scratch 0
		.amdhsa_float_round_mode_32 0
		.amdhsa_float_round_mode_16_64 0
		.amdhsa_float_denorm_mode_32 3
		.amdhsa_float_denorm_mode_16_64 3
		.amdhsa_dx10_clamp 1
		.amdhsa_ieee_mode 1
		.amdhsa_fp16_overflow 0
		.amdhsa_tg_split 0
		.amdhsa_exception_fp_ieee_invalid_op 0
		.amdhsa_exception_fp_denorm_src 0
		.amdhsa_exception_fp_ieee_div_zero 0
		.amdhsa_exception_fp_ieee_overflow 0
		.amdhsa_exception_fp_ieee_underflow 0
		.amdhsa_exception_fp_ieee_inexact 0
		.amdhsa_exception_int_div_zero 0
	.end_amdhsa_kernel
	.section	.text._ZL9mul_mat_fI15__hip_bfloat162Li64ELi4ELi2ELb1EEvPKT_PKfPKiPfiiiiiiiiiiiiiiii,"axG",@progbits,_ZL9mul_mat_fI15__hip_bfloat162Li64ELi4ELi2ELb1EEvPKT_PKfPKiPfiiiiiiiiiiiiiiii,comdat
.Lfunc_end127:
	.size	_ZL9mul_mat_fI15__hip_bfloat162Li64ELi4ELi2ELb1EEvPKT_PKfPKiPfiiiiiiiiiiiiiiii, .Lfunc_end127-_ZL9mul_mat_fI15__hip_bfloat162Li64ELi4ELi2ELb1EEvPKT_PKfPKiPfiiiiiiiiiiiiiiii
                                        ; -- End function
	.section	.AMDGPU.csdata,"",@progbits
; Kernel info:
; codeLenInByte = 7640
; NumSgprs: 100
; NumVgprs: 104
; NumAgprs: 20
; TotalNumVgprs: 124
; ScratchSize: 0
; MemoryBound: 0
; FloatMode: 240
; IeeeMode: 1
; LDSByteSize: 256 bytes/workgroup (compile time only)
; SGPRBlocks: 12
; VGPRBlocks: 15
; NumSGPRsForWavesPerEU: 100
; NumVGPRsForWavesPerEU: 124
; AccumOffset: 104
; Occupancy: 4
; WaveLimiterHint : 0
; COMPUTE_PGM_RSRC2:SCRATCH_EN: 0
; COMPUTE_PGM_RSRC2:USER_SGPR: 6
; COMPUTE_PGM_RSRC2:TRAP_HANDLER: 0
; COMPUTE_PGM_RSRC2:TGID_X_EN: 1
; COMPUTE_PGM_RSRC2:TGID_Y_EN: 1
; COMPUTE_PGM_RSRC2:TGID_Z_EN: 1
; COMPUTE_PGM_RSRC2:TIDIG_COMP_CNT: 2
; COMPUTE_PGM_RSRC3_GFX90A:ACCUM_OFFSET: 25
; COMPUTE_PGM_RSRC3_GFX90A:TG_SPLIT: 0
	.section	.text._ZL9mul_mat_fI15__hip_bfloat162Li64ELi4ELi2ELb0EEvPKT_PKfPKiPfiiiiiiiiiiiiiiii,"axG",@progbits,_ZL9mul_mat_fI15__hip_bfloat162Li64ELi4ELi2ELb0EEvPKT_PKfPKiPfiiiiiiiiiiiiiiii,comdat
	.globl	_ZL9mul_mat_fI15__hip_bfloat162Li64ELi4ELi2ELb0EEvPKT_PKfPKiPfiiiiiiiiiiiiiiii ; -- Begin function _ZL9mul_mat_fI15__hip_bfloat162Li64ELi4ELi2ELb0EEvPKT_PKfPKiPfiiiiiiiiiiiiiiii
	.p2align	8
	.type	_ZL9mul_mat_fI15__hip_bfloat162Li64ELi4ELi2ELb0EEvPKT_PKfPKiPfiiiiiiiiiiiiiiii,@function
_ZL9mul_mat_fI15__hip_bfloat162Li64ELi4ELi2ELb0EEvPKT_PKfPKiPfiiiiiiiiiiiiiiii: ; @_ZL9mul_mat_fI15__hip_bfloat162Li64ELi4ELi2ELb0EEvPKT_PKfPKiPfiiiiiiiiiiiiiiii
; %bb.0:
	s_load_dwordx8 s[12:19], s[4:5], 0x40
	s_load_dword s9, s[4:5], 0x20
	s_load_dwordx4 s[0:3], s[4:5], 0x2c
	v_bfe_u32 v86, v0, 10, 10
	v_lshlrev_b32_e32 v88, 6, v86
	v_and_b32_e32 v87, 0x3ff, v0
	s_waitcnt lgkmcnt(0)
	s_abs_i32 s27, s12
	s_abs_i32 s26, s16
	v_cvt_f32_u32_e32 v1, s27
	v_cvt_f32_u32_e32 v2, s26
	v_add_u32_e32 v91, v88, v87
	s_mov_b32 s22, 0
	v_rcp_iflag_f32_e32 v1, v1
	v_rcp_iflag_f32_e32 v2, v2
	s_ashr_i32 s28, s8, 31
	v_cmp_le_i32_e32 vcc, s9, v91
	v_mul_f32_e32 v1, 0x4f7ffffe, v1
	v_mul_f32_e32 v2, 0x4f7ffffe, v2
	v_cvt_u32_f32_e32 v1, v1
	v_cvt_u32_f32_e32 v2, v2
	v_and_b32_e32 v89, 15, v87
	v_readfirstlane_b32 s21, v1
	v_readfirstlane_b32 s20, v2
	s_and_saveexec_b64 s[10:11], vcc
	s_xor_b64 s[10:11], exec, s[10:11]
; %bb.1:
	v_and_b32_e32 v89, 15, v87
                                        ; implicit-def: $vgpr91
; %bb.2:
	s_or_saveexec_b64 s[24:25], s[10:11]
	s_load_dwordx2 s[10:11], s[4:5], 0x18
	s_lshl_b32 s3, s6, 6
	v_accvgpr_write_b32 a0, s22
	v_accvgpr_write_b32 a1, s22
	;; [unrolled: 1-line block ×16, first 2 shown]
	v_lshlrev_b32_e32 v90, 2, v87
	s_xor_b64 exec, exec, s[24:25]
	s_cbranch_execz .LBB128_38
; %bb.3:
	s_sub_i32 s6, 0, s27
	s_sub_i32 s22, 0, s26
	s_mul_i32 s6, s6, s21
	s_mul_i32 s22, s22, s20
	s_mul_hi_u32 s6, s21, s6
	s_mul_hi_u32 s22, s20, s22
	s_abs_i32 s29, s7
	s_add_i32 s6, s21, s6
	s_add_i32 s31, s20, s22
	s_load_dwordx4 s[20:23], s[4:5], 0x0
	s_mul_hi_u32 s4, s29, s6
	s_ashr_i32 s6, s7, 31
	s_ashr_i32 s12, s12, 31
	s_xor_b32 s6, s6, s12
	s_mul_i32 s12, s4, s27
	s_abs_i32 s30, s8
	s_sub_i32 s12, s29, s12
	s_mul_hi_u32 s5, s30, s31
	s_ashr_i32 s16, s16, 31
	s_add_i32 s29, s4, 1
	s_sub_i32 s31, s12, s27
	s_cmp_ge_u32 s12, s27
	s_cselect_b32 s4, s29, s4
	s_cselect_b32 s12, s31, s12
	s_add_i32 s29, s4, 1
	s_cmp_ge_u32 s12, s27
	s_cselect_b32 s4, s29, s4
	s_mul_i32 s12, s5, s26
	s_xor_b32 s4, s4, s6
	s_sub_i32 s12, s30, s12
	s_sub_i32 s6, s4, s6
	s_xor_b32 s4, s28, s16
	s_add_i32 s16, s5, 1
	s_sub_i32 s27, s12, s26
	s_cmp_ge_u32 s12, s26
	s_cselect_b32 s5, s16, s5
	s_cselect_b32 s12, s27, s12
	s_add_i32 s16, s5, 1
	s_cmp_ge_u32 s12, s26
	s_cselect_b32 s5, s16, s5
	s_xor_b32 s5, s5, s4
	s_sub_i32 s4, s5, s4
	s_mul_hi_i32 s5, s4, s17
	s_mul_i32 s4, s4, s17
	s_mul_i32 s12, s6, s13
	s_ashr_i32 s13, s12, 31
	s_lshl_b64 s[26:27], s[4:5], 2
	s_mul_i32 s16, s3, s0
	s_waitcnt lgkmcnt(0)
	s_add_u32 s6, s20, s26
	s_addc_u32 s29, s21, s27
	s_ashr_i32 s17, s16, 31
	s_lshl_b64 s[16:17], s[16:17], 2
	s_lshl_b64 s[12:13], s[12:13], 2
	s_add_u32 s30, s12, s16
	s_addc_u32 s31, s13, s17
	s_mul_i32 s28, s7, s14
	s_add_u32 s6, s30, s6
	s_mul_hi_i32 s5, s18, s8
	s_mul_i32 s4, s18, s8
	s_addc_u32 s76, s31, s29
	s_ashr_i32 s29, s28, 31
	s_lshl_b64 s[16:17], s[4:5], 2
	s_lshl_b64 s[4:5], s[28:29], 2
	s_add_u32 s22, s22, s4
	s_addc_u32 s23, s23, s5
	s_add_u32 s14, s22, s16
	s_movk_i32 s4, 0x1080
	s_addc_u32 s18, s23, s17
	v_mad_u32_u24 v0, v86, s4, 0
	s_ashr_i32 s5, s0, 31
	s_mov_b32 s4, s0
	v_lshrrev_b32_e32 v2, 1, v87
	s_ashr_i32 s13, s1, 31
	s_lshl_b64 s[4:5], s[4:5], 2
	v_mul_u32_u24_e32 v1, 0x108, v89
	v_and_b32_e32 v2, 0x1f8, v2
	s_add_u32 s26, s30, s26
	v_add_u32_e32 v92, v0, v90
	v_add3_u32 v93, v0, v1, v2
	v_lshlrev_b32_e32 v0, 8, v86
	s_addc_u32 s27, s31, s27
	v_mov_b32_e32 v1, s27
	v_add_co_u32_e32 v0, vcc, s26, v0
	v_addc_co_u32_e32 v1, vcc, 0, v1, vcc
	v_add_co_u32_e32 v0, vcc, v0, v90
	v_addc_co_u32_e32 v1, vcc, 0, v1, vcc
	v_mov_b32_e32 v2, s21
	v_add_co_u32_e32 v16, vcc, s20, v0
	v_addc_co_u32_e32 v17, vcc, v2, v1, vcc
	v_lshlrev_b32_e32 v0, 9, v86
	v_mov_b32_e32 v1, s17
	v_add_co_u32_e32 v0, vcc, s16, v0
	v_addc_co_u32_e32 v1, vcc, 0, v1, vcc
	v_lshlrev_b32_e32 v2, 3, v87
	v_add_co_u32_e32 v0, vcc, v0, v2
	v_addc_co_u32_e32 v1, vcc, 0, v1, vcc
	s_mov_b32 s12, s1
	v_mov_b32_e32 v2, s23
	v_add_co_u32_e32 v18, vcc, s22, v0
	s_lshl_b64 s[12:13], s[12:13], 3
	v_addc_co_u32_e32 v19, vcc, v2, v1, vcc
	s_mul_i32 s20, s0, 63
	s_lshl_b32 s21, s1, 1
	s_mul_i32 s22, s1, 3
	s_lshl_b32 s23, s0, 1
	;; [unrolled: 2-line block ×3, first 2 shown]
	s_mul_i32 s28, s0, 5
	s_mul_i32 s29, s0, 6
	;; [unrolled: 1-line block ×3, first 2 shown]
	s_lshl_b32 s31, s0, 3
	s_mul_i32 s33, s0, 9
	s_mul_i32 s34, s0, 10
	;; [unrolled: 1-line block ×7, first 2 shown]
	s_lshl_b32 s40, s0, 4
	s_mul_i32 s41, s0, 17
	s_mul_i32 s42, s0, 18
	;; [unrolled: 1-line block ×15, first 2 shown]
	s_lshl_b32 s56, s0, 5
	s_mul_i32 s57, s0, 33
	s_mul_i32 s58, s0, 34
	;; [unrolled: 1-line block ×19, first 2 shown]
	v_mov_b32_e32 v94, s76
	s_mul_i32 s76, s0, 52
	v_mov_b32_e32 v95, 0
	v_accvgpr_write_b32 a15, 0
	v_accvgpr_write_b32 a14, 0
	;; [unrolled: 1-line block ×16, first 2 shown]
	v_mov_b32_e32 v96, s5
	s_mul_i32 s5, s0, 53
	s_mul_i32 s77, s0, 54
	;; [unrolled: 1-line block ×10, first 2 shown]
	s_mov_b32 s86, 0x7f800000
	s_movk_i32 s87, 0x7fff
	s_mov_b32 s88, 0x7060302
	s_mov_b64 s[0:1], 0
	s_branch .LBB128_5
.LBB128_4:                              ;   in Loop: Header=BB128_5 Depth=1
	s_or_b64 exec, exec, s[16:17]
	v_perm_b32 v84, v98, v97, s88
	v_add_u32_e32 v85, 0x200, v92
	ds_write2_b32 v85, v84, v95 offset0:70 offset1:136
	v_add_u32_e32 v84, 0x400, v92
	ds_write2_b32 v84, v95, v95 offset0:74 offset1:140
	;; [unrolled: 2-line block ×6, first 2 shown]
	ds_write_b32 v92, v95 offset:3960
	ds_read2_b64 v[98:101], v93 offset1:4
	v_accvgpr_write_b32 a0, v0
	v_accvgpr_write_b32 a4, v4
	;; [unrolled: 1-line block ×16, first 2 shown]
	s_waitcnt lgkmcnt(0)
	v_mfma_f32_16x16x16bf16_1k a[0:3], v[38:39], v[98:99], a[0:3]
	ds_read2_b64 v[0:3], v93 offset0:8 offset1:12
	v_add_co_u32_e32 v16, vcc, 0x200, v16
	v_addc_co_u32_e32 v17, vcc, 0, v17, vcc
	v_add_co_u32_e32 v18, vcc, 0x400, v18
	v_mfma_f32_16x16x16bf16_1k a[4:7], v[52:53], v[98:99], a[4:7]
	v_add_u32_e32 v91, 0x80, v91
	v_addc_co_u32_e32 v19, vcc, 0, v19, vcc
	v_cmp_le_i32_e32 vcc, s9, v91
	s_or_b64 s[0:1], vcc, s[0:1]
	v_mfma_f32_16x16x16bf16_1k a[8:11], v[68:69], v[98:99], a[8:11]
	v_mfma_f32_16x16x16bf16_1k a[12:15], v[82:83], v[98:99], a[12:15]
	;; [unrolled: 1-line block ×6, first 2 shown]
	s_waitcnt lgkmcnt(0)
	v_mfma_f32_16x16x16bf16_1k a[0:3], v[30:31], v[0:1], a[0:3]
	v_mfma_f32_16x16x16bf16_1k a[4:7], v[46:47], v[0:1], a[4:7]
	;; [unrolled: 1-line block ×8, first 2 shown]
	ds_read2_b64 v[0:3], v93 offset0:16 offset1:20
	s_waitcnt lgkmcnt(0)
	v_mfma_f32_16x16x16bf16_1k a[0:3], v[26:27], v[0:1], a[0:3]
	v_mfma_f32_16x16x16bf16_1k a[4:7], v[42:43], v[0:1], a[4:7]
	;; [unrolled: 1-line block ×8, first 2 shown]
	ds_read2_b64 v[0:3], v93 offset0:24 offset1:28
	s_waitcnt lgkmcnt(0)
	v_mfma_f32_16x16x16bf16_1k a[0:3], v[22:23], v[0:1], a[0:3]
	v_mfma_f32_16x16x16bf16_1k a[4:7], v[36:37], v[0:1], a[4:7]
	;; [unrolled: 1-line block ×8, first 2 shown]
	s_andn2_b64 exec, exec, s[0:1]
	s_cbranch_execz .LBB128_37
.LBB128_5:                              ; =>This Inner Loop Header: Depth=1
	v_add_co_u32_e32 v0, vcc, s4, v16
	v_addc_co_u32_e32 v1, vcc, v17, v96, vcc
	global_load_dword v20, v[16:17], off
	global_load_dword v21, v[0:1], off
	v_add_u32_e32 v0, s23, v91
	v_ashrrev_i32_e32 v1, 31, v0
	v_lshlrev_b64 v[0:1], 2, v[0:1]
	v_add_u32_e32 v2, s26, v91
	v_add_co_u32_e32 v0, vcc, s6, v0
	v_ashrrev_i32_e32 v3, 31, v2
	v_addc_co_u32_e32 v1, vcc, v94, v1, vcc
	v_lshlrev_b64 v[2:3], 2, v[2:3]
	v_add_u32_e32 v4, s27, v91
	v_add_co_u32_e32 v2, vcc, s6, v2
	v_ashrrev_i32_e32 v5, 31, v4
	v_addc_co_u32_e32 v3, vcc, v94, v3, vcc
	;; [unrolled: 5-line block ×6, first 2 shown]
	v_lshlrev_b64 v[12:13], 2, v[12:13]
	v_add_co_u32_e32 v12, vcc, s6, v12
	v_addc_co_u32_e32 v13, vcc, v94, v13, vcc
	global_load_dword v22, v[0:1], off
	global_load_dword v23, v[2:3], off
	;; [unrolled: 1-line block ×7, first 2 shown]
	v_add_u32_e32 v12, s33, v91
	v_ashrrev_i32_e32 v13, 31, v12
	v_lshlrev_b64 v[12:13], 2, v[12:13]
	v_add_co_u32_e32 v12, vcc, s6, v12
	v_addc_co_u32_e32 v13, vcc, v94, v13, vcc
	v_add_u32_e32 v30, s39, v91
	v_ashrrev_i32_e32 v31, 31, v30
	v_lshlrev_b64 v[30:31], 2, v[30:31]
	v_add_u32_e32 v32, s40, v91
	v_ashrrev_i32_e32 v33, 31, v32
	v_lshlrev_b64 v[32:33], 2, v[32:33]
	;; [unrolled: 3-line block ×6, first 2 shown]
	s_waitcnt vmcnt(8)
	ds_write_b32 v92, v20
	s_waitcnt vmcnt(7)
	ds_write_b32 v92, v21 offset:264
	v_add_u32_e32 v20, s34, v91
	v_ashrrev_i32_e32 v21, 31, v20
	global_load_dword v12, v[12:13], off
	v_lshlrev_b64 v[20:21], 2, v[20:21]
	v_add_co_u32_e32 v20, vcc, s6, v20
	v_addc_co_u32_e32 v21, vcc, v94, v21, vcc
	v_add_u32_e32 v42, s49, v91
	v_ashrrev_i32_e32 v43, 31, v42
	v_lshlrev_b64 v[42:43], 2, v[42:43]
	v_accvgpr_read_b32 v3, a15
	v_accvgpr_read_b32 v2, a14
	s_waitcnt vmcnt(7)
	ds_write_b32 v92, v22 offset:528
	s_waitcnt vmcnt(6)
	ds_write_b32 v92, v23 offset:792
	;; [unrolled: 2-line block ×7, first 2 shown]
	v_add_u32_e32 v22, s35, v91
	v_ashrrev_i32_e32 v23, 31, v22
	v_lshlrev_b64 v[22:23], 2, v[22:23]
	v_add_u32_e32 v24, s36, v91
	v_add_co_u32_e32 v22, vcc, s6, v22
	v_ashrrev_i32_e32 v25, 31, v24
	v_addc_co_u32_e32 v23, vcc, v94, v23, vcc
	v_lshlrev_b64 v[24:25], 2, v[24:25]
	v_add_u32_e32 v26, s37, v91
	v_add_co_u32_e32 v24, vcc, s6, v24
	v_ashrrev_i32_e32 v27, 31, v26
	v_addc_co_u32_e32 v25, vcc, v94, v25, vcc
	;; [unrolled: 5-line block ×3, first 2 shown]
	v_lshlrev_b64 v[28:29], 2, v[28:29]
	v_add_co_u32_e32 v28, vcc, s6, v28
	v_addc_co_u32_e32 v29, vcc, v94, v29, vcc
	v_add_co_u32_e32 v30, vcc, s6, v30
	v_addc_co_u32_e32 v31, vcc, v94, v31, vcc
	v_add_co_u32_e32 v32, vcc, s6, v32
	v_addc_co_u32_e32 v33, vcc, v94, v33, vcc
	v_add_co_u32_e32 v34, vcc, s6, v34
	v_addc_co_u32_e32 v35, vcc, v94, v35, vcc
	global_load_dword v20, v[20:21], off
	s_nop 0
	global_load_dword v21, v[22:23], off
	s_nop 0
	global_load_dword v22, v[24:25], off
	global_load_dword v23, v[26:27], off
	s_nop 0
	global_load_dword v24, v[28:29], off
	global_load_dword v25, v[30:31], off
	;; [unrolled: 1-line block ×3, first 2 shown]
	s_nop 0
	global_load_dword v34, v[34:35], off
	v_add_u32_e32 v26, s42, v91
	v_ashrrev_i32_e32 v27, 31, v26
	v_lshlrev_b64 v[26:27], 2, v[26:27]
	v_add_u32_e32 v28, s43, v91
	v_add_co_u32_e32 v26, vcc, s6, v26
	v_ashrrev_i32_e32 v29, 31, v28
	v_addc_co_u32_e32 v27, vcc, v94, v27, vcc
	v_lshlrev_b64 v[28:29], 2, v[28:29]
	v_add_u32_e32 v30, s44, v91
	v_add_co_u32_e32 v28, vcc, s6, v28
	v_ashrrev_i32_e32 v31, 31, v30
	v_addc_co_u32_e32 v29, vcc, v94, v29, vcc
	;; [unrolled: 5-line block ×3, first 2 shown]
	v_lshlrev_b64 v[32:33], 2, v[32:33]
	v_add_co_u32_e32 v32, vcc, s6, v32
	v_addc_co_u32_e32 v33, vcc, v94, v33, vcc
	v_add_co_u32_e32 v36, vcc, s6, v36
	v_addc_co_u32_e32 v37, vcc, v94, v37, vcc
	;; [unrolled: 2-line block ×5, first 2 shown]
	global_load_dword v35, v[26:27], off
	global_load_dword v44, v[28:29], off
	global_load_dword v45, v[30:31], off
	global_load_dword v46, v[32:33], off
	global_load_dword v47, v[36:37], off
	global_load_dword v48, v[38:39], off
	global_load_dword v49, v[40:41], off
	global_load_dword v50, v[42:43], off
	v_add_u32_e32 v26, s50, v91
	v_ashrrev_i32_e32 v27, 31, v26
	v_lshlrev_b64 v[26:27], 2, v[26:27]
	v_add_u32_e32 v28, s51, v91
	v_add_co_u32_e32 v26, vcc, s6, v26
	v_ashrrev_i32_e32 v29, 31, v28
	v_addc_co_u32_e32 v27, vcc, v94, v27, vcc
	v_lshlrev_b64 v[28:29], 2, v[28:29]
	v_add_u32_e32 v30, s52, v91
	v_add_co_u32_e32 v28, vcc, s6, v28
	v_ashrrev_i32_e32 v31, 31, v30
	v_addc_co_u32_e32 v29, vcc, v94, v29, vcc
	v_lshlrev_b64 v[30:31], 2, v[30:31]
	v_add_u32_e32 v32, s53, v91
	v_add_co_u32_e32 v30, vcc, s6, v30
	v_ashrrev_i32_e32 v33, 31, v32
	v_addc_co_u32_e32 v31, vcc, v94, v31, vcc
	v_lshlrev_b64 v[32:33], 2, v[32:33]
	v_add_u32_e32 v36, s54, v91
	v_add_co_u32_e32 v32, vcc, s6, v32
	v_ashrrev_i32_e32 v37, 31, v36
	v_addc_co_u32_e32 v33, vcc, v94, v33, vcc
	v_lshlrev_b64 v[36:37], 2, v[36:37]
	v_add_u32_e32 v38, s55, v91
	v_add_co_u32_e32 v36, vcc, s6, v36
	v_ashrrev_i32_e32 v39, 31, v38
	v_addc_co_u32_e32 v37, vcc, v94, v37, vcc
	v_lshlrev_b64 v[38:39], 2, v[38:39]
	v_add_u32_e32 v40, s56, v91
	v_add_co_u32_e32 v38, vcc, s6, v38
	v_ashrrev_i32_e32 v41, 31, v40
	v_addc_co_u32_e32 v39, vcc, v94, v39, vcc
	v_lshlrev_b64 v[40:41], 2, v[40:41]
	v_add_u32_e32 v42, s57, v91
	v_add_co_u32_e32 v40, vcc, s6, v40
	v_ashrrev_i32_e32 v43, 31, v42
	v_addc_co_u32_e32 v41, vcc, v94, v41, vcc
	v_lshlrev_b64 v[42:43], 2, v[42:43]
	v_add_co_u32_e32 v42, vcc, s6, v42
	v_addc_co_u32_e32 v43, vcc, v94, v43, vcc
	global_load_dword v51, v[26:27], off
	global_load_dword v52, v[28:29], off
	global_load_dword v53, v[30:31], off
	global_load_dword v54, v[32:33], off
	global_load_dword v55, v[36:37], off
	global_load_dword v56, v[38:39], off
	global_load_dword v57, v[40:41], off
	global_load_dword v58, v[42:43], off
	v_add_u32_e32 v26, s58, v91
	v_ashrrev_i32_e32 v27, 31, v26
	v_lshlrev_b64 v[26:27], 2, v[26:27]
	v_add_u32_e32 v28, s59, v91
	v_add_co_u32_e32 v26, vcc, s6, v26
	v_ashrrev_i32_e32 v29, 31, v28
	v_addc_co_u32_e32 v27, vcc, v94, v27, vcc
	v_lshlrev_b64 v[28:29], 2, v[28:29]
	v_add_u32_e32 v30, s60, v91
	v_add_co_u32_e32 v28, vcc, s6, v28
	v_ashrrev_i32_e32 v31, 31, v30
	v_addc_co_u32_e32 v29, vcc, v94, v29, vcc
	v_lshlrev_b64 v[30:31], 2, v[30:31]
	v_add_u32_e32 v32, s61, v91
	v_add_co_u32_e32 v30, vcc, s6, v30
	v_ashrrev_i32_e32 v33, 31, v32
	v_addc_co_u32_e32 v31, vcc, v94, v31, vcc
	v_lshlrev_b64 v[32:33], 2, v[32:33]
	v_add_u32_e32 v36, s62, v91
	v_add_co_u32_e32 v32, vcc, s6, v32
	v_ashrrev_i32_e32 v37, 31, v36
	v_addc_co_u32_e32 v33, vcc, v94, v33, vcc
	v_lshlrev_b64 v[36:37], 2, v[36:37]
	v_add_u32_e32 v38, s63, v91
	v_add_co_u32_e32 v36, vcc, s6, v36
	v_ashrrev_i32_e32 v39, 31, v38
	v_addc_co_u32_e32 v37, vcc, v94, v37, vcc
	v_lshlrev_b64 v[38:39], 2, v[38:39]
	v_add_u32_e32 v40, s64, v91
	v_add_co_u32_e32 v38, vcc, s6, v38
	v_ashrrev_i32_e32 v41, 31, v40
	v_addc_co_u32_e32 v39, vcc, v94, v39, vcc
	v_lshlrev_b64 v[40:41], 2, v[40:41]
	v_add_u32_e32 v42, s65, v91
	v_add_co_u32_e32 v40, vcc, s6, v40
	v_ashrrev_i32_e32 v43, 31, v42
	v_addc_co_u32_e32 v41, vcc, v94, v41, vcc
	v_lshlrev_b64 v[42:43], 2, v[42:43]
	v_add_co_u32_e32 v42, vcc, s6, v42
	v_addc_co_u32_e32 v43, vcc, v94, v43, vcc
	;; [unrolled: 48-line block ×4, first 2 shown]
	global_load_dword v75, v[26:27], off
	global_load_dword v76, v[28:29], off
	;; [unrolled: 1-line block ×8, first 2 shown]
	v_add_u32_e32 v26, s81, v91
	v_ashrrev_i32_e32 v27, 31, v26
	v_lshlrev_b64 v[26:27], 2, v[26:27]
	v_add_u32_e32 v28, s82, v91
	v_add_co_u32_e32 v26, vcc, s6, v26
	v_ashrrev_i32_e32 v29, 31, v28
	v_addc_co_u32_e32 v27, vcc, v94, v27, vcc
	v_lshlrev_b64 v[28:29], 2, v[28:29]
	v_add_u32_e32 v30, s83, v91
	v_add_co_u32_e32 v28, vcc, s6, v28
	v_ashrrev_i32_e32 v31, 31, v30
	v_addc_co_u32_e32 v29, vcc, v94, v29, vcc
	;; [unrolled: 5-line block ×5, first 2 shown]
	v_lshlrev_b64 v[38:39], 2, v[38:39]
	v_add_co_u32_e32 v38, vcc, s6, v38
	v_addc_co_u32_e32 v39, vcc, v94, v39, vcc
	global_load_dword v83, v[26:27], off
	global_load_dword v97, v[28:29], off
	;; [unrolled: 1-line block ×6, first 2 shown]
	s_waitcnt vmcnt(54)
	ds_write_b32 v92, v12 offset:2376
	s_waitcnt vmcnt(53)
	ds_write_b32 v92, v20 offset:2640
	;; [unrolled: 2-line block ×7, first 2 shown]
	global_load_dwordx2 v[84:85], v[18:19], off
	ds_read_b64 v[38:39], v93
	ds_read_b64 v[32:33], v93 offset:32
	ds_read_b64 v[30:31], v93 offset:64
	ds_read_b64 v[28:29], v93 offset:96
	ds_read_b64 v[26:27], v93 offset:128
	ds_read_b64 v[24:25], v93 offset:160
	ds_read_b64 v[22:23], v93 offset:192
	ds_read_b64 v[20:21], v93 offset:224
	s_waitcnt vmcnt(48)
	ds_write_b32 v92, v13
	s_waitcnt vmcnt(47)
	ds_write_b32 v92, v34 offset:264
	s_waitcnt vmcnt(46)
	ds_write_b32 v92, v35 offset:528
	s_waitcnt vmcnt(45)
	ds_write_b32 v92, v44 offset:792
	s_waitcnt vmcnt(44)
	ds_write_b32 v92, v45 offset:1056
	s_waitcnt vmcnt(43)
	ds_write_b32 v92, v46 offset:1320
	s_waitcnt vmcnt(42)
	ds_write_b32 v92, v47 offset:1584
	s_waitcnt vmcnt(41)
	ds_write_b32 v92, v48 offset:1848
	s_waitcnt vmcnt(40)
	ds_write_b32 v92, v49 offset:2112
	s_waitcnt vmcnt(39)
	ds_write_b32 v92, v50 offset:2376
	s_waitcnt vmcnt(38)
	ds_write_b32 v92, v51 offset:2640
	s_waitcnt vmcnt(37)
	ds_write_b32 v92, v52 offset:2904
	s_waitcnt vmcnt(36)
	ds_write_b32 v92, v53 offset:3168
	s_waitcnt vmcnt(35)
	ds_write_b32 v92, v54 offset:3432
	s_waitcnt vmcnt(34)
	ds_write_b32 v92, v55 offset:3696
	s_waitcnt vmcnt(33)
	ds_write_b32 v92, v56 offset:3960
	ds_read_b64 v[52:53], v93
	ds_read_b64 v[50:51], v93 offset:32
	ds_read_b64 v[46:47], v93 offset:64
	ds_read_b64 v[44:45], v93 offset:96
	ds_read_b64 v[42:43], v93 offset:128
	ds_read_b64 v[40:41], v93 offset:160
	ds_read_b64 v[36:37], v93 offset:192
	ds_read_b64 v[34:35], v93 offset:224
	s_waitcnt vmcnt(32)
	ds_write_b32 v92, v57
	s_waitcnt vmcnt(31)
	ds_write_b32 v92, v58 offset:264
	s_waitcnt vmcnt(30)
	ds_write_b32 v92, v59 offset:528
	s_waitcnt vmcnt(29)
	ds_write_b32 v92, v60 offset:792
	s_waitcnt vmcnt(28)
	ds_write_b32 v92, v61 offset:1056
	s_waitcnt vmcnt(27)
	ds_write_b32 v92, v62 offset:1320
	s_waitcnt vmcnt(26)
	ds_write_b32 v92, v63 offset:1584
	s_waitcnt vmcnt(25)
	ds_write_b32 v92, v64 offset:1848
	s_waitcnt vmcnt(24)
	ds_write_b32 v92, v65 offset:2112
	s_waitcnt vmcnt(23)
	ds_write_b32 v92, v66 offset:2376
	s_waitcnt vmcnt(22)
	ds_write_b32 v92, v67 offset:2640
	s_waitcnt vmcnt(21)
	ds_write_b32 v92, v68 offset:2904
	s_waitcnt vmcnt(20)
	ds_write_b32 v92, v69 offset:3168
	s_waitcnt vmcnt(19)
	ds_write_b32 v92, v70 offset:3432
	s_waitcnt vmcnt(18)
	ds_write_b32 v92, v71 offset:3696
	s_waitcnt vmcnt(17)
	ds_write_b32 v92, v72 offset:3960
	;; [unrolled: 40-line block ×3, first 2 shown]
	ds_read_b64 v[82:83], v93
	ds_read_b64 v[80:81], v93 offset:32
	ds_read_b64 v[78:79], v93 offset:64
	;; [unrolled: 1-line block ×7, first 2 shown]
	s_waitcnt vmcnt(0)
	v_and_b32_e32 v97, 0x7f800000, v84
	v_accvgpr_read_b32 v1, a13
	v_accvgpr_read_b32 v0, a12
	;; [unrolled: 1-line block ×14, first 2 shown]
	v_cmp_ne_u32_e32 vcc, s86, v97
                                        ; implicit-def: $vgpr97
	s_and_saveexec_b64 s[16:17], vcc
	s_xor_b64 s[16:17], exec, s[16:17]
; %bb.6:                                ;   in Loop: Header=BB128_5 Depth=1
	v_bfe_u32 v97, v84, 16, 1
	v_add3_u32 v97, v84, v97, s87
; %bb.7:                                ;   in Loop: Header=BB128_5 Depth=1
	s_andn2_saveexec_b64 s[16:17], s[16:17]
; %bb.8:                                ;   in Loop: Header=BB128_5 Depth=1
	v_or_b32_e32 v97, 0x10000, v84
	v_cmp_eq_u32_sdwa vcc, v84, v95 src0_sel:WORD_0 src1_sel:DWORD
	v_cndmask_b32_e32 v97, v97, v84, vcc
; %bb.9:                                ;   in Loop: Header=BB128_5 Depth=1
	s_or_b64 exec, exec, s[16:17]
	v_and_b32_e32 v84, 0x7f800000, v85
	v_cmp_ne_u32_e32 vcc, s86, v84
                                        ; implicit-def: $vgpr98
	s_and_saveexec_b64 s[16:17], vcc
	s_xor_b64 s[16:17], exec, s[16:17]
; %bb.10:                               ;   in Loop: Header=BB128_5 Depth=1
	v_bfe_u32 v84, v85, 16, 1
	v_add3_u32 v98, v85, v84, s87
                                        ; implicit-def: $vgpr84_vgpr85
; %bb.11:                               ;   in Loop: Header=BB128_5 Depth=1
	s_andn2_saveexec_b64 s[16:17], s[16:17]
; %bb.12:                               ;   in Loop: Header=BB128_5 Depth=1
	v_or_b32_e32 v84, 0x10000, v85
	v_cmp_eq_u32_sdwa vcc, v85, v95 src0_sel:WORD_0 src1_sel:DWORD
	v_cndmask_b32_e32 v98, v84, v85, vcc
; %bb.13:                               ;   in Loop: Header=BB128_5 Depth=1
	s_or_b64 exec, exec, s[16:17]
	v_mov_b32_e32 v85, s13
	v_add_co_u32_e32 v84, vcc, s12, v18
	v_addc_co_u32_e32 v85, vcc, v19, v85, vcc
	global_load_dwordx2 v[84:85], v[84:85], off
	v_perm_b32 v97, v98, v97, s88
	ds_write_b32 v92, v97
	s_waitcnt vmcnt(0)
	v_and_b32_e32 v97, 0x7f800000, v84
	v_cmp_ne_u32_e32 vcc, s86, v97
                                        ; implicit-def: $vgpr97
	s_and_saveexec_b64 s[16:17], vcc
	s_xor_b64 s[16:17], exec, s[16:17]
; %bb.14:                               ;   in Loop: Header=BB128_5 Depth=1
	v_bfe_u32 v97, v84, 16, 1
	v_add3_u32 v97, v84, v97, s87
; %bb.15:                               ;   in Loop: Header=BB128_5 Depth=1
	s_andn2_saveexec_b64 s[16:17], s[16:17]
; %bb.16:                               ;   in Loop: Header=BB128_5 Depth=1
	v_or_b32_e32 v97, 0x10000, v84
	v_cmp_eq_u32_sdwa vcc, v84, v95 src0_sel:WORD_0 src1_sel:DWORD
	v_cndmask_b32_e32 v97, v97, v84, vcc
; %bb.17:                               ;   in Loop: Header=BB128_5 Depth=1
	s_or_b64 exec, exec, s[16:17]
	v_and_b32_e32 v84, 0x7f800000, v85
	v_cmp_ne_u32_e32 vcc, s86, v84
                                        ; implicit-def: $vgpr98
	s_and_saveexec_b64 s[16:17], vcc
	s_xor_b64 s[16:17], exec, s[16:17]
; %bb.18:                               ;   in Loop: Header=BB128_5 Depth=1
	v_bfe_u32 v84, v85, 16, 1
	v_add3_u32 v98, v85, v84, s87
                                        ; implicit-def: $vgpr84_vgpr85
; %bb.19:                               ;   in Loop: Header=BB128_5 Depth=1
	s_andn2_saveexec_b64 s[16:17], s[16:17]
; %bb.20:                               ;   in Loop: Header=BB128_5 Depth=1
	v_or_b32_e32 v84, 0x10000, v85
	v_cmp_eq_u32_sdwa vcc, v85, v95 src0_sel:WORD_0 src1_sel:DWORD
	v_cndmask_b32_e32 v98, v84, v85, vcc
; %bb.21:                               ;   in Loop: Header=BB128_5 Depth=1
	s_or_b64 exec, exec, s[16:17]
	v_add_u32_e32 v84, s21, v91
	v_ashrrev_i32_e32 v85, 31, v84
	v_lshlrev_b64 v[84:85], 3, v[84:85]
	v_mov_b32_e32 v99, s18
	v_add_co_u32_e32 v84, vcc, s14, v84
	v_addc_co_u32_e32 v85, vcc, v99, v85, vcc
	global_load_dwordx2 v[84:85], v[84:85], off
	v_perm_b32 v97, v98, v97, s88
	ds_write_b32 v92, v97 offset:264
	s_waitcnt vmcnt(0)
	v_and_b32_e32 v97, 0x7f800000, v84
	v_cmp_ne_u32_e32 vcc, s86, v97
                                        ; implicit-def: $vgpr97
	s_and_saveexec_b64 s[16:17], vcc
	s_xor_b64 s[16:17], exec, s[16:17]
; %bb.22:                               ;   in Loop: Header=BB128_5 Depth=1
	v_bfe_u32 v97, v84, 16, 1
	v_add3_u32 v97, v84, v97, s87
; %bb.23:                               ;   in Loop: Header=BB128_5 Depth=1
	s_andn2_saveexec_b64 s[16:17], s[16:17]
; %bb.24:                               ;   in Loop: Header=BB128_5 Depth=1
	v_or_b32_e32 v97, 0x10000, v84
	v_cmp_eq_u32_sdwa vcc, v84, v95 src0_sel:WORD_0 src1_sel:DWORD
	v_cndmask_b32_e32 v97, v97, v84, vcc
; %bb.25:                               ;   in Loop: Header=BB128_5 Depth=1
	s_or_b64 exec, exec, s[16:17]
	v_and_b32_e32 v84, 0x7f800000, v85
	v_cmp_ne_u32_e32 vcc, s86, v84
                                        ; implicit-def: $vgpr98
	s_and_saveexec_b64 s[16:17], vcc
	s_xor_b64 s[16:17], exec, s[16:17]
; %bb.26:                               ;   in Loop: Header=BB128_5 Depth=1
	v_bfe_u32 v84, v85, 16, 1
	v_add3_u32 v98, v85, v84, s87
                                        ; implicit-def: $vgpr84_vgpr85
; %bb.27:                               ;   in Loop: Header=BB128_5 Depth=1
	s_andn2_saveexec_b64 s[16:17], s[16:17]
; %bb.28:                               ;   in Loop: Header=BB128_5 Depth=1
	v_or_b32_e32 v84, 0x10000, v85
	v_cmp_eq_u32_sdwa vcc, v85, v95 src0_sel:WORD_0 src1_sel:DWORD
	v_cndmask_b32_e32 v98, v84, v85, vcc
; %bb.29:                               ;   in Loop: Header=BB128_5 Depth=1
	s_or_b64 exec, exec, s[16:17]
	v_add_u32_e32 v84, s22, v91
	v_ashrrev_i32_e32 v85, 31, v84
	v_lshlrev_b64 v[84:85], 3, v[84:85]
	v_mov_b32_e32 v99, s18
	v_add_co_u32_e32 v84, vcc, s14, v84
	v_addc_co_u32_e32 v85, vcc, v99, v85, vcc
	global_load_dwordx2 v[84:85], v[84:85], off
	v_perm_b32 v97, v98, v97, s88
	ds_write_b32 v92, v97 offset:528
	s_waitcnt vmcnt(0)
	v_and_b32_e32 v97, 0x7f800000, v84
	v_cmp_ne_u32_e32 vcc, s86, v97
                                        ; implicit-def: $vgpr97
	s_and_saveexec_b64 s[16:17], vcc
	s_xor_b64 s[16:17], exec, s[16:17]
; %bb.30:                               ;   in Loop: Header=BB128_5 Depth=1
	v_bfe_u32 v97, v84, 16, 1
	v_add3_u32 v97, v84, v97, s87
; %bb.31:                               ;   in Loop: Header=BB128_5 Depth=1
	s_andn2_saveexec_b64 s[16:17], s[16:17]
; %bb.32:                               ;   in Loop: Header=BB128_5 Depth=1
	v_or_b32_e32 v97, 0x10000, v84
	v_cmp_eq_u32_sdwa vcc, v84, v95 src0_sel:WORD_0 src1_sel:DWORD
	v_cndmask_b32_e32 v97, v97, v84, vcc
; %bb.33:                               ;   in Loop: Header=BB128_5 Depth=1
	s_or_b64 exec, exec, s[16:17]
	v_and_b32_e32 v84, 0x7f800000, v85
	v_cmp_ne_u32_e32 vcc, s86, v84
                                        ; implicit-def: $vgpr98
	s_and_saveexec_b64 s[16:17], vcc
	s_xor_b64 s[16:17], exec, s[16:17]
; %bb.34:                               ;   in Loop: Header=BB128_5 Depth=1
	v_bfe_u32 v84, v85, 16, 1
	v_add3_u32 v98, v85, v84, s87
                                        ; implicit-def: $vgpr84_vgpr85
; %bb.35:                               ;   in Loop: Header=BB128_5 Depth=1
	s_andn2_saveexec_b64 s[16:17], s[16:17]
	s_cbranch_execz .LBB128_4
; %bb.36:                               ;   in Loop: Header=BB128_5 Depth=1
	v_or_b32_e32 v84, 0x10000, v85
	v_cmp_eq_u32_sdwa vcc, v85, v95 src0_sel:WORD_0 src1_sel:DWORD
	v_cndmask_b32_e32 v98, v84, v85, vcc
	s_branch .LBB128_4
.LBB128_37:
	s_or_b64 exec, exec, s[0:1]
.LBB128_38:
	s_or_b64 exec, exec, s[24:25]
	v_mul_u32_u24_e32 v0, 0x208, v89
	v_lshlrev_b32_e32 v1, 2, v88
	v_or_b32_e32 v2, 12, v87
	v_add3_u32 v0, 0, v0, v1
	v_and_b32_e32 v1, 0x3f0, v87
	v_and_b32_e32 v2, 0x3fc, v2
	v_add_u32_e32 v1, v0, v1
	v_add_u32_e32 v0, v0, v2
	s_waitcnt lgkmcnt(0)
	s_barrier
	ds_write2_b32 v1, a12, a13 offset1:1
	ds_write_b32 v1, a14 offset:8
	ds_write_b32 v0, a15
	ds_write2_b32 v1, a8, a9 offset0:16 offset1:17
	ds_write_b32 v1, a10 offset:72
	ds_write_b32 v0, a11 offset:64
	ds_write2_b32 v1, a4, a5 offset0:32 offset1:33
	ds_write_b32 v1, a6 offset:136
	ds_write_b32 v0, a7 offset:128
	;; [unrolled: 3-line block ×3, first 2 shown]
	v_mul_u32_u24_e32 v0, 0x208, v86
	v_add3_u32 v4, 0, v90, v0
	s_waitcnt lgkmcnt(0)
	s_barrier
	ds_read2st64_b32 v[0:1], v4 offset1:1
	s_mul_hi_i32 s1, s19, s8
	s_mul_i32 s0, s19, s8
	s_lshl_b64 s[0:1], s[0:1], 2
	s_add_u32 s4, s10, s0
	s_mul_i32 s0, s7, s15
	s_addc_u32 s5, s11, s1
	s_ashr_i32 s1, s0, 31
	s_waitcnt lgkmcnt(0)
	v_add_f32_e32 v0, 0, v0
	v_add_u32_e32 v4, 16, v4
	s_lshl_b64 s[0:1], s[0:1], 2
	v_add_f32_e32 v6, v0, v1
	v_mul_lo_u32 v0, v86, s2
	ds_read2st64_b32 v[4:5], v4 offset0:4 offset1:5
	s_add_u32 s0, s4, s0
	v_add3_u32 v0, s3, v87, v0
	v_mov_b32_e32 v1, 0
	s_addc_u32 s1, s5, s1
	v_lshlrev_b64 v[2:3], 2, v[0:1]
	v_mov_b32_e32 v7, s1
	v_add_co_u32_e32 v2, vcc, s0, v2
	v_lshl_add_u32 v0, s2, 1, v0
	v_addc_co_u32_e32 v3, vcc, v7, v3, vcc
	v_lshlrev_b64 v[0:1], 2, v[0:1]
	global_store_dword v[2:3], v6, off
	s_waitcnt lgkmcnt(0)
	v_add_f32_e32 v2, 0, v4
	v_mov_b32_e32 v3, s1
	v_add_co_u32_e32 v0, vcc, s0, v0
	v_add_f32_e32 v2, v2, v5
	v_addc_co_u32_e32 v1, vcc, v3, v1, vcc
	global_store_dword v[0:1], v2, off
	s_endpgm
	.section	.rodata,"a",@progbits
	.p2align	6, 0x0
	.amdhsa_kernel _ZL9mul_mat_fI15__hip_bfloat162Li64ELi4ELi2ELb0EEvPKT_PKfPKiPfiiiiiiiiiiiiiiii
		.amdhsa_group_segment_fixed_size 0
		.amdhsa_private_segment_fixed_size 0
		.amdhsa_kernarg_size 96
		.amdhsa_user_sgpr_count 6
		.amdhsa_user_sgpr_private_segment_buffer 1
		.amdhsa_user_sgpr_dispatch_ptr 0
		.amdhsa_user_sgpr_queue_ptr 0
		.amdhsa_user_sgpr_kernarg_segment_ptr 1
		.amdhsa_user_sgpr_dispatch_id 0
		.amdhsa_user_sgpr_flat_scratch_init 0
		.amdhsa_user_sgpr_kernarg_preload_length 0
		.amdhsa_user_sgpr_kernarg_preload_offset 0
		.amdhsa_user_sgpr_private_segment_size 0
		.amdhsa_uses_dynamic_stack 0
		.amdhsa_system_sgpr_private_segment_wavefront_offset 0
		.amdhsa_system_sgpr_workgroup_id_x 1
		.amdhsa_system_sgpr_workgroup_id_y 1
		.amdhsa_system_sgpr_workgroup_id_z 1
		.amdhsa_system_sgpr_workgroup_info 0
		.amdhsa_system_vgpr_workitem_id 1
		.amdhsa_next_free_vgpr 128
		.amdhsa_next_free_sgpr 89
		.amdhsa_accum_offset 104
		.amdhsa_reserve_vcc 1
		.amdhsa_reserve_flat_scratch 0
		.amdhsa_float_round_mode_32 0
		.amdhsa_float_round_mode_16_64 0
		.amdhsa_float_denorm_mode_32 3
		.amdhsa_float_denorm_mode_16_64 3
		.amdhsa_dx10_clamp 1
		.amdhsa_ieee_mode 1
		.amdhsa_fp16_overflow 0
		.amdhsa_tg_split 0
		.amdhsa_exception_fp_ieee_invalid_op 0
		.amdhsa_exception_fp_denorm_src 0
		.amdhsa_exception_fp_ieee_div_zero 0
		.amdhsa_exception_fp_ieee_overflow 0
		.amdhsa_exception_fp_ieee_underflow 0
		.amdhsa_exception_fp_ieee_inexact 0
		.amdhsa_exception_int_div_zero 0
	.end_amdhsa_kernel
	.section	.text._ZL9mul_mat_fI15__hip_bfloat162Li64ELi4ELi2ELb0EEvPKT_PKfPKiPfiiiiiiiiiiiiiiii,"axG",@progbits,_ZL9mul_mat_fI15__hip_bfloat162Li64ELi4ELi2ELb0EEvPKT_PKfPKiPfiiiiiiiiiiiiiiii,comdat
.Lfunc_end128:
	.size	_ZL9mul_mat_fI15__hip_bfloat162Li64ELi4ELi2ELb0EEvPKT_PKfPKiPfiiiiiiiiiiiiiiii, .Lfunc_end128-_ZL9mul_mat_fI15__hip_bfloat162Li64ELi4ELi2ELb0EEvPKT_PKfPKiPfiiiiiiiiiiiiiiii
                                        ; -- End function
	.section	.AMDGPU.csdata,"",@progbits
; Kernel info:
; codeLenInByte = 5952
; NumSgprs: 93
; NumVgprs: 102
; NumAgprs: 24
; TotalNumVgprs: 128
; ScratchSize: 0
; MemoryBound: 0
; FloatMode: 240
; IeeeMode: 1
; LDSByteSize: 0 bytes/workgroup (compile time only)
; SGPRBlocks: 11
; VGPRBlocks: 15
; NumSGPRsForWavesPerEU: 93
; NumVGPRsForWavesPerEU: 128
; AccumOffset: 104
; Occupancy: 4
; WaveLimiterHint : 0
; COMPUTE_PGM_RSRC2:SCRATCH_EN: 0
; COMPUTE_PGM_RSRC2:USER_SGPR: 6
; COMPUTE_PGM_RSRC2:TRAP_HANDLER: 0
; COMPUTE_PGM_RSRC2:TGID_X_EN: 1
; COMPUTE_PGM_RSRC2:TGID_Y_EN: 1
; COMPUTE_PGM_RSRC2:TGID_Z_EN: 1
; COMPUTE_PGM_RSRC2:TIDIG_COMP_CNT: 1
; COMPUTE_PGM_RSRC3_GFX90A:ACCUM_OFFSET: 25
; COMPUTE_PGM_RSRC3_GFX90A:TG_SPLIT: 0
	.section	.text._ZL13mul_mat_f_idsI15__hip_bfloat162Li64ELi4ELi3EEvPKT_PKfPKiS7_S7_Pfiiiiiiiiiiiiii15HIP_vector_typeIjLj3EESA_,"axG",@progbits,_ZL13mul_mat_f_idsI15__hip_bfloat162Li64ELi4ELi3EEvPKT_PKfPKiS7_S7_Pfiiiiiiiiiiiiii15HIP_vector_typeIjLj3EESA_,comdat
	.globl	_ZL13mul_mat_f_idsI15__hip_bfloat162Li64ELi4ELi3EEvPKT_PKfPKiS7_S7_Pfiiiiiiiiiiiiii15HIP_vector_typeIjLj3EESA_ ; -- Begin function _ZL13mul_mat_f_idsI15__hip_bfloat162Li64ELi4ELi3EEvPKT_PKfPKiS7_S7_Pfiiiiiiiiiiiiii15HIP_vector_typeIjLj3EESA_
	.p2align	8
	.type	_ZL13mul_mat_f_idsI15__hip_bfloat162Li64ELi4ELi3EEvPKT_PKfPKiS7_S7_Pfiiiiiiiiiiiiii15HIP_vector_typeIjLj3EESA_,@function
_ZL13mul_mat_f_idsI15__hip_bfloat162Li64ELi4ELi3EEvPKT_PKfPKiS7_S7_Pfiiiiiiiiiiiiii15HIP_vector_typeIjLj3EESA_: ; @_ZL13mul_mat_f_idsI15__hip_bfloat162Li64ELi4ELi3EEvPKT_PKfPKiS7_S7_Pfiiiiiiiiiiiiii15HIP_vector_typeIjLj3EESA_
; %bb.0:
	s_load_dwordx2 s[0:1], s[4:5], 0x20
	s_mov_b32 s34, s7
	s_ashr_i32 s35, s7, 31
	s_lshl_b64 s[2:3], s[34:35], 2
	s_waitcnt lgkmcnt(0)
	s_add_u32 s0, s0, s2
	s_addc_u32 s1, s1, s3
	s_load_dwordx2 s[30:31], s[0:1], 0x0
	s_waitcnt lgkmcnt(0)
	s_sub_i32 s26, s31, s30
	s_add_i32 s0, s26, 3
	s_ashr_i32 s1, s0, 31
	s_lshr_b32 s1, s1, 30
	s_add_i32 s0, s0, s1
	s_ashr_i32 s0, s0, 2
	s_cmp_ge_i32 s8, s0
	s_cbranch_scc1 .LBB129_58
; %bb.1:
	v_bfe_u32 v74, v0, 10, 10
	v_lshlrev_b32_e32 v76, 6, v74
	v_and_b32_e32 v75, 0x3ff, v0
	s_load_dwordx4 s[12:15], s[4:5], 0x30
	s_load_dwordx2 s[20:21], s[4:5], 0x40
	s_load_dwordx4 s[0:3], s[4:5], 0x4c
	s_load_dwordx4 s[16:19], s[4:5], 0x68
	s_load_dwordx2 s[24:25], s[4:5], 0x78
	v_add_u32_e32 v78, v76, v75
	s_ashr_i32 s31, s30, 31
	s_waitcnt lgkmcnt(0)
	v_cmp_le_i32_e32 vcc, s12, v78
	v_and_b32_e32 v77, 15, v75
                                        ; implicit-def: $sgpr3
	s_and_saveexec_b64 s[10:11], vcc
	s_xor_b64 s[10:11], exec, s[10:11]
; %bb.2:
	v_and_b32_e32 v77, 15, v75
	s_mov_b32 s3, 0
                                        ; implicit-def: $vgpr78
; %bb.3:
	s_or_saveexec_b64 s[36:37], s[10:11]
	s_load_dwordx2 s[10:11], s[4:5], 0x18
                                        ; implicit-def: $vgpr85 : SGPR spill to VGPR lane
	s_lshl_b32 s22, s6, 6
	s_lshl_b32 s28, s8, 2
	v_accvgpr_write_b32 a0, s3
	v_accvgpr_write_b32 a1, s3
	s_waitcnt lgkmcnt(0)
	v_writelane_b32 v85, s10, 0
	v_writelane_b32 v85, s11, 1
	s_load_dwordx2 s[10:11], s[4:5], 0x28
	v_accvgpr_write_b32 a2, s3
	v_accvgpr_write_b32 a3, s3
	;; [unrolled: 1-line block ×4, first 2 shown]
	s_waitcnt lgkmcnt(0)
	v_writelane_b32 v85, s10, 2
	v_writelane_b32 v85, s11, 3
	v_accvgpr_write_b32 a6, s3
	v_accvgpr_write_b32 a7, s3
	v_accvgpr_write_b32 a8, s3
	v_accvgpr_write_b32 a9, s3
	v_accvgpr_write_b32 a10, s3
	v_accvgpr_write_b32 a11, s3
	v_accvgpr_write_b32 a12, s3
	v_accvgpr_write_b32 a13, s3
	v_accvgpr_write_b32 a14, s3
	v_accvgpr_write_b32 a15, s3
	v_writelane_b32 v85, s36, 4
	v_writelane_b32 v85, s37, 5
	s_xor_b64 exec, exec, s[36:37]
	s_cbranch_execz .LBB129_51
; %bb.4:
	v_writelane_b32 v85, s24, 6
	v_writelane_b32 v85, s25, 7
	s_load_dwordx4 s[8:11], s[4:5], 0x0
	s_load_dwordx2 s[6:7], s[4:5], 0x10
	s_mul_i32 s4, s34, s0
	v_writelane_b32 v85, s22, 8
	s_mul_i32 s22, s22, s15
	s_ashr_i32 s5, s4, 31
	s_ashr_i32 s23, s22, 31
	s_lshl_b64 s[22:23], s[22:23], 2
	s_lshl_b64 s[4:5], s[4:5], 2
	s_add_u32 s3, s4, s22
	s_addc_u32 s22, s5, s23
	s_waitcnt lgkmcnt(0)
	s_add_u32 s0, s3, s8
	s_addc_u32 s23, s22, s9
	v_writelane_b32 v85, s30, 9
	s_lshl_b64 s[4:5], s[30:31], 2
	s_add_u32 s24, s6, s4
	s_addc_u32 s25, s7, s5
	s_movk_i32 s4, 0x1080
	s_cmp_lt_i32 s28, s26
	v_mad_u32_u24 v0, v74, s4, 0
	s_cselect_b64 s[4:5], -1, 0
	s_ashr_i32 s29, s28, 31
	s_lshl_b64 s[6:7], s[28:29], 2
	s_add_u32 s34, s24, s6
	s_addc_u32 s35, s25, s7
	s_or_b32 s6, s28, 1
	v_lshrrev_b32_e32 v3, 1, v75
	s_cmp_lt_i32 s6, s26
	v_lshlrev_b32_e32 v1, 2, v75
	v_mul_u32_u24_e32 v2, 0x108, v77
	v_and_b32_e32 v3, 0x1f8, v3
	s_cselect_b64 s[36:37], -1, 0
	s_or_b32 s6, s28, 2
	v_writelane_b32 v85, s31, 10
	v_add_u32_e32 v79, v0, v1
	v_add3_u32 v80, v0, v2, v3
	s_cmp_lt_i32 s6, s26
	s_mov_b32 s6, s28
	v_lshlrev_b32_e32 v0, 8, v74
	v_writelane_b32 v85, s6, 11
	v_mov_b32_e32 v2, s22
	v_add_co_u32_e32 v0, vcc, s3, v0
	s_cselect_b64 s[38:39], -1, 0
	v_writelane_b32 v85, s7, 12
	s_or_b32 s6, s28, 3
	v_addc_co_u32_e32 v2, vcc, 0, v2, vcc
	s_cmp_lt_i32 s6, s26
	v_add_co_u32_e32 v0, vcc, v0, v1
	s_cselect_b64 s[40:41], -1, 0
	s_ashr_i32 s7, s15, 31
	s_mov_b32 s6, s15
	v_addc_co_u32_e32 v1, vcc, 0, v2, vcc
	s_lshl_b64 s[42:43], s[6:7], 2
	v_mov_b32_e32 v2, s9
	v_add_co_u32_e32 v0, vcc, s8, v0
	v_writelane_b32 v85, s26, 13
	v_addc_co_u32_e32 v1, vcc, v2, v1, vcc
	s_lshl_b32 s7, s15, 1
	s_mul_i32 s46, s15, 3
	s_lshl_b32 s47, s15, 2
	s_mul_i32 s48, s15, 5
	s_mul_i32 s49, s15, 6
	;; [unrolled: 1-line block ×3, first 2 shown]
	s_lshl_b32 s51, s15, 3
	s_mul_i32 s52, s15, 9
	s_mul_i32 s53, s15, 10
	;; [unrolled: 1-line block ×7, first 2 shown]
	s_lshl_b32 s59, s15, 4
	s_mul_i32 s60, s15, 17
	s_mul_i32 s61, s15, 18
	;; [unrolled: 1-line block ×15, first 2 shown]
	s_lshl_b32 s75, s15, 5
	s_mul_i32 s76, s15, 33
	s_mul_i32 s77, s15, 34
	;; [unrolled: 1-line block ×15, first 2 shown]
	v_mov_b32_e32 v81, s23
	s_mul_i32 s91, s15, 48
	v_mov_b32_e32 v82, 0
	v_accvgpr_write_b32 a15, 0
	v_accvgpr_write_b32 a14, 0
	;; [unrolled: 1-line block ×16, first 2 shown]
	v_mov_b32_e32 v83, s43
	s_mul_i32 s43, s15, 49
	s_mul_i32 s92, s15, 50
	;; [unrolled: 1-line block ×15, first 2 shown]
	s_mov_b32 s6, 0x7f800000
	s_movk_i32 s33, 0x7fff
	s_mov_b32 s26, 0x7060302
	s_mov_b64 s[8:9], 0
	s_branch .LBB129_6
.LBB129_5:                              ;   in Loop: Header=BB129_6 Depth=1
	s_or_b64 exec, exec, s[44:45]
	v_perm_b32 v66, v67, v66, s26
	v_add_u32_e32 v67, 0x200, v79
	ds_write2_b32 v67, v66, v82 offset0:70 offset1:136
	v_add_u32_e32 v66, 0x400, v79
	ds_write2_b32 v66, v82, v82 offset0:74 offset1:140
	;; [unrolled: 2-line block ×6, first 2 shown]
	ds_write_b32 v79, v82 offset:3960
	ds_read2_b64 v[66:69], v80 offset1:4
	s_waitcnt lgkmcnt(0)
	v_mfma_f32_16x16x16bf16_1k a[0:3], v[16:17], v[66:67], a[0:3]
	v_add_co_u32_e32 v0, vcc, 0x300, v0
	v_add_u32_e32 v78, 0xc0, v78
	v_addc_co_u32_e32 v1, vcc, 0, v1, vcc
	v_cmp_le_i32_e32 vcc, s12, v78
	s_or_b64 s[8:9], vcc, s[8:9]
	v_mfma_f32_16x16x16bf16_1k a[4:7], v[34:35], v[66:67], a[4:7]
	v_mfma_f32_16x16x16bf16_1k a[8:11], v[48:49], v[66:67], a[8:11]
	;; [unrolled: 1-line block ×4, first 2 shown]
	ds_read2_b64 v[14:17], v80 offset0:8 offset1:12
	v_mfma_f32_16x16x16bf16_1k a[4:7], v[30:31], v[68:69], a[4:7]
	v_mfma_f32_16x16x16bf16_1k a[8:11], v[46:47], v[68:69], a[8:11]
	v_mfma_f32_16x16x16bf16_1k a[12:15], v[62:63], v[68:69], a[12:15]
	s_waitcnt lgkmcnt(0)
	v_mfma_f32_16x16x16bf16_1k a[0:3], v[10:11], v[14:15], a[0:3]
	v_mfma_f32_16x16x16bf16_1k a[4:7], v[28:29], v[14:15], a[4:7]
	;; [unrolled: 1-line block ×8, first 2 shown]
	ds_read2_b64 v[14:17], v80 offset0:16 offset1:20
	s_waitcnt lgkmcnt(0)
	v_mfma_f32_16x16x16bf16_1k a[0:3], v[12:13], v[14:15], a[0:3]
	v_mfma_f32_16x16x16bf16_1k a[4:7], v[24:25], v[14:15], a[4:7]
	;; [unrolled: 1-line block ×5, first 2 shown]
	ds_read2_b64 v[6:9], v80 offset0:24 offset1:28
	v_mfma_f32_16x16x16bf16_1k a[4:7], v[22:23], v[16:17], a[4:7]
	v_mfma_f32_16x16x16bf16_1k a[8:11], v[38:39], v[16:17], a[8:11]
	;; [unrolled: 1-line block ×3, first 2 shown]
	s_waitcnt lgkmcnt(0)
	v_mfma_f32_16x16x16bf16_1k a[0:3], v[4:5], v[6:7], a[0:3]
	v_mfma_f32_16x16x16bf16_1k a[4:7], v[20:21], v[6:7], a[4:7]
	;; [unrolled: 1-line block ×8, first 2 shown]
	s_andn2_b64 exec, exec, s[8:9]
	s_cbranch_execz .LBB129_50
.LBB129_6:                              ; =>This Inner Loop Header: Depth=1
	v_add_co_u32_e32 v2, vcc, s42, v0
	v_addc_co_u32_e32 v3, vcc, v1, v83, vcc
	global_load_dword v18, v[0:1], off
	global_load_dword v19, v[2:3], off
	v_add_u32_e32 v2, s7, v78
	v_ashrrev_i32_e32 v3, 31, v2
	v_lshlrev_b64 v[2:3], 2, v[2:3]
	v_add_u32_e32 v4, s46, v78
	v_add_co_u32_e32 v2, vcc, s0, v2
	v_ashrrev_i32_e32 v5, 31, v4
	v_addc_co_u32_e32 v3, vcc, v81, v3, vcc
	v_lshlrev_b64 v[4:5], 2, v[4:5]
	v_add_u32_e32 v6, s47, v78
	v_add_co_u32_e32 v4, vcc, s0, v4
	v_ashrrev_i32_e32 v7, 31, v6
	v_addc_co_u32_e32 v5, vcc, v81, v5, vcc
	;; [unrolled: 5-line block ×7, first 2 shown]
	v_lshlrev_b64 v[16:17], 2, v[16:17]
	v_add_co_u32_e32 v16, vcc, s0, v16
	v_addc_co_u32_e32 v17, vcc, v81, v17, vcc
	global_load_dword v20, v[2:3], off
	global_load_dword v21, v[4:5], off
	;; [unrolled: 1-line block ×6, first 2 shown]
	s_nop 0
	global_load_dword v14, v[14:15], off
	s_nop 0
	global_load_dword v15, v[16:17], off
	v_add_u32_e32 v2, s53, v78
	v_ashrrev_i32_e32 v3, 31, v2
	v_lshlrev_b64 v[2:3], 2, v[2:3]
	v_add_u32_e32 v4, s54, v78
	v_add_co_u32_e32 v2, vcc, s0, v2
	v_ashrrev_i32_e32 v5, 31, v4
	v_addc_co_u32_e32 v3, vcc, v81, v3, vcc
	v_lshlrev_b64 v[4:5], 2, v[4:5]
	v_add_u32_e32 v6, s55, v78
	v_add_co_u32_e32 v4, vcc, s0, v4
	v_ashrrev_i32_e32 v7, 31, v6
	v_addc_co_u32_e32 v5, vcc, v81, v5, vcc
	;; [unrolled: 5-line block ×5, first 2 shown]
	v_lshlrev_b64 v[12:13], 2, v[12:13]
	v_add_co_u32_e32 v12, vcc, s0, v12
	v_addc_co_u32_e32 v13, vcc, v81, v13, vcc
	global_load_dword v16, v[2:3], off
	global_load_dword v17, v[4:5], off
	s_nop 0
	global_load_dword v6, v[6:7], off
	s_nop 0
	;; [unrolled: 2-line block ×3, first 2 shown]
	global_load_dword v8, v[10:11], off
	global_load_dword v9, v[12:13], off
	v_add_u32_e32 v2, s59, v78
	v_ashrrev_i32_e32 v3, 31, v2
	v_lshlrev_b64 v[2:3], 2, v[2:3]
	v_add_u32_e32 v4, s60, v78
	v_add_co_u32_e32 v2, vcc, s0, v2
	v_ashrrev_i32_e32 v5, 31, v4
	v_addc_co_u32_e32 v3, vcc, v81, v3, vcc
	v_lshlrev_b64 v[4:5], 2, v[4:5]
	s_waitcnt vmcnt(15)
	ds_write_b32 v79, v18
	s_waitcnt vmcnt(14)
	ds_write_b32 v79, v19 offset:264
	s_waitcnt vmcnt(13)
	ds_write_b32 v79, v20 offset:528
	;; [unrolled: 2-line block ×9, first 2 shown]
	v_add_co_u32_e32 v4, vcc, s0, v4
	v_addc_co_u32_e32 v5, vcc, v81, v5, vcc
	global_load_dword v18, v[2:3], off
	global_load_dword v19, v[4:5], off
	v_add_u32_e32 v2, s61, v78
	v_ashrrev_i32_e32 v3, 31, v2
	v_lshlrev_b64 v[2:3], 2, v[2:3]
	v_add_u32_e32 v4, s62, v78
	v_add_co_u32_e32 v2, vcc, s0, v2
	v_ashrrev_i32_e32 v5, 31, v4
	s_waitcnt vmcnt(7)
	ds_write_b32 v79, v16 offset:2640
	s_waitcnt vmcnt(6)
	ds_write_b32 v79, v17 offset:2904
	;; [unrolled: 2-line block ×6, first 2 shown]
	v_addc_co_u32_e32 v3, vcc, v81, v3, vcc
	v_lshlrev_b64 v[4:5], 2, v[4:5]
	v_add_u32_e32 v6, s63, v78
	v_add_co_u32_e32 v4, vcc, s0, v4
	v_ashrrev_i32_e32 v7, 31, v6
	v_addc_co_u32_e32 v5, vcc, v81, v5, vcc
	v_lshlrev_b64 v[6:7], 2, v[6:7]
	v_add_u32_e32 v8, s64, v78
	v_add_co_u32_e32 v6, vcc, s0, v6
	v_ashrrev_i32_e32 v9, 31, v8
	v_addc_co_u32_e32 v7, vcc, v81, v7, vcc
	v_lshlrev_b64 v[8:9], 2, v[8:9]
	v_add_u32_e32 v10, s65, v78
	v_add_co_u32_e32 v8, vcc, s0, v8
	v_ashrrev_i32_e32 v11, 31, v10
	v_addc_co_u32_e32 v9, vcc, v81, v9, vcc
	v_lshlrev_b64 v[10:11], 2, v[10:11]
	v_add_u32_e32 v12, s66, v78
	v_add_co_u32_e32 v10, vcc, s0, v10
	v_ashrrev_i32_e32 v13, 31, v12
	v_addc_co_u32_e32 v11, vcc, v81, v11, vcc
	v_lshlrev_b64 v[12:13], 2, v[12:13]
	v_add_u32_e32 v14, s67, v78
	v_add_co_u32_e32 v12, vcc, s0, v12
	v_ashrrev_i32_e32 v15, 31, v14
	v_addc_co_u32_e32 v13, vcc, v81, v13, vcc
	v_lshlrev_b64 v[14:15], 2, v[14:15]
	v_add_u32_e32 v16, s68, v78
	v_add_co_u32_e32 v14, vcc, s0, v14
	v_ashrrev_i32_e32 v17, 31, v16
	v_addc_co_u32_e32 v15, vcc, v81, v15, vcc
	v_lshlrev_b64 v[16:17], 2, v[16:17]
	v_add_co_u32_e32 v16, vcc, s0, v16
	v_addc_co_u32_e32 v17, vcc, v81, v17, vcc
	global_load_dword v24, v[2:3], off
	global_load_dword v25, v[4:5], off
	global_load_dword v26, v[6:7], off
	global_load_dword v27, v[8:9], off
	global_load_dword v28, v[10:11], off
	global_load_dword v29, v[12:13], off
	global_load_dword v30, v[14:15], off
	global_load_dword v31, v[16:17], off
	v_add_u32_e32 v2, s69, v78
	v_ashrrev_i32_e32 v3, 31, v2
	v_lshlrev_b64 v[2:3], 2, v[2:3]
	v_add_u32_e32 v4, s70, v78
	v_add_co_u32_e32 v2, vcc, s0, v2
	v_ashrrev_i32_e32 v5, 31, v4
	v_addc_co_u32_e32 v3, vcc, v81, v3, vcc
	v_lshlrev_b64 v[4:5], 2, v[4:5]
	v_add_u32_e32 v6, s71, v78
	v_add_co_u32_e32 v4, vcc, s0, v4
	v_ashrrev_i32_e32 v7, 31, v6
	v_addc_co_u32_e32 v5, vcc, v81, v5, vcc
	v_lshlrev_b64 v[6:7], 2, v[6:7]
	v_add_u32_e32 v8, s72, v78
	v_add_co_u32_e32 v6, vcc, s0, v6
	v_ashrrev_i32_e32 v9, 31, v8
	v_addc_co_u32_e32 v7, vcc, v81, v7, vcc
	v_lshlrev_b64 v[8:9], 2, v[8:9]
	v_add_u32_e32 v10, s73, v78
	v_add_co_u32_e32 v8, vcc, s0, v8
	v_ashrrev_i32_e32 v11, 31, v10
	v_addc_co_u32_e32 v9, vcc, v81, v9, vcc
	v_lshlrev_b64 v[10:11], 2, v[10:11]
	v_add_u32_e32 v12, s74, v78
	v_add_co_u32_e32 v10, vcc, s0, v10
	v_ashrrev_i32_e32 v13, 31, v12
	v_addc_co_u32_e32 v11, vcc, v81, v11, vcc
	v_lshlrev_b64 v[12:13], 2, v[12:13]
	v_add_u32_e32 v14, s75, v78
	v_add_co_u32_e32 v12, vcc, s0, v12
	v_ashrrev_i32_e32 v15, 31, v14
	v_addc_co_u32_e32 v13, vcc, v81, v13, vcc
	v_lshlrev_b64 v[14:15], 2, v[14:15]
	v_add_u32_e32 v16, s76, v78
	v_add_co_u32_e32 v14, vcc, s0, v14
	v_ashrrev_i32_e32 v17, 31, v16
	v_addc_co_u32_e32 v15, vcc, v81, v15, vcc
	v_lshlrev_b64 v[16:17], 2, v[16:17]
	v_add_co_u32_e32 v16, vcc, s0, v16
	v_addc_co_u32_e32 v17, vcc, v81, v17, vcc
	global_load_dword v32, v[2:3], off
	global_load_dword v33, v[4:5], off
	global_load_dword v34, v[6:7], off
	global_load_dword v35, v[8:9], off
	global_load_dword v36, v[10:11], off
	global_load_dword v37, v[12:13], off
	global_load_dword v38, v[14:15], off
	global_load_dword v39, v[16:17], off
	v_add_u32_e32 v2, s77, v78
	v_ashrrev_i32_e32 v3, 31, v2
	v_lshlrev_b64 v[2:3], 2, v[2:3]
	v_add_u32_e32 v4, s78, v78
	v_add_co_u32_e32 v2, vcc, s0, v2
	v_ashrrev_i32_e32 v5, 31, v4
	;; [unrolled: 48-line block ×5, first 2 shown]
	v_addc_co_u32_e32 v3, vcc, v81, v3, vcc
	v_lshlrev_b64 v[4:5], 2, v[4:5]
	v_add_u32_e32 v6, s3, v78
	v_add_co_u32_e32 v4, vcc, s0, v4
	v_ashrrev_i32_e32 v7, 31, v6
	v_addc_co_u32_e32 v5, vcc, v81, v5, vcc
	v_lshlrev_b64 v[6:7], 2, v[6:7]
	v_add_co_u32_e32 v8, vcc, s0, v6
	v_add_u32_e32 v6, s30, v78
	v_addc_co_u32_e32 v9, vcc, v81, v7, vcc
	v_ashrrev_i32_e32 v7, 31, v6
	v_lshlrev_b64 v[6:7], 2, v[6:7]
	v_add_co_u32_e32 v12, vcc, s0, v6
	v_add_u32_e32 v6, s31, v78
	v_addc_co_u32_e32 v13, vcc, v81, v7, vcc
	v_ashrrev_i32_e32 v7, 31, v6
	;; [unrolled: 5-line block ×3, first 2 shown]
	v_lshlrev_b64 v[6:7], 2, v[6:7]
	v_add_co_u32_e32 v22, vcc, s0, v6
	v_addc_co_u32_e32 v23, vcc, v81, v7, vcc
	ds_read_b64 v[16:17], v80
	ds_read_b64 v[14:15], v80 offset:32
	ds_read_b64 v[10:11], v80 offset:64
	ds_read_b64 v[6:7], v80 offset:96
	global_load_dword v64, v[2:3], off
	global_load_dword v65, v[4:5], off
	;; [unrolled: 1-line block ×6, first 2 shown]
	ds_read_b64 v[12:13], v80 offset:128
	ds_read_b64 v[8:9], v80 offset:160
	ds_read_b64 v[4:5], v80 offset:192
	ds_read_b64 v[2:3], v80 offset:224
	s_waitcnt vmcnt(47)
	ds_write_b32 v79, v18
	s_waitcnt vmcnt(46)
	ds_write_b32 v79, v19 offset:264
	s_waitcnt vmcnt(45)
	ds_write_b32 v79, v24 offset:528
	s_waitcnt vmcnt(44)
	ds_write_b32 v79, v25 offset:792
	s_waitcnt vmcnt(43)
	ds_write_b32 v79, v26 offset:1056
	s_waitcnt vmcnt(42)
	ds_write_b32 v79, v27 offset:1320
	s_waitcnt vmcnt(41)
	ds_write_b32 v79, v28 offset:1584
	s_waitcnt vmcnt(40)
	ds_write_b32 v79, v29 offset:1848
	s_waitcnt vmcnt(39)
	ds_write_b32 v79, v30 offset:2112
	s_waitcnt vmcnt(38)
	ds_write_b32 v79, v31 offset:2376
	s_waitcnt vmcnt(37)
	ds_write_b32 v79, v32 offset:2640
	s_waitcnt vmcnt(36)
	ds_write_b32 v79, v33 offset:2904
	s_waitcnt vmcnt(35)
	ds_write_b32 v79, v34 offset:3168
	s_waitcnt vmcnt(34)
	ds_write_b32 v79, v35 offset:3432
	s_waitcnt vmcnt(33)
	ds_write_b32 v79, v36 offset:3696
	s_waitcnt vmcnt(32)
	ds_write_b32 v79, v37 offset:3960
	ds_read_b64 v[34:35], v80
	ds_read_b64 v[30:31], v80 offset:32
	ds_read_b64 v[28:29], v80 offset:64
	ds_read_b64 v[26:27], v80 offset:96
	ds_read_b64 v[24:25], v80 offset:128
	ds_read_b64 v[22:23], v80 offset:160
	ds_read_b64 v[20:21], v80 offset:192
	ds_read_b64 v[18:19], v80 offset:224
	s_waitcnt vmcnt(31)
	ds_write_b32 v79, v38
	s_waitcnt vmcnt(30)
	ds_write_b32 v79, v39 offset:264
	s_waitcnt vmcnt(29)
	ds_write_b32 v79, v40 offset:528
	s_waitcnt vmcnt(28)
	ds_write_b32 v79, v41 offset:792
	s_waitcnt vmcnt(27)
	ds_write_b32 v79, v42 offset:1056
	s_waitcnt vmcnt(26)
	ds_write_b32 v79, v43 offset:1320
	s_waitcnt vmcnt(25)
	ds_write_b32 v79, v44 offset:1584
	s_waitcnt vmcnt(24)
	ds_write_b32 v79, v45 offset:1848
	s_waitcnt vmcnt(23)
	ds_write_b32 v79, v46 offset:2112
	s_waitcnt vmcnt(22)
	ds_write_b32 v79, v47 offset:2376
	s_waitcnt vmcnt(21)
	ds_write_b32 v79, v48 offset:2640
	s_waitcnt vmcnt(20)
	ds_write_b32 v79, v49 offset:2904
	s_waitcnt vmcnt(19)
	ds_write_b32 v79, v50 offset:3168
	s_waitcnt vmcnt(18)
	ds_write_b32 v79, v51 offset:3432
	s_waitcnt vmcnt(17)
	ds_write_b32 v79, v52 offset:3696
	s_waitcnt vmcnt(16)
	ds_write_b32 v79, v53 offset:3960
	ds_read_b64 v[48:49], v80
	ds_read_b64 v[46:47], v80 offset:32
	ds_read_b64 v[44:45], v80 offset:64
	ds_read_b64 v[42:43], v80 offset:96
	;; [unrolled: 40-line block ×3, first 2 shown]
	ds_read_b64 v[60:61], v80 offset:128
	ds_read_b64 v[56:57], v80 offset:160
	;; [unrolled: 1-line block ×4, first 2 shown]
	s_andn2_b64 vcc, exec, s[4:5]
	v_mov_b32_e32 v72, 0
	v_mov_b32_e32 v73, 0
	s_cbranch_vccnz .LBB129_9
; %bb.7:                                ;   in Loop: Header=BB129_6 Depth=1
	s_load_dword s27, s[34:35], 0x0
	v_mov_b32_e32 v73, 0
	v_mov_b32_e32 v72, 0
	s_waitcnt lgkmcnt(0)
	s_mul_hi_u32 s44, s27, s16
	s_add_i32 s44, s27, s44
	s_lshr_b32 s44, s44, s17
	s_cmp_ge_i32 s44, s13
	s_cbranch_scc1 .LBB129_9
; %bb.8:                                ;   in Loop: Header=BB129_6 Depth=1
	s_mul_i32 s45, s44, s18
	s_sub_i32 s27, s27, s45
	s_mul_i32 s44, s44, s20
	s_mul_i32 s27, s27, s1
	v_add_u32_e32 v66, s44, v78
	v_lshl_add_u32 v66, v66, 1, s27
	v_ashrrev_i32_e32 v67, 31, v66
	v_lshlrev_b64 v[66:67], 2, v[66:67]
	v_mov_b32_e32 v68, s11
	v_add_co_u32_e32 v66, vcc, s10, v66
	v_addc_co_u32_e32 v67, vcc, v68, v67, vcc
	global_load_dwordx2 v[72:73], v[66:67], off
.LBB129_9:                              ;   in Loop: Header=BB129_6 Depth=1
	s_andn2_b64 vcc, exec, s[36:37]
	v_mov_b32_e32 v66, 0
	v_mov_b32_e32 v70, 0
	;; [unrolled: 1-line block ×3, first 2 shown]
	s_cbranch_vccnz .LBB129_12
; %bb.10:                               ;   in Loop: Header=BB129_6 Depth=1
	s_load_dword s27, s[34:35], 0x4
	v_mov_b32_e32 v71, 0
	v_mov_b32_e32 v70, 0
	s_waitcnt lgkmcnt(0)
	s_mul_hi_u32 s44, s27, s16
	s_add_i32 s44, s27, s44
	s_lshr_b32 s44, s44, s17
	s_cmp_ge_i32 s44, s13
	s_cbranch_scc1 .LBB129_12
; %bb.11:                               ;   in Loop: Header=BB129_6 Depth=1
	s_mul_i32 s45, s44, s18
	s_sub_i32 s27, s27, s45
	s_mul_i32 s44, s44, s20
	s_mul_i32 s27, s27, s1
	v_add_u32_e32 v67, s44, v78
	v_lshl_add_u32 v68, v67, 1, s27
	v_ashrrev_i32_e32 v69, 31, v68
	v_lshlrev_b64 v[68:69], 2, v[68:69]
	v_mov_b32_e32 v67, s11
	v_add_co_u32_e32 v68, vcc, s10, v68
	v_addc_co_u32_e32 v69, vcc, v67, v69, vcc
	global_load_dwordx2 v[70:71], v[68:69], off
.LBB129_12:                             ;   in Loop: Header=BB129_6 Depth=1
	s_andn2_b64 vcc, exec, s[38:39]
	v_mov_b32_e32 v67, 0
	s_cbranch_vccnz .LBB129_15
; %bb.13:                               ;   in Loop: Header=BB129_6 Depth=1
	s_load_dword s27, s[34:35], 0x8
	v_mov_b32_e32 v67, 0
	v_mov_b32_e32 v66, 0
	s_waitcnt lgkmcnt(0)
	s_mul_hi_u32 s44, s27, s16
	s_add_i32 s44, s27, s44
	s_lshr_b32 s44, s44, s17
	s_cmp_ge_i32 s44, s13
	s_cbranch_scc1 .LBB129_15
; %bb.14:                               ;   in Loop: Header=BB129_6 Depth=1
	s_mul_i32 s45, s44, s18
	s_sub_i32 s27, s27, s45
	s_mul_i32 s44, s44, s20
	s_mul_i32 s27, s27, s1
	v_add_u32_e32 v66, s44, v78
	v_lshl_add_u32 v66, v66, 1, s27
	v_ashrrev_i32_e32 v67, 31, v66
	v_lshlrev_b64 v[66:67], 2, v[66:67]
	v_mov_b32_e32 v68, s11
	v_add_co_u32_e32 v66, vcc, s10, v66
	v_addc_co_u32_e32 v67, vcc, v68, v67, vcc
	global_load_dwordx2 v[66:67], v[66:67], off
.LBB129_15:                             ;   in Loop: Header=BB129_6 Depth=1
	s_andn2_b64 vcc, exec, s[40:41]
	v_mov_b32_e32 v68, 0
	v_mov_b32_e32 v69, 0
	s_cbranch_vccnz .LBB129_18
; %bb.16:                               ;   in Loop: Header=BB129_6 Depth=1
	s_load_dword s27, s[34:35], 0xc
	v_mov_b32_e32 v69, 0
	v_mov_b32_e32 v68, 0
	s_waitcnt lgkmcnt(0)
	s_mul_hi_u32 s44, s27, s16
	s_add_i32 s44, s27, s44
	s_lshr_b32 s44, s44, s17
	s_cmp_ge_i32 s44, s13
	s_cbranch_scc1 .LBB129_18
; %bb.17:                               ;   in Loop: Header=BB129_6 Depth=1
	s_mul_i32 s45, s44, s18
	s_sub_i32 s27, s27, s45
	s_mul_i32 s44, s44, s20
	s_mul_i32 s27, s27, s1
	v_add_u32_e32 v68, s44, v78
	v_lshl_add_u32 v68, v68, 1, s27
	v_ashrrev_i32_e32 v69, 31, v68
	v_lshlrev_b64 v[68:69], 2, v[68:69]
	v_mov_b32_e32 v84, s11
	v_add_co_u32_e32 v68, vcc, s10, v68
	v_addc_co_u32_e32 v69, vcc, v84, v69, vcc
	global_load_dwordx2 v[68:69], v[68:69], off
.LBB129_18:                             ;   in Loop: Header=BB129_6 Depth=1
	s_waitcnt vmcnt(0)
	v_and_b32_e32 v84, 0x7f800000, v72
	v_cmp_ne_u32_e32 vcc, s6, v84
                                        ; implicit-def: $vgpr84
	s_and_saveexec_b64 s[44:45], vcc
	s_xor_b64 s[44:45], exec, s[44:45]
; %bb.19:                               ;   in Loop: Header=BB129_6 Depth=1
	v_bfe_u32 v84, v72, 16, 1
	v_add3_u32 v84, v72, v84, s33
; %bb.20:                               ;   in Loop: Header=BB129_6 Depth=1
	s_andn2_saveexec_b64 s[44:45], s[44:45]
; %bb.21:                               ;   in Loop: Header=BB129_6 Depth=1
	v_or_b32_e32 v84, 0x10000, v72
	v_cmp_eq_u32_sdwa vcc, v72, v82 src0_sel:WORD_0 src1_sel:DWORD
	v_cndmask_b32_e32 v84, v84, v72, vcc
; %bb.22:                               ;   in Loop: Header=BB129_6 Depth=1
	s_or_b64 exec, exec, s[44:45]
	v_and_b32_e32 v72, 0x7f800000, v73
	v_cmp_ne_u32_e32 vcc, s6, v72
                                        ; implicit-def: $vgpr72
	s_and_saveexec_b64 s[44:45], vcc
	s_xor_b64 s[44:45], exec, s[44:45]
; %bb.23:                               ;   in Loop: Header=BB129_6 Depth=1
	v_bfe_u32 v72, v73, 16, 1
	v_add3_u32 v72, v73, v72, s33
                                        ; implicit-def: $vgpr73
; %bb.24:                               ;   in Loop: Header=BB129_6 Depth=1
	s_andn2_saveexec_b64 s[44:45], s[44:45]
; %bb.25:                               ;   in Loop: Header=BB129_6 Depth=1
	v_or_b32_e32 v72, 0x10000, v73
	v_cmp_eq_u32_sdwa vcc, v73, v82 src0_sel:WORD_0 src1_sel:DWORD
	v_cndmask_b32_e32 v72, v72, v73, vcc
; %bb.26:                               ;   in Loop: Header=BB129_6 Depth=1
	s_or_b64 exec, exec, s[44:45]
	v_perm_b32 v72, v72, v84, s26
	ds_write_b32 v79, v72
	v_and_b32_e32 v72, 0x7f800000, v70
	v_cmp_ne_u32_e32 vcc, s6, v72
                                        ; implicit-def: $vgpr72
	s_and_saveexec_b64 s[44:45], vcc
	s_xor_b64 s[44:45], exec, s[44:45]
; %bb.27:                               ;   in Loop: Header=BB129_6 Depth=1
	v_bfe_u32 v72, v70, 16, 1
	v_add3_u32 v72, v70, v72, s33
; %bb.28:                               ;   in Loop: Header=BB129_6 Depth=1
	s_andn2_saveexec_b64 s[44:45], s[44:45]
; %bb.29:                               ;   in Loop: Header=BB129_6 Depth=1
	v_or_b32_e32 v72, 0x10000, v70
	v_cmp_eq_u32_sdwa vcc, v70, v82 src0_sel:WORD_0 src1_sel:DWORD
	v_cndmask_b32_e32 v72, v72, v70, vcc
; %bb.30:                               ;   in Loop: Header=BB129_6 Depth=1
	s_or_b64 exec, exec, s[44:45]
	v_and_b32_e32 v70, 0x7f800000, v71
	v_cmp_ne_u32_e32 vcc, s6, v70
                                        ; implicit-def: $vgpr70
	s_and_saveexec_b64 s[44:45], vcc
	s_xor_b64 s[44:45], exec, s[44:45]
; %bb.31:                               ;   in Loop: Header=BB129_6 Depth=1
	v_bfe_u32 v70, v71, 16, 1
	v_add3_u32 v70, v71, v70, s33
                                        ; implicit-def: $vgpr71
; %bb.32:                               ;   in Loop: Header=BB129_6 Depth=1
	s_andn2_saveexec_b64 s[44:45], s[44:45]
; %bb.33:                               ;   in Loop: Header=BB129_6 Depth=1
	v_or_b32_e32 v70, 0x10000, v71
	v_cmp_eq_u32_sdwa vcc, v71, v82 src0_sel:WORD_0 src1_sel:DWORD
	v_cndmask_b32_e32 v70, v70, v71, vcc
; %bb.34:                               ;   in Loop: Header=BB129_6 Depth=1
	s_or_b64 exec, exec, s[44:45]
	v_perm_b32 v70, v70, v72, s26
	ds_write_b32 v79, v70 offset:264
	v_and_b32_e32 v70, 0x7f800000, v66
	v_cmp_ne_u32_e32 vcc, s6, v70
                                        ; implicit-def: $vgpr70
	s_and_saveexec_b64 s[44:45], vcc
	s_xor_b64 s[44:45], exec, s[44:45]
; %bb.35:                               ;   in Loop: Header=BB129_6 Depth=1
	v_bfe_u32 v70, v66, 16, 1
	v_add3_u32 v70, v66, v70, s33
; %bb.36:                               ;   in Loop: Header=BB129_6 Depth=1
	s_andn2_saveexec_b64 s[44:45], s[44:45]
; %bb.37:                               ;   in Loop: Header=BB129_6 Depth=1
	v_or_b32_e32 v70, 0x10000, v66
	v_cmp_eq_u32_sdwa vcc, v66, v82 src0_sel:WORD_0 src1_sel:DWORD
	v_cndmask_b32_e32 v70, v70, v66, vcc
; %bb.38:                               ;   in Loop: Header=BB129_6 Depth=1
	s_or_b64 exec, exec, s[44:45]
	v_and_b32_e32 v66, 0x7f800000, v67
	v_cmp_ne_u32_e32 vcc, s6, v66
                                        ; implicit-def: $vgpr66
	s_and_saveexec_b64 s[44:45], vcc
	s_xor_b64 s[44:45], exec, s[44:45]
; %bb.39:                               ;   in Loop: Header=BB129_6 Depth=1
	v_bfe_u32 v66, v67, 16, 1
	v_add3_u32 v66, v67, v66, s33
                                        ; implicit-def: $vgpr67
; %bb.40:                               ;   in Loop: Header=BB129_6 Depth=1
	s_andn2_saveexec_b64 s[44:45], s[44:45]
; %bb.41:                               ;   in Loop: Header=BB129_6 Depth=1
	v_or_b32_e32 v66, 0x10000, v67
	v_cmp_eq_u32_sdwa vcc, v67, v82 src0_sel:WORD_0 src1_sel:DWORD
	v_cndmask_b32_e32 v66, v66, v67, vcc
; %bb.42:                               ;   in Loop: Header=BB129_6 Depth=1
	s_or_b64 exec, exec, s[44:45]
	v_perm_b32 v66, v66, v70, s26
	ds_write_b32 v79, v66 offset:528
	v_and_b32_e32 v66, 0x7f800000, v68
	v_cmp_ne_u32_e32 vcc, s6, v66
                                        ; implicit-def: $vgpr66
	s_and_saveexec_b64 s[44:45], vcc
	s_xor_b64 s[44:45], exec, s[44:45]
; %bb.43:                               ;   in Loop: Header=BB129_6 Depth=1
	v_bfe_u32 v66, v68, 16, 1
	v_add3_u32 v66, v68, v66, s33
; %bb.44:                               ;   in Loop: Header=BB129_6 Depth=1
	s_andn2_saveexec_b64 s[44:45], s[44:45]
; %bb.45:                               ;   in Loop: Header=BB129_6 Depth=1
	v_or_b32_e32 v66, 0x10000, v68
	v_cmp_eq_u32_sdwa vcc, v68, v82 src0_sel:WORD_0 src1_sel:DWORD
	v_cndmask_b32_e32 v66, v66, v68, vcc
; %bb.46:                               ;   in Loop: Header=BB129_6 Depth=1
	s_or_b64 exec, exec, s[44:45]
	v_and_b32_e32 v67, 0x7f800000, v69
	v_cmp_ne_u32_e32 vcc, s6, v67
                                        ; implicit-def: $vgpr67
	s_and_saveexec_b64 s[44:45], vcc
	s_xor_b64 s[44:45], exec, s[44:45]
; %bb.47:                               ;   in Loop: Header=BB129_6 Depth=1
	v_bfe_u32 v67, v69, 16, 1
	v_add3_u32 v67, v69, v67, s33
                                        ; implicit-def: $vgpr69
; %bb.48:                               ;   in Loop: Header=BB129_6 Depth=1
	s_andn2_saveexec_b64 s[44:45], s[44:45]
	s_cbranch_execz .LBB129_5
; %bb.49:                               ;   in Loop: Header=BB129_6 Depth=1
	v_or_b32_e32 v67, 0x10000, v69
	v_cmp_eq_u32_sdwa vcc, v69, v82 src0_sel:WORD_0 src1_sel:DWORD
	v_cndmask_b32_e32 v67, v67, v69, vcc
	s_branch .LBB129_5
.LBB129_50:
	s_or_b64 exec, exec, s[8:9]
	v_readlane_b32 s24, v85, 6
	v_readlane_b32 s30, v85, 9
	v_readlane_b32 s25, v85, 7
	v_readlane_b32 s26, v85, 13
	v_readlane_b32 s28, v85, 11
	v_readlane_b32 s31, v85, 10
	v_readlane_b32 s22, v85, 8
	v_readlane_b32 s29, v85, 12
.LBB129_51:
	v_readlane_b32 s0, v85, 4
	v_readlane_b32 s1, v85, 5
	s_or_b64 exec, exec, s[0:1]
	s_lshl_b64 s[0:1], s[30:31], 2
	v_readlane_b32 s4, v85, 0
	v_mul_u32_u24_e32 v0, 0x308, v77
	v_lshlrev_b32_e32 v1, 2, v76
	v_or_b32_e32 v2, 12, v75
	v_readlane_b32 s5, v85, 1
	s_add_u32 s3, s4, s0
	v_add3_u32 v0, 0, v0, v1
	v_and_b32_e32 v1, 0x3f0, v75
	v_and_b32_e32 v2, 0x3fc, v2
	s_addc_u32 s6, s5, s1
	v_add_u32_e32 v1, v0, v1
	v_add_u32_e32 v0, v0, v2
	s_barrier
	ds_write2_b32 v1, a0, a1 offset1:1
	ds_write_b32 v1, a2 offset:8
	ds_write_b32 v0, a3
	ds_write2_b32 v1, a4, a5 offset0:16 offset1:17
	ds_write_b32 v1, a6 offset:72
	ds_write_b32 v0, a7 offset:64
	ds_write2_b32 v1, a8, a9 offset0:32 offset1:33
	ds_write_b32 v1, a10 offset:136
	ds_write_b32 v0, a11 offset:128
	;; [unrolled: 3-line block ×3, first 2 shown]
	s_cmp_gt_i32 s14, 0
	v_add_u32_e32 v0, s28, v74
	s_cselect_b64 s[4:5], -1, 0
	v_cmp_gt_i32_e64 s[0:1], s26, v0
	v_cmp_gt_u32_e32 vcc, 4, v74
	s_and_b64 s[0:1], s[4:5], s[0:1]
	v_lshl_add_u32 v3, v75, 2, 0
	v_add_u32_e32 v2, s22, v75
	s_and_b64 s[8:9], vcc, s[0:1]
	s_waitcnt lgkmcnt(0)
	s_barrier
	s_and_saveexec_b64 s[0:1], s[8:9]
	s_cbranch_execz .LBB129_54
; %bb.52:
	v_ashrrev_i32_e32 v1, 31, v0
	v_lshlrev_b64 v[0:1], 2, v[0:1]
	v_mov_b32_e32 v4, s6
	v_add_co_u32_e32 v0, vcc, s3, v0
	v_addc_co_u32_e32 v1, vcc, v4, v1, vcc
	global_load_dword v1, v[0:1], off
	s_waitcnt vmcnt(0)
	v_mul_hi_u32 v0, v1, s19
	v_add_u32_e32 v0, v1, v0
	v_lshrrev_b32_e32 v0, s24, v0
	v_cmp_gt_i32_e32 vcc, s13, v0
	s_and_b64 exec, exec, vcc
	s_cbranch_execz .LBB129_54
; %bb.53:
	s_movk_i32 s7, 0x308
	v_mad_u32_u24 v6, v74, s7, v3
	ds_read2st64_b32 v[4:5], v6 offset1:1
	v_mul_lo_u32 v7, v0, s25
	ds_read_b32 v6, v6 offset:512
	v_sub_u32_e32 v1, v1, v7
	v_mul_lo_u32 v1, v1, s2
	v_mul_lo_u32 v0, v0, s21
	v_add3_u32 v0, v2, v0, v1
	v_mov_b32_e32 v1, 0
	v_readlane_b32 s8, v85, 2
	s_waitcnt lgkmcnt(1)
	v_add_f32_e32 v4, 0, v4
	v_lshlrev_b64 v[0:1], 2, v[0:1]
	v_readlane_b32 s9, v85, 3
	v_add_f32_e32 v4, v4, v5
	v_mov_b32_e32 v5, s9
	v_add_co_u32_e32 v0, vcc, s8, v0
	s_waitcnt lgkmcnt(0)
	v_add_f32_e32 v4, v4, v6
	v_addc_co_u32_e32 v1, vcc, v5, v1, vcc
	global_store_dword v[0:1], v4, off
.LBB129_54:
	s_or_b64 exec, exec, s[0:1]
	v_cmp_eq_u32_e32 vcc, 0, v74
	s_and_saveexec_b64 s[0:1], vcc
	s_cbranch_execz .LBB129_58
; %bb.55:
	s_or_b32 s0, s28, 3
	s_cmp_ge_i32 s0, s26
	s_cselect_b64 s[0:1], -1, 0
	s_xor_b64 s[4:5], s[4:5], -1
	s_or_b64 s[0:1], s[4:5], s[0:1]
	s_and_b64 vcc, exec, s[0:1]
	s_cbranch_vccnz .LBB129_58
; %bb.56:
	s_ashr_i32 s29, s28, 31
	s_lshl_b64 s[0:1], s[28:29], 2
	s_add_u32 s0, s3, s0
	s_addc_u32 s1, s6, s1
	s_load_dword s1, s[0:1], 0xc
	s_waitcnt lgkmcnt(0)
	s_mul_hi_u32 s0, s1, s19
	s_add_i32 s0, s1, s0
	s_lshr_b32 s0, s0, s24
	s_cmp_ge_i32 s0, s13
	s_cbranch_scc1 .LBB129_58
; %bb.57:
	v_add_u32_e32 v0, 24, v3
	ds_read2st64_b32 v[0:1], v0 offset0:9 offset1:10
	ds_read_b32 v3, v3 offset:2840
	s_mul_i32 s3, s0, s25
	s_sub_i32 s1, s1, s3
	s_mul_i32 s1, s1, s2
	s_waitcnt lgkmcnt(1)
	v_add_f32_e32 v0, 0, v0
	s_mul_i32 s0, s0, s21
	v_add_f32_e32 v0, v0, v1
	s_add_i32 s1, s1, s0
	s_waitcnt lgkmcnt(0)
	v_add_f32_e32 v3, v0, v3
	v_add_u32_e32 v0, s1, v2
	v_mov_b32_e32 v1, 0
	v_readlane_b32 s0, v85, 2
	v_lshlrev_b64 v[0:1], 2, v[0:1]
	v_readlane_b32 s1, v85, 3
	v_mov_b32_e32 v2, s1
	v_add_co_u32_e32 v0, vcc, s0, v0
	v_addc_co_u32_e32 v1, vcc, v2, v1, vcc
	global_store_dword v[0:1], v3, off
.LBB129_58:
	s_endpgm
	.section	.rodata,"a",@progbits
	.p2align	6, 0x0
	.amdhsa_kernel _ZL13mul_mat_f_idsI15__hip_bfloat162Li64ELi4ELi3EEvPKT_PKfPKiS7_S7_Pfiiiiiiiiiiiiii15HIP_vector_typeIjLj3EESA_
		.amdhsa_group_segment_fixed_size 0
		.amdhsa_private_segment_fixed_size 0
		.amdhsa_kernarg_size 128
		.amdhsa_user_sgpr_count 6
		.amdhsa_user_sgpr_private_segment_buffer 1
		.amdhsa_user_sgpr_dispatch_ptr 0
		.amdhsa_user_sgpr_queue_ptr 0
		.amdhsa_user_sgpr_kernarg_segment_ptr 1
		.amdhsa_user_sgpr_dispatch_id 0
		.amdhsa_user_sgpr_flat_scratch_init 0
		.amdhsa_user_sgpr_kernarg_preload_length 0
		.amdhsa_user_sgpr_kernarg_preload_offset 0
		.amdhsa_user_sgpr_private_segment_size 0
		.amdhsa_uses_dynamic_stack 0
		.amdhsa_system_sgpr_private_segment_wavefront_offset 0
		.amdhsa_system_sgpr_workgroup_id_x 1
		.amdhsa_system_sgpr_workgroup_id_y 1
		.amdhsa_system_sgpr_workgroup_id_z 1
		.amdhsa_system_sgpr_workgroup_info 0
		.amdhsa_system_vgpr_workitem_id 1
		.amdhsa_next_free_vgpr 104
		.amdhsa_next_free_sgpr 96
		.amdhsa_accum_offset 88
		.amdhsa_reserve_vcc 1
		.amdhsa_reserve_flat_scratch 0
		.amdhsa_float_round_mode_32 0
		.amdhsa_float_round_mode_16_64 0
		.amdhsa_float_denorm_mode_32 3
		.amdhsa_float_denorm_mode_16_64 3
		.amdhsa_dx10_clamp 1
		.amdhsa_ieee_mode 1
		.amdhsa_fp16_overflow 0
		.amdhsa_tg_split 0
		.amdhsa_exception_fp_ieee_invalid_op 0
		.amdhsa_exception_fp_denorm_src 0
		.amdhsa_exception_fp_ieee_div_zero 0
		.amdhsa_exception_fp_ieee_overflow 0
		.amdhsa_exception_fp_ieee_underflow 0
		.amdhsa_exception_fp_ieee_inexact 0
		.amdhsa_exception_int_div_zero 0
	.end_amdhsa_kernel
	.section	.text._ZL13mul_mat_f_idsI15__hip_bfloat162Li64ELi4ELi3EEvPKT_PKfPKiS7_S7_Pfiiiiiiiiiiiiii15HIP_vector_typeIjLj3EESA_,"axG",@progbits,_ZL13mul_mat_f_idsI15__hip_bfloat162Li64ELi4ELi3EEvPKT_PKfPKiS7_S7_Pfiiiiiiiiiiiiii15HIP_vector_typeIjLj3EESA_,comdat
.Lfunc_end129:
	.size	_ZL13mul_mat_f_idsI15__hip_bfloat162Li64ELi4ELi3EEvPKT_PKfPKiS7_S7_Pfiiiiiiiiiiiiii15HIP_vector_typeIjLj3EESA_, .Lfunc_end129-_ZL13mul_mat_f_idsI15__hip_bfloat162Li64ELi4ELi3EEvPKT_PKfPKiS7_S7_Pfiiiiiiiiiiiiii15HIP_vector_typeIjLj3EESA_
                                        ; -- End function
	.section	.AMDGPU.csdata,"",@progbits
; Kernel info:
; codeLenInByte = 6372
; NumSgprs: 100
; NumVgprs: 86
; NumAgprs: 16
; TotalNumVgprs: 104
; ScratchSize: 0
; MemoryBound: 0
; FloatMode: 240
; IeeeMode: 1
; LDSByteSize: 0 bytes/workgroup (compile time only)
; SGPRBlocks: 12
; VGPRBlocks: 12
; NumSGPRsForWavesPerEU: 100
; NumVGPRsForWavesPerEU: 104
; AccumOffset: 88
; Occupancy: 4
; WaveLimiterHint : 1
; COMPUTE_PGM_RSRC2:SCRATCH_EN: 0
; COMPUTE_PGM_RSRC2:USER_SGPR: 6
; COMPUTE_PGM_RSRC2:TRAP_HANDLER: 0
; COMPUTE_PGM_RSRC2:TGID_X_EN: 1
; COMPUTE_PGM_RSRC2:TGID_Y_EN: 1
; COMPUTE_PGM_RSRC2:TGID_Z_EN: 1
; COMPUTE_PGM_RSRC2:TIDIG_COMP_CNT: 1
; COMPUTE_PGM_RSRC3_GFX90A:ACCUM_OFFSET: 21
; COMPUTE_PGM_RSRC3_GFX90A:TG_SPLIT: 0
	.section	.text._ZL9mul_mat_fI15__hip_bfloat162Li64ELi4ELi3ELb1EEvPKT_PKfPKiPfiiiiiiiiiiiiiiii,"axG",@progbits,_ZL9mul_mat_fI15__hip_bfloat162Li64ELi4ELi3ELb1EEvPKT_PKfPKiPfiiiiiiiiiiiiiiii,comdat
	.globl	_ZL9mul_mat_fI15__hip_bfloat162Li64ELi4ELi3ELb1EEvPKT_PKfPKiPfiiiiiiiiiiiiiiii ; -- Begin function _ZL9mul_mat_fI15__hip_bfloat162Li64ELi4ELi3ELb1EEvPKT_PKfPKiPfiiiiiiiiiiiiiiii
	.p2align	8
	.type	_ZL9mul_mat_fI15__hip_bfloat162Li64ELi4ELi3ELb1EEvPKT_PKfPKiPfiiiiiiiiiiiiiiii,@function
_ZL9mul_mat_fI15__hip_bfloat162Li64ELi4ELi3ELb1EEvPKT_PKfPKiPfiiiiiiiiiiiiiiii: ; @_ZL9mul_mat_fI15__hip_bfloat162Li64ELi4ELi3ELb1EEvPKT_PKfPKiPfiiiiiiiiiiiiiiii
; %bb.0:
	s_load_dwordx8 s[16:23], s[4:5], 0x20
	v_and_b32_e32 v16, 0x3ff, v0
	v_bfe_u32 v17, v0, 10, 10
	v_cmp_eq_u32_e32 vcc, 0, v16
	s_waitcnt lgkmcnt(0)
	s_add_i32 s0, s17, 3
	s_ashr_i32 s1, s0, 31
	s_lshr_b32 s1, s1, 30
	s_add_i32 s0, s0, s1
	s_ashr_i32 s0, s0, 2
	v_cvt_f32_u32_e32 v1, s0
	s_load_dwordx4 s[24:27], s[4:5], 0x44
	s_load_dword s1, s[4:5], 0x64
	s_sub_i32 s2, 0, s0
	s_add_u32 s34, s4, 0x60
	v_rcp_iflag_f32_e32 v1, v1
	s_addc_u32 s35, s5, 0
	v_mul_f32_e32 v1, 0x4f7ffffe, v1
	v_cvt_u32_f32_e32 v1, v1
	v_readfirstlane_b32 s3, v1
	s_mul_i32 s2, s2, s3
	s_mul_hi_u32 s2, s3, s2
	s_add_i32 s3, s3, s2
	s_waitcnt lgkmcnt(0)
	s_mul_hi_u32 s2, s1, s3
	s_mul_i32 s3, s2, s0
	s_sub_i32 s1, s1, s3
	s_add_i32 s9, s2, 1
	s_sub_i32 s3, s1, s0
	s_cmp_ge_u32 s1, s0
	s_cselect_b32 s2, s9, s2
	s_cselect_b32 s1, s3, s1
	s_add_i32 s3, s2, 1
	s_cmp_ge_u32 s1, s0
	s_cselect_b32 s9, s3, s2
	v_cvt_f32_u32_e32 v1, s9
	s_abs_i32 s33, s27
	v_cvt_f32_u32_e32 v2, s33
	s_load_dwordx2 s[0:1], s[4:5], 0x10
	v_rcp_iflag_f32_e32 v1, v1
	s_sub_i32 s2, 0, s9
	v_rcp_iflag_f32_e32 v2, v2
	s_sub_i32 s41, 0, s33
	v_mul_f32_e32 v1, 0x4f7ffffe, v1
	v_cvt_u32_f32_e32 v1, v1
	v_mul_f32_e32 v2, 0x4f7ffffe, v2
	v_cvt_u32_f32_e32 v2, v2
	v_readfirstlane_b32 s3, v1
	s_mul_i32 s2, s2, s3
	s_mul_hi_u32 s2, s3, s2
	s_add_i32 s3, s3, s2
	v_readfirstlane_b32 s38, v2
	s_mul_hi_u32 s10, s7, s3
	s_and_saveexec_b64 s[2:3], vcc
	s_cbranch_execz .LBB130_2
; %bb.1:
	v_mov_b32_e32 v1, 0x100
	v_lshl_add_u32 v1, v17, 2, v1
	v_mov_b32_e32 v2, -1
	ds_write_b32 v1, v2
.LBB130_2:
	s_or_b64 exec, exec, s[2:3]
	s_mul_i32 s2, s10, s9
	s_sub_i32 s2, s7, s2
	s_add_i32 s3, s10, 1
	s_sub_i32 s11, s2, s9
	s_cmp_ge_u32 s2, s9
	s_cselect_b32 s3, s3, s10
	s_cselect_b32 s2, s11, s2
	s_add_i32 s10, s3, 1
	s_cmp_ge_u32 s2, s9
	s_cselect_b32 s2, s10, s3
	s_mul_i32 s3, s2, s9
	s_lshl_b32 s9, s2, 2
	s_sub_i32 s7, s7, s3
	s_mul_hi_i32 s3, s9, s23
	s_mul_i32 s2, s9, s23
	s_lshl_b64 s[2:3], s[2:3], 2
	s_waitcnt lgkmcnt(0)
	s_add_u32 s39, s0, s2
	v_add_u32_e32 v1, s9, v17
	s_mul_i32 s41, s41, s38
	s_addc_u32 s40, s1, s3
	v_cmp_gt_i32_e64 s[10:11], s18, v16
	v_cmp_gt_i32_e64 s[0:1], s17, v1
	v_mov_b32_e32 v1, 0
	s_and_saveexec_b64 s[14:15], s[0:1]
	s_cbranch_execz .LBB130_10
; %bb.3:
	v_mov_b32_e32 v1, 0
	s_and_saveexec_b64 s[28:29], s[10:11]
	s_cbranch_execz .LBB130_9
; %bb.4:
	v_mul_lo_u32 v2, v17, s23
	v_ashrrev_i32_e32 v3, 31, v2
	v_lshlrev_b64 v[2:3], 2, v[2:3]
	v_mov_b32_e32 v1, s40
	v_add_co_u32_e64 v4, s[2:3], s39, v2
	v_addc_co_u32_e64 v5, s[2:3], v1, v3, s[2:3]
	v_mov_b32_e32 v1, 0x100
	v_lshl_add_u32 v6, v17, 2, v1
	v_mul_lo_u32 v2, v16, s22
	s_lshl_b32 s42, s22, 6
	s_mov_b64 s[30:31], 0
	v_mov_b32_e32 v1, 0
	v_mov_b32_e32 v7, v16
	s_branch .LBB130_6
.LBB130_5:                              ;   in Loop: Header=BB130_6 Depth=1
	s_or_b64 exec, exec, s[36:37]
	v_add_u32_e32 v7, 64, v7
	v_cmp_le_i32_e64 s[12:13], s18, v7
	s_xor_b64 s[2:3], s[2:3], -1
	s_or_b64 s[2:3], s[2:3], s[12:13]
	s_and_b64 s[2:3], exec, s[2:3]
	s_or_b64 s[30:31], s[2:3], s[30:31]
	v_add_u32_e32 v2, s42, v2
	s_andn2_b64 exec, exec, s[30:31]
	s_cbranch_execz .LBB130_8
.LBB130_6:                              ; =>This Inner Loop Header: Depth=1
	v_ashrrev_i32_e32 v3, 31, v2
	v_lshlrev_b64 v[8:9], 2, v[2:3]
	v_add_co_u32_e64 v8, s[2:3], v4, v8
	v_addc_co_u32_e64 v9, s[2:3], v5, v9, s[2:3]
	global_load_dword v3, v[8:9], off
	s_waitcnt vmcnt(0)
	v_cmp_ne_u32_e64 s[2:3], s7, v3
	v_cmp_eq_u32_e64 s[12:13], s7, v3
	s_and_saveexec_b64 s[36:37], s[12:13]
	s_cbranch_execz .LBB130_5
; %bb.7:                                ;   in Loop: Header=BB130_6 Depth=1
	v_mov_b32_e32 v1, 1
	ds_write_b32 v6, v7
	s_branch .LBB130_5
.LBB130_8:
	s_or_b64 exec, exec, s[30:31]
.LBB130_9:
	s_or_b64 exec, exec, s[28:29]
.LBB130_10:
	s_or_b64 exec, exec, s[14:15]
	s_mul_hi_u32 s13, s38, s41
	s_and_saveexec_b64 s[2:3], vcc
	s_cbranch_execz .LBB130_12
; %bb.11:
	v_mov_b32_e32 v2, 0x100
	v_lshl_add_u32 v2, v17, 2, v2
	v_mov_b32_e32 v3, -1
	ds_write_b32 v2, v3 offset:12
.LBB130_12:
	s_or_b64 exec, exec, s[2:3]
	s_load_dwordx4 s[44:47], s[4:5], 0x54
	v_add_u32_e32 v86, 3, v17
	v_add_u32_e32 v2, s9, v86
	s_abs_i32 s12, s8
	s_add_i32 s38, s38, s13
	v_cmp_gt_i32_e64 s[2:3], s17, v2
	s_and_saveexec_b64 s[28:29], s[2:3]
	s_cbranch_execz .LBB130_20
; %bb.13:
	s_and_saveexec_b64 s[30:31], s[10:11]
	s_cbranch_execz .LBB130_19
; %bb.14:
	v_mul_lo_u32 v2, v86, s23
	v_ashrrev_i32_e32 v3, 31, v2
	v_lshlrev_b64 v[2:3], 2, v[2:3]
	v_mov_b32_e32 v5, s40
	v_add_co_u32_e32 v4, vcc, s39, v2
	v_mov_b32_e32 v2, 0x100
	v_addc_co_u32_e32 v5, vcc, v5, v3, vcc
	v_lshl_add_u32 v6, v17, 2, v2
	v_mul_lo_u32 v2, v16, s22
	s_lshl_b32 s13, s22, 6
	s_mov_b64 s[22:23], 0
	v_mov_b32_e32 v7, v16
	s_branch .LBB130_16
.LBB130_15:                             ;   in Loop: Header=BB130_16 Depth=1
	s_or_b64 exec, exec, s[36:37]
	v_add_u32_e32 v7, 64, v7
	v_cmp_le_i32_e64 s[10:11], s18, v7
	s_xor_b64 s[14:15], vcc, -1
	s_or_b64 s[10:11], s[14:15], s[10:11]
	s_and_b64 s[10:11], exec, s[10:11]
	s_or_b64 s[22:23], s[10:11], s[22:23]
	v_add_u32_e32 v2, s13, v2
	s_andn2_b64 exec, exec, s[22:23]
	s_cbranch_execz .LBB130_18
.LBB130_16:                             ; =>This Inner Loop Header: Depth=1
	v_ashrrev_i32_e32 v3, 31, v2
	v_lshlrev_b64 v[8:9], 2, v[2:3]
	v_add_co_u32_e32 v8, vcc, v4, v8
	v_addc_co_u32_e32 v9, vcc, v5, v9, vcc
	global_load_dword v3, v[8:9], off
	s_waitcnt vmcnt(0)
	v_cmp_ne_u32_e32 vcc, s7, v3
	v_cmp_eq_u32_e64 s[10:11], s7, v3
	s_and_saveexec_b64 s[36:37], s[10:11]
	s_cbranch_execz .LBB130_15
; %bb.17:                               ;   in Loop: Header=BB130_16 Depth=1
	v_mov_b32_e32 v1, 1
	ds_write_b32 v6, v7 offset:12
	s_branch .LBB130_15
.LBB130_18:
	s_or_b64 exec, exec, s[22:23]
.LBB130_19:
	s_or_b64 exec, exec, s[30:31]
.LBB130_20:
	s_or_b64 exec, exec, s[28:29]
	s_load_dwordx2 s[14:15], s[34:35], 0xc
	s_load_dwordx4 s[28:31], s[4:5], 0x0
	s_load_dwordx2 s[36:37], s[4:5], 0x18
	v_cmp_ne_u32_e32 vcc, 0, v1
	v_cndmask_b32_e64 v1, 0, 1, vcc
	s_waitcnt lgkmcnt(0)
	s_lshr_b32 s5, s14, 16
	s_and_b32 s4, s14, 0xffff
	v_or_b32_dpp v1, v1, v1 row_shl:1 row_mask:0xf bank_mask:0xf bound_ctrl:1
	s_mul_i32 s13, s5, s4
	s_and_b32 s11, s15, 0xffff
	v_or_b32_dpp v1, v1, v1 row_shl:2 row_mask:0xf bank_mask:0xf bound_ctrl:1
	s_bfe_i32 s13, s13, 0x180000
	s_mul_i32 s11, s13, s11
	v_or_b32_dpp v1, v1, v1 row_shl:4 row_mask:0xf bank_mask:0xf bound_ctrl:1
	s_add_i32 s13, s11, 63
	s_bitcmp1_b32 exec_hi, 0
	v_or_b32_dpp v1, v1, v1 row_shl:8 row_mask:0xf bank_mask:0xf bound_ctrl:1
	s_mul_hi_u32 s10, s12, s38
	s_nop 0
	v_mov_b32_dpp v2, v1 wave_shl:1 row_mask:0xf bank_mask:0xf bound_ctrl:1
	s_nop 1
	v_or_b32_dpp v1, v2, v1 row_mirror row_mask:0xf bank_mask:0xf bound_ctrl:1
	v_readlane_b32 s11, v1, 32
	s_cselect_b32 s11, s11, 0
	v_readlane_b32 s14, v1, 0
	s_or_b32 s11, s11, s14
	s_andn2_b32 s13, s13, 63
	s_cmp_lg_u32 s13, 64
	v_mov_b32_e32 v1, s11
	s_cbranch_scc0 .LBB130_27
; %bb.21:
	v_bfe_u32 v0, v0, 20, 10
	v_mbcnt_lo_u32_b32 v1, -1, 0
	v_mad_u32_u24 v0, v0, s5, v17
	v_mbcnt_hi_u32_b32 v2, -1, v1
	v_mad_u64_u32 v[0:1], s[4:5], v0, s4, v[16:17]
	v_lshrrev_b32_e32 v1, 6, v0
	v_or_b32_e32 v1, v2, v1
	v_cmp_eq_u32_e32 vcc, 0, v1
	s_and_saveexec_b64 s[4:5], vcc
	s_cbranch_execz .LBB130_23
; %bb.22:
	v_mov_b32_e32 v1, 0
	v_mov_b32_e32 v3, s11
	ds_write_b32 v1, v3
.LBB130_23:
	s_or_b64 exec, exec, s[4:5]
	v_cmp_eq_u32_e32 vcc, 0, v2
	v_cmp_lt_u32_e64 s[4:5], 63, v0
	s_and_b64 s[14:15], s[4:5], vcc
	s_waitcnt lgkmcnt(0)
	s_barrier
	s_and_saveexec_b64 s[4:5], s[14:15]
	s_cbranch_execz .LBB130_26
; %bb.24:
	v_mbcnt_lo_u32_b32 v0, exec_lo, 0
	v_mbcnt_hi_u32_b32 v0, exec_hi, v0
	v_cmp_eq_u32_e32 vcc, 0, v0
	s_and_b64 exec, exec, vcc
	s_cbranch_execz .LBB130_26
; %bb.25:
	v_mov_b32_e32 v0, 0
	v_mov_b32_e32 v1, s11
	ds_or_b32 v0, v1
.LBB130_26:
	s_or_b64 exec, exec, s[4:5]
	v_mov_b32_e32 v0, 0
	s_waitcnt lgkmcnt(0)
	s_barrier
	ds_read_b32 v1, v0
	s_waitcnt lgkmcnt(0)
	s_barrier
.LBB130_27:
	v_cmp_ne_u32_e32 vcc, 0, v1
	s_ashr_i32 s11, s8, 31
	s_ashr_i32 s13, s27, 31
	s_cbranch_vccz .LBB130_85
; %bb.28:
	v_lshlrev_b32_e32 v87, 6, v17
	v_add_u32_e32 v89, v87, v16
	v_cmp_le_i32_e32 vcc, s16, v89
	v_and_b32_e32 v88, 15, v16
                                        ; implicit-def: $sgpr14
	s_and_saveexec_b64 s[4:5], vcc
	s_xor_b64 s[4:5], exec, s[4:5]
; %bb.29:
	v_and_b32_e32 v88, 15, v16
	s_mov_b32 s14, 0
                                        ; implicit-def: $vgpr89
; %bb.30:
	s_or_saveexec_b64 s[4:5], s[4:5]
	s_lshl_b32 s15, s6, 6
	v_accvgpr_write_b32 a8, s14
	v_accvgpr_write_b32 a9, s14
	;; [unrolled: 1-line block ×16, first 2 shown]
	s_xor_b64 exec, exec, s[4:5]
	s_cbranch_execz .LBB130_78
; %bb.31:
	s_xor_b32 s6, s11, s13
	s_mul_i32 s11, s10, s33
	s_sub_i32 s11, s12, s11
	s_add_i32 s12, s10, 1
	s_sub_i32 s13, s11, s33
	s_cmp_ge_u32 s11, s33
	s_cselect_b32 s10, s12, s10
	s_cselect_b32 s11, s13, s11
	s_add_i32 s12, s10, 1
	s_cmp_ge_u32 s11, s33
	s_cselect_b32 s10, s12, s10
	s_xor_b32 s10, s10, s6
	s_sub_i32 s6, s10, s6
                                        ; implicit-def: $vgpr103 : SGPR spill to VGPR lane
	s_mul_hi_i32 s11, s6, s44
	s_mul_i32 s10, s6, s44
	s_mul_i32 s6, s7, s24
	v_writelane_b32 v103, s36, 0
	s_ashr_i32 s7, s6, 31
	s_lshl_b64 s[10:11], s[10:11], 2
	v_writelane_b32 v103, s37, 1
	s_add_u32 s13, s28, s10
	v_writelane_b32 v103, s15, 2
	s_mul_i32 s12, s15, s19
	s_addc_u32 s18, s29, s11
	s_lshl_b64 s[14:15], s[6:7], 2
	s_add_u32 s6, s13, s14
	s_addc_u32 s7, s18, s15
	s_ashr_i32 s13, s12, 31
	s_lshl_b64 s[38:39], s[12:13], 2
	s_add_u32 s24, s6, s38
	s_movk_i32 s6, 0x1080
	v_mov_b32_e32 v90, 0x100
	s_addc_u32 s18, s7, s39
	v_mad_u32_u24 v0, v17, s6, v90
	s_mul_hi_i32 s7, s45, s8
	v_writelane_b32 v103, s44, 3
	s_mul_i32 s6, s45, s8
	s_mul_hi_i32 s13, s20, s9
	s_mul_i32 s12, s20, s9
	s_lshl_b64 s[12:13], s[12:13], 3
	s_lshl_b64 s[6:7], s[6:7], 2
	s_add_u32 s6, s30, s6
	s_addc_u32 s7, s31, s7
	s_add_u32 s27, s6, s12
	s_addc_u32 s33, s7, s13
	s_cmp_lt_i32 s9, s17
	s_cselect_b64 s[6:7], -1, 0
	s_or_b32 s12, s9, 1
	s_cmp_lt_i32 s12, s17
	s_cselect_b64 s[12:13], -1, 0
	s_or_b32 s22, s9, 2
	s_cmp_lt_i32 s22, s17
	s_cselect_b64 s[22:23], -1, 0
	s_lshl_b32 s36, s20, 2
	s_or_b32 s30, s9, 3
	s_cmp_lt_i32 s30, s17
	s_cselect_b64 s[30:31], -1, 0
	s_ashr_i32 s35, s19, 31
	s_mov_b32 s34, s19
	s_lshl_b64 s[34:35], s[34:35], 2
	s_add_u32 s10, s10, s38
	s_addc_u32 s11, s11, s39
	v_lshrrev_b32_e32 v2, 1, v16
	s_add_u32 s10, s10, s14
	v_mul_u32_u24_e32 v1, 0x108, v88
	v_and_b32_e32 v2, 0x1f8, v2
	s_addc_u32 s11, s11, s15
	v_writelane_b32 v103, s45, 4
	v_lshl_add_u32 v91, v16, 2, v0
	v_add3_u32 v92, v0, v1, v2
	v_lshlrev_b32_e32 v0, 1, v16
	s_add_u32 s10, s28, s10
	v_writelane_b32 v103, s46, 5
	v_lshl_add_u32 v93, v17, 7, v0
	v_lshlrev_b32_e32 v0, 2, v89
	s_addc_u32 s11, s29, s11
	v_writelane_b32 v103, s47, 6
	v_mov_b32_e32 v1, s11
	v_add_co_u32_e32 v18, vcc, s10, v0
	s_mul_i32 s10, s20, 6
	v_addc_co_u32_e32 v19, vcc, 0, v1, vcc
	v_writelane_b32 v103, s10, 7
	s_lshl_b32 s20, s20, 1
	s_lshl_b32 s37, s19, 1
	s_mul_i32 s38, s19, 3
	s_lshl_b32 s39, s19, 2
	s_mul_i32 s40, s19, 5
	s_mul_i32 s41, s19, 6
	;; [unrolled: 1-line block ×3, first 2 shown]
	s_lshl_b32 s43, s19, 3
	s_mul_i32 s44, s19, 9
	s_mul_i32 s45, s19, 10
	s_mul_i32 s46, s19, 11
	s_mul_i32 s47, s19, 12
	s_mul_i32 s48, s19, 13
	s_mul_i32 s49, s19, 14
	s_mul_i32 s50, s19, 15
	s_lshl_b32 s51, s19, 4
	s_mul_i32 s52, s19, 17
	s_mul_i32 s53, s19, 18
	s_mul_i32 s54, s19, 19
	s_mul_i32 s55, s19, 20
	s_mul_i32 s56, s19, 21
	s_mul_i32 s57, s19, 22
	s_mul_i32 s58, s19, 23
	s_mul_i32 s59, s19, 24
	s_mul_i32 s60, s19, 25
	s_mul_i32 s61, s19, 26
	s_mul_i32 s62, s19, 27
	s_mul_i32 s63, s19, 28
	s_mul_i32 s64, s19, 29
	s_mul_i32 s65, s19, 30
	s_mul_i32 s66, s19, 31
	s_lshl_b32 s67, s19, 5
	s_mul_i32 s68, s19, 33
	s_mul_i32 s69, s19, 34
	;; [unrolled: 1-line block ×11, first 2 shown]
	v_mov_b32_e32 v94, s18
	s_mul_i32 s79, s19, 44
	v_mov_b32_e32 v95, 0
	v_accvgpr_write_b32 a15, 0
	v_accvgpr_write_b32 a14, 0
	;; [unrolled: 1-line block ×16, first 2 shown]
	v_mov_b32_e32 v96, s35
	s_mul_i32 s35, s19, 45
	s_mul_i32 s80, s19, 46
	;; [unrolled: 1-line block ×19, first 2 shown]
	s_mov_b32 s15, 0x7f800000
	s_movk_i32 s14, 0x7fff
	s_mov_b32 s17, 0x7060302
	s_mov_b64 s[18:19], 0
	s_branch .LBB130_33
.LBB130_32:                             ;   in Loop: Header=BB130_33 Depth=1
	s_or_b64 exec, exec, s[28:29]
	v_perm_b32 v84, v84, v97, s17
	v_add_u32_e32 v85, 0x200, v91
	ds_write2_b32 v85, v84, v95 offset0:86 offset1:152
	v_add_u32_e32 v84, 0x400, v91
	ds_write2_b32 v84, v95, v95 offset0:90 offset1:156
	v_add_u32_e32 v84, 0x600, v91
	ds_write2_b32 v84, v95, v95 offset0:94 offset1:160
	v_add_u32_e32 v84, 0x800, v91
	ds_write2_b32 v84, v95, v95 offset0:98 offset1:164
	v_add_u32_e32 v84, 0xa00, v91
	ds_write2_b32 v84, v95, v95 offset0:102 offset1:168
	v_add_u32_e32 v84, 0xc00, v91
	ds_write2_b32 v84, v95, v95 offset0:106 offset1:172
	ds_write_b32 v91, v95 offset:4024
	ds_read2_b64 v[98:101], v92 offset0:8 offset1:12
	v_accvgpr_write_b32 a0, v0
	v_accvgpr_write_b32 a4, v4
	;; [unrolled: 1-line block ×16, first 2 shown]
	s_waitcnt lgkmcnt(0)
	v_mfma_f32_16x16x16bf16_1k a[0:3], v[38:39], v[98:99], a[0:3]
	ds_read2_b64 v[0:3], v92 offset0:16 offset1:20
	v_add_co_u32_e32 v18, vcc, 0x300, v18
	v_add_u32_e32 v89, 0xc0, v89
	v_addc_co_u32_e32 v19, vcc, 0, v19, vcc
	v_cmp_le_i32_e32 vcc, s16, v89
	v_mfma_f32_16x16x16bf16_1k a[4:7], v[52:53], v[98:99], a[4:7]
	v_add_u32_e32 v93, 0x180, v93
	s_or_b64 s[18:19], vcc, s[18:19]
	v_mfma_f32_16x16x16bf16_1k a[8:11], v[66:67], v[98:99], a[8:11]
	v_mfma_f32_16x16x16bf16_1k a[12:15], v[82:83], v[98:99], a[12:15]
	;; [unrolled: 1-line block ×6, first 2 shown]
	s_waitcnt lgkmcnt(0)
	v_mfma_f32_16x16x16bf16_1k a[0:3], v[30:31], v[0:1], a[0:3]
	v_mfma_f32_16x16x16bf16_1k a[4:7], v[46:47], v[0:1], a[4:7]
	;; [unrolled: 1-line block ×8, first 2 shown]
	ds_read2_b64 v[0:3], v92 offset0:24 offset1:28
	s_waitcnt lgkmcnt(0)
	v_mfma_f32_16x16x16bf16_1k a[0:3], v[26:27], v[0:1], a[0:3]
	v_mfma_f32_16x16x16bf16_1k a[4:7], v[42:43], v[0:1], a[4:7]
	;; [unrolled: 1-line block ×8, first 2 shown]
	ds_read2_b64 v[0:3], v92 offset0:32 offset1:36
	s_waitcnt lgkmcnt(0)
	v_mfma_f32_16x16x16bf16_1k a[0:3], v[22:23], v[0:1], a[0:3]
	v_mfma_f32_16x16x16bf16_1k a[4:7], v[36:37], v[0:1], a[4:7]
	;; [unrolled: 1-line block ×8, first 2 shown]
	s_andn2_b64 exec, exec, s[18:19]
	s_cbranch_execz .LBB130_77
.LBB130_33:                             ; =>This Inner Loop Header: Depth=1
	v_add_co_u32_e32 v0, vcc, s34, v18
	v_addc_co_u32_e32 v1, vcc, v19, v96, vcc
	global_load_dword v24, v[18:19], off
	global_load_dword v25, v[0:1], off
	v_add_u32_e32 v0, s37, v89
	v_ashrrev_i32_e32 v1, 31, v0
	v_lshlrev_b64 v[0:1], 2, v[0:1]
	v_add_u32_e32 v2, s38, v89
	v_add_co_u32_e32 v0, vcc, s24, v0
	v_ashrrev_i32_e32 v3, 31, v2
	v_addc_co_u32_e32 v1, vcc, v94, v1, vcc
	v_lshlrev_b64 v[2:3], 2, v[2:3]
	v_add_u32_e32 v4, s39, v89
	v_add_co_u32_e32 v2, vcc, s24, v2
	v_ashrrev_i32_e32 v5, 31, v4
	v_addc_co_u32_e32 v3, vcc, v94, v3, vcc
	;; [unrolled: 5-line block ×5, first 2 shown]
	v_lshlrev_b64 v[10:11], 2, v[10:11]
	v_add_co_u32_e32 v10, vcc, s24, v10
	v_addc_co_u32_e32 v11, vcc, v94, v11, vcc
	global_load_dword v26, v[0:1], off
	global_load_dword v27, v[2:3], off
	;; [unrolled: 1-line block ×6, first 2 shown]
	v_add_u32_e32 v20, s43, v89
	v_ashrrev_i32_e32 v21, 31, v20
	v_add_u32_e32 v22, s44, v89
	v_lshlrev_b64 v[20:21], 2, v[20:21]
	v_ashrrev_i32_e32 v23, 31, v22
	v_add_co_u32_e32 v20, vcc, s24, v20
	v_lshlrev_b64 v[22:23], 2, v[22:23]
	v_addc_co_u32_e32 v21, vcc, v94, v21, vcc
	v_add_co_u32_e32 v22, vcc, s24, v22
	v_addc_co_u32_e32 v23, vcc, v94, v23, vcc
	v_add_u32_e32 v32, s50, v89
	v_ashrrev_i32_e32 v33, 31, v32
	v_lshlrev_b64 v[32:33], 2, v[32:33]
	v_add_u32_e32 v34, s51, v89
	v_ashrrev_i32_e32 v35, 31, v34
	v_lshlrev_b64 v[34:35], 2, v[34:35]
	;; [unrolled: 3-line block ×4, first 2 shown]
	v_accvgpr_read_b32 v3, a15
	v_accvgpr_read_b32 v2, a14
	;; [unrolled: 1-line block ×6, first 2 shown]
	s_waitcnt vmcnt(7)
	ds_write_b32 v91, v24 offset:64
	s_waitcnt vmcnt(6)
	ds_write_b32 v91, v25 offset:328
	global_load_dword v20, v[20:21], off
	s_nop 0
	global_load_dword v21, v[22:23], off
	v_add_u32_e32 v22, s45, v89
	v_ashrrev_i32_e32 v23, 31, v22
	v_lshlrev_b64 v[22:23], 2, v[22:23]
	v_add_u32_e32 v24, s46, v89
	v_add_co_u32_e32 v22, vcc, s24, v22
	v_ashrrev_i32_e32 v25, 31, v24
	v_addc_co_u32_e32 v23, vcc, v94, v23, vcc
	v_lshlrev_b64 v[24:25], 2, v[24:25]
	s_waitcnt vmcnt(7)
	ds_write_b32 v91, v26 offset:592
	s_waitcnt vmcnt(6)
	ds_write_b32 v91, v27 offset:856
	;; [unrolled: 2-line block ×6, first 2 shown]
	v_add_u32_e32 v26, s47, v89
	v_add_co_u32_e32 v24, vcc, s24, v24
	v_ashrrev_i32_e32 v27, 31, v26
	v_addc_co_u32_e32 v25, vcc, v94, v25, vcc
	v_lshlrev_b64 v[26:27], 2, v[26:27]
	v_add_u32_e32 v28, s48, v89
	v_add_co_u32_e32 v26, vcc, s24, v26
	v_ashrrev_i32_e32 v29, 31, v28
	v_addc_co_u32_e32 v27, vcc, v94, v27, vcc
	v_lshlrev_b64 v[28:29], 2, v[28:29]
	v_add_u32_e32 v30, s49, v89
	v_add_co_u32_e32 v28, vcc, s24, v28
	v_ashrrev_i32_e32 v31, 31, v30
	v_addc_co_u32_e32 v29, vcc, v94, v29, vcc
	v_lshlrev_b64 v[30:31], 2, v[30:31]
	v_add_co_u32_e32 v30, vcc, s24, v30
	v_addc_co_u32_e32 v31, vcc, v94, v31, vcc
	v_add_co_u32_e32 v32, vcc, s24, v32
	v_addc_co_u32_e32 v33, vcc, v94, v33, vcc
	;; [unrolled: 2-line block ×4, first 2 shown]
	global_load_dword v22, v[22:23], off
	s_nop 0
	global_load_dword v23, v[24:25], off
	s_nop 0
	global_load_dword v24, v[26:27], off
	global_load_dword v25, v[28:29], off
	s_nop 0
	global_load_dword v26, v[30:31], off
	global_load_dword v27, v[32:33], off
	s_nop 0
	global_load_dword v34, v[34:35], off
	s_nop 0
	global_load_dword v35, v[36:37], off
	v_add_u32_e32 v28, s53, v89
	v_ashrrev_i32_e32 v29, 31, v28
	v_lshlrev_b64 v[28:29], 2, v[28:29]
	v_add_u32_e32 v30, s54, v89
	v_add_co_u32_e32 v28, vcc, s24, v28
	v_ashrrev_i32_e32 v31, 31, v30
	v_addc_co_u32_e32 v29, vcc, v94, v29, vcc
	v_lshlrev_b64 v[30:31], 2, v[30:31]
	v_add_u32_e32 v32, s55, v89
	v_add_co_u32_e32 v30, vcc, s24, v30
	v_ashrrev_i32_e32 v33, 31, v32
	v_addc_co_u32_e32 v31, vcc, v94, v31, vcc
	;; [unrolled: 5-line block ×3, first 2 shown]
	v_lshlrev_b64 v[36:37], 2, v[36:37]
	v_add_co_u32_e32 v38, vcc, s24, v36
	v_add_u32_e32 v36, s57, v89
	v_addc_co_u32_e32 v39, vcc, v94, v37, vcc
	v_ashrrev_i32_e32 v37, 31, v36
	v_lshlrev_b64 v[36:37], 2, v[36:37]
	v_add_co_u32_e32 v42, vcc, s24, v36
	v_add_u32_e32 v36, s58, v89
	v_addc_co_u32_e32 v43, vcc, v94, v37, vcc
	v_ashrrev_i32_e32 v37, 31, v36
	;; [unrolled: 5-line block ×4, first 2 shown]
	v_lshlrev_b64 v[36:37], 2, v[36:37]
	v_add_co_u32_e32 v48, vcc, s24, v36
	v_addc_co_u32_e32 v49, vcc, v94, v37, vcc
	global_load_dword v36, v[28:29], off
	global_load_dword v37, v[30:31], off
	;; [unrolled: 1-line block ×4, first 2 shown]
	s_nop 0
	global_load_dword v42, v[42:43], off
	s_nop 0
	global_load_dword v43, v[44:45], off
	;; [unrolled: 2-line block ×3, first 2 shown]
	global_load_dword v45, v[48:49], off
	v_add_u32_e32 v28, s61, v89
	v_ashrrev_i32_e32 v29, 31, v28
	v_lshlrev_b64 v[28:29], 2, v[28:29]
	v_add_u32_e32 v30, s62, v89
	v_add_co_u32_e32 v28, vcc, s24, v28
	v_ashrrev_i32_e32 v31, 31, v30
	v_addc_co_u32_e32 v29, vcc, v94, v29, vcc
	v_lshlrev_b64 v[30:31], 2, v[30:31]
	v_add_u32_e32 v32, s63, v89
	v_add_co_u32_e32 v30, vcc, s24, v30
	v_ashrrev_i32_e32 v33, 31, v32
	v_addc_co_u32_e32 v31, vcc, v94, v31, vcc
	;; [unrolled: 5-line block ×4, first 2 shown]
	v_lshlrev_b64 v[46:47], 2, v[46:47]
	v_add_co_u32_e32 v48, vcc, s24, v46
	v_add_u32_e32 v46, s66, v89
	v_addc_co_u32_e32 v49, vcc, v94, v47, vcc
	v_ashrrev_i32_e32 v47, 31, v46
	v_lshlrev_b64 v[46:47], 2, v[46:47]
	v_add_co_u32_e32 v54, vcc, s24, v46
	v_add_u32_e32 v46, s67, v89
	v_addc_co_u32_e32 v55, vcc, v94, v47, vcc
	v_ashrrev_i32_e32 v47, 31, v46
	v_lshlrev_b64 v[46:47], 2, v[46:47]
	v_add_co_u32_e32 v56, vcc, s24, v46
	v_add_u32_e32 v46, s68, v89
	v_addc_co_u32_e32 v57, vcc, v94, v47, vcc
	v_ashrrev_i32_e32 v47, 31, v46
	v_lshlrev_b64 v[46:47], 2, v[46:47]
	v_add_co_u32_e32 v58, vcc, s24, v46
	v_addc_co_u32_e32 v59, vcc, v94, v47, vcc
	global_load_dword v46, v[28:29], off
	global_load_dword v47, v[30:31], off
	;; [unrolled: 1-line block ×6, first 2 shown]
	s_nop 0
	global_load_dword v48, v[56:57], off
	global_load_dword v49, v[58:59], off
	v_add_u32_e32 v28, s69, v89
	v_ashrrev_i32_e32 v29, 31, v28
	v_lshlrev_b64 v[28:29], 2, v[28:29]
	v_add_u32_e32 v30, s70, v89
	v_add_co_u32_e32 v28, vcc, s24, v28
	v_ashrrev_i32_e32 v31, 31, v30
	v_addc_co_u32_e32 v29, vcc, v94, v29, vcc
	v_lshlrev_b64 v[30:31], 2, v[30:31]
	v_add_u32_e32 v32, s71, v89
	v_add_co_u32_e32 v30, vcc, s24, v30
	v_ashrrev_i32_e32 v33, 31, v32
	v_addc_co_u32_e32 v31, vcc, v94, v31, vcc
	;; [unrolled: 5-line block ×6, first 2 shown]
	v_lshlrev_b64 v[58:59], 2, v[58:59]
	v_add_co_u32_e32 v58, vcc, s24, v58
	v_addc_co_u32_e32 v59, vcc, v94, v59, vcc
	v_add_co_u32_e32 v60, vcc, s24, v60
	v_addc_co_u32_e32 v61, vcc, v94, v61, vcc
	global_load_dword v62, v[28:29], off
	global_load_dword v63, v[30:31], off
	;; [unrolled: 1-line block ×8, first 2 shown]
	v_add_u32_e32 v28, s77, v89
	v_ashrrev_i32_e32 v29, 31, v28
	v_lshlrev_b64 v[28:29], 2, v[28:29]
	v_add_u32_e32 v30, s78, v89
	v_add_co_u32_e32 v28, vcc, s24, v28
	v_ashrrev_i32_e32 v31, 31, v30
	v_addc_co_u32_e32 v29, vcc, v94, v29, vcc
	v_lshlrev_b64 v[30:31], 2, v[30:31]
	v_add_u32_e32 v32, s79, v89
	v_add_co_u32_e32 v30, vcc, s24, v30
	v_ashrrev_i32_e32 v33, 31, v32
	v_addc_co_u32_e32 v31, vcc, v94, v31, vcc
	;; [unrolled: 5-line block ×7, first 2 shown]
	v_lshlrev_b64 v[60:61], 2, v[60:61]
	v_add_co_u32_e32 v60, vcc, s24, v60
	v_addc_co_u32_e32 v61, vcc, v94, v61, vcc
	global_load_dword v70, v[28:29], off
	global_load_dword v71, v[30:31], off
	;; [unrolled: 1-line block ×8, first 2 shown]
	v_add_u32_e32 v28, s84, v89
	v_ashrrev_i32_e32 v29, 31, v28
	v_lshlrev_b64 v[28:29], 2, v[28:29]
	v_add_u32_e32 v30, s85, v89
	v_add_co_u32_e32 v28, vcc, s24, v28
	v_ashrrev_i32_e32 v31, 31, v30
	v_addc_co_u32_e32 v29, vcc, v94, v29, vcc
	v_lshlrev_b64 v[30:31], 2, v[30:31]
	v_add_u32_e32 v32, s86, v89
	v_add_co_u32_e32 v30, vcc, s24, v30
	v_ashrrev_i32_e32 v33, 31, v32
	v_addc_co_u32_e32 v31, vcc, v94, v31, vcc
	;; [unrolled: 5-line block ×7, first 2 shown]
	v_lshlrev_b64 v[60:61], 2, v[60:61]
	v_add_co_u32_e32 v60, vcc, s24, v60
	v_addc_co_u32_e32 v61, vcc, v94, v61, vcc
	global_load_dword v78, v[28:29], off
	global_load_dword v79, v[30:31], off
	;; [unrolled: 1-line block ×8, first 2 shown]
	v_add_u32_e32 v28, s92, v89
	v_ashrrev_i32_e32 v29, 31, v28
	v_lshlrev_b64 v[28:29], 2, v[28:29]
	v_add_u32_e32 v30, s93, v89
	v_add_co_u32_e32 v28, vcc, s24, v28
	v_ashrrev_i32_e32 v31, 31, v30
	v_addc_co_u32_e32 v29, vcc, v94, v29, vcc
	v_lshlrev_b64 v[30:31], 2, v[30:31]
	v_add_u32_e32 v32, s94, v89
	v_add_co_u32_e32 v30, vcc, s24, v30
	v_ashrrev_i32_e32 v33, 31, v32
	v_addc_co_u32_e32 v31, vcc, v94, v31, vcc
	;; [unrolled: 5-line block ×5, first 2 shown]
	v_lshlrev_b64 v[56:57], 2, v[56:57]
	v_add_co_u32_e32 v56, vcc, s24, v56
	v_addc_co_u32_e32 v57, vcc, v94, v57, vcc
	global_load_dword v97, v[28:29], off
	global_load_dword v98, v[30:31], off
	;; [unrolled: 1-line block ×6, first 2 shown]
	s_waitcnt vmcnt(55)
	ds_write_b32 v91, v20 offset:2176
	s_waitcnt vmcnt(54)
	ds_write_b32 v91, v21 offset:2440
	s_waitcnt vmcnt(53)
	ds_write_b32 v91, v22 offset:2704
	s_waitcnt vmcnt(52)
	ds_write_b32 v91, v23 offset:2968
	s_waitcnt vmcnt(51)
	ds_write_b32 v91, v24 offset:3232
	s_waitcnt vmcnt(50)
	ds_write_b32 v91, v25 offset:3496
	s_waitcnt vmcnt(49)
	ds_write_b32 v91, v26 offset:3760
	s_waitcnt vmcnt(48)
	ds_write_b32 v91, v27 offset:4024
	ds_read_b64 v[38:39], v92 offset:64
	ds_read_b64 v[32:33], v92 offset:96
	ds_read_b64 v[30:31], v92 offset:128
	ds_read_b64 v[28:29], v92 offset:160
	ds_read_b64 v[26:27], v92 offset:192
	ds_read_b64 v[24:25], v92 offset:224
	ds_read_b64 v[22:23], v92 offset:256
	ds_read_b64 v[20:21], v92 offset:288
	s_waitcnt vmcnt(47)
	ds_write_b32 v91, v34 offset:64
	s_waitcnt vmcnt(46)
	ds_write_b32 v91, v35 offset:328
	s_waitcnt vmcnt(45)
	ds_write_b32 v91, v36 offset:592
	s_waitcnt vmcnt(44)
	ds_write_b32 v91, v37 offset:856
	s_waitcnt vmcnt(43)
	ds_write_b32 v91, v40 offset:1120
	s_waitcnt vmcnt(42)
	ds_write_b32 v91, v41 offset:1384
	s_waitcnt vmcnt(41)
	ds_write_b32 v91, v42 offset:1648
	s_waitcnt vmcnt(40)
	ds_write_b32 v91, v43 offset:1912
	s_waitcnt vmcnt(39)
	ds_write_b32 v91, v44 offset:2176
	s_waitcnt vmcnt(38)
	ds_write_b32 v91, v45 offset:2440
	s_waitcnt vmcnt(37)
	ds_write_b32 v91, v46 offset:2704
	s_waitcnt vmcnt(36)
	ds_write_b32 v91, v47 offset:2968
	s_waitcnt vmcnt(35)
	ds_write_b32 v91, v50 offset:3232
	s_waitcnt vmcnt(34)
	ds_write_b32 v91, v51 offset:3496
	s_waitcnt vmcnt(33)
	ds_write_b32 v91, v52 offset:3760
	s_waitcnt vmcnt(32)
	ds_write_b32 v91, v53 offset:4024
	ds_read_b64 v[52:53], v92 offset:64
	ds_read_b64 v[50:51], v92 offset:96
	ds_read_b64 v[46:47], v92 offset:128
	ds_read_b64 v[44:45], v92 offset:160
	ds_read_b64 v[42:43], v92 offset:192
	ds_read_b64 v[40:41], v92 offset:224
	ds_read_b64 v[36:37], v92 offset:256
	ds_read_b64 v[34:35], v92 offset:288
	s_waitcnt vmcnt(31)
	ds_write_b32 v91, v48 offset:64
	s_waitcnt vmcnt(30)
	ds_write_b32 v91, v49 offset:328
	s_waitcnt vmcnt(29)
	ds_write_b32 v91, v62 offset:592
	s_waitcnt vmcnt(28)
	ds_write_b32 v91, v63 offset:856
	s_waitcnt vmcnt(27)
	ds_write_b32 v91, v64 offset:1120
	s_waitcnt vmcnt(26)
	ds_write_b32 v91, v65 offset:1384
	s_waitcnt vmcnt(25)
	ds_write_b32 v91, v66 offset:1648
	s_waitcnt vmcnt(24)
	ds_write_b32 v91, v67 offset:1912
	;; [unrolled: 40-line block ×3, first 2 shown]
	s_waitcnt vmcnt(7)
	ds_write_b32 v91, v84 offset:2176
	s_waitcnt vmcnt(6)
	ds_write_b32 v91, v85 offset:2440
	;; [unrolled: 2-line block ×8, first 2 shown]
	ds_read_b64 v[82:83], v92 offset:64
	ds_read_b64 v[80:81], v92 offset:96
	ds_read_b64 v[78:79], v92 offset:128
	ds_read_b64 v[76:77], v92 offset:160
	ds_read_b64 v[74:75], v92 offset:192
	ds_read_b64 v[72:73], v92 offset:224
	ds_read_b64 v[70:71], v92 offset:256
	ds_read_b64 v[68:69], v92 offset:288
	v_accvgpr_read_b32 v5, a5
	v_accvgpr_read_b32 v4, a4
	;; [unrolled: 1-line block ×10, first 2 shown]
	s_andn2_b64 vcc, exec, s[6:7]
	v_mov_b32_e32 v84, 0
	v_mov_b32_e32 v85, 0
	s_cbranch_vccnz .LBB130_36
; %bb.34:                               ;   in Loop: Header=BB130_33 Depth=1
	ds_read_b32 v97, v90
	v_mov_b32_e32 v85, 0
	v_mov_b32_e32 v84, 0
	s_waitcnt lgkmcnt(0)
	v_cmp_gt_i32_e32 vcc, 0, v97
	s_cbranch_vccnz .LBB130_36
; %bb.35:                               ;   in Loop: Header=BB130_33 Depth=1
	v_mul_lo_u32 v84, v97, s25
	v_add_u32_e32 v84, v93, v84
	v_ashrrev_i32_e32 v85, 31, v84
	v_lshlrev_b64 v[84:85], 2, v[84:85]
	v_mov_b32_e32 v97, s33
	v_add_co_u32_e32 v84, vcc, s27, v84
	v_addc_co_u32_e32 v85, vcc, v97, v85, vcc
	global_load_dwordx2 v[84:85], v[84:85], off
.LBB130_36:                             ;   in Loop: Header=BB130_33 Depth=1
	s_waitcnt vmcnt(0)
	v_and_b32_e32 v97, 0x7f800000, v84
	v_cmp_ne_u32_e32 vcc, s15, v97
                                        ; implicit-def: $vgpr97
	s_and_saveexec_b64 s[28:29], vcc
	s_xor_b64 s[28:29], exec, s[28:29]
; %bb.37:                               ;   in Loop: Header=BB130_33 Depth=1
	v_bfe_u32 v97, v84, 16, 1
	v_add3_u32 v97, v84, v97, s14
; %bb.38:                               ;   in Loop: Header=BB130_33 Depth=1
	s_andn2_saveexec_b64 s[28:29], s[28:29]
; %bb.39:                               ;   in Loop: Header=BB130_33 Depth=1
	v_or_b32_e32 v97, 0x10000, v84
	v_cmp_eq_u32_sdwa vcc, v84, v95 src0_sel:WORD_0 src1_sel:DWORD
	v_cndmask_b32_e32 v97, v97, v84, vcc
; %bb.40:                               ;   in Loop: Header=BB130_33 Depth=1
	s_or_b64 exec, exec, s[28:29]
	v_and_b32_e32 v84, 0x7f800000, v85
	v_cmp_ne_u32_e32 vcc, s15, v84
                                        ; implicit-def: $vgpr84
	s_and_saveexec_b64 s[28:29], vcc
	s_xor_b64 s[28:29], exec, s[28:29]
; %bb.41:                               ;   in Loop: Header=BB130_33 Depth=1
	v_bfe_u32 v84, v85, 16, 1
	v_add3_u32 v84, v85, v84, s14
                                        ; implicit-def: $vgpr85
; %bb.42:                               ;   in Loop: Header=BB130_33 Depth=1
	s_andn2_saveexec_b64 s[28:29], s[28:29]
; %bb.43:                               ;   in Loop: Header=BB130_33 Depth=1
	v_or_b32_e32 v84, 0x10000, v85
	v_cmp_eq_u32_sdwa vcc, v85, v95 src0_sel:WORD_0 src1_sel:DWORD
	v_cndmask_b32_e32 v84, v84, v85, vcc
; %bb.44:                               ;   in Loop: Header=BB130_33 Depth=1
	s_or_b64 exec, exec, s[28:29]
	v_perm_b32 v84, v84, v97, s17
	ds_write_b32 v91, v84 offset:64
	s_andn2_b64 vcc, exec, s[12:13]
	v_mov_b32_e32 v84, 0
	v_mov_b32_e32 v85, 0
	s_cbranch_vccnz .LBB130_47
; %bb.45:                               ;   in Loop: Header=BB130_33 Depth=1
	ds_read_b32 v97, v90 offset:4
	v_mov_b32_e32 v85, 0
	v_mov_b32_e32 v84, 0
	s_waitcnt lgkmcnt(0)
	v_cmp_gt_i32_e32 vcc, 0, v97
	s_cbranch_vccnz .LBB130_47
; %bb.46:                               ;   in Loop: Header=BB130_33 Depth=1
	v_mul_lo_u32 v84, v97, s25
	v_add_u32_e32 v84, s20, v84
	v_add_u32_e32 v84, v84, v93
	v_ashrrev_i32_e32 v85, 31, v84
	v_lshlrev_b64 v[84:85], 2, v[84:85]
	v_mov_b32_e32 v97, s33
	v_add_co_u32_e32 v84, vcc, s27, v84
	v_addc_co_u32_e32 v85, vcc, v97, v85, vcc
	global_load_dwordx2 v[84:85], v[84:85], off
.LBB130_47:                             ;   in Loop: Header=BB130_33 Depth=1
	s_waitcnt vmcnt(0)
	v_and_b32_e32 v97, 0x7f800000, v84
	v_cmp_ne_u32_e32 vcc, s15, v97
                                        ; implicit-def: $vgpr97
	s_and_saveexec_b64 s[28:29], vcc
	s_xor_b64 s[28:29], exec, s[28:29]
; %bb.48:                               ;   in Loop: Header=BB130_33 Depth=1
	v_bfe_u32 v97, v84, 16, 1
	v_add3_u32 v97, v84, v97, s14
; %bb.49:                               ;   in Loop: Header=BB130_33 Depth=1
	s_andn2_saveexec_b64 s[28:29], s[28:29]
; %bb.50:                               ;   in Loop: Header=BB130_33 Depth=1
	v_or_b32_e32 v97, 0x10000, v84
	v_cmp_eq_u32_sdwa vcc, v84, v95 src0_sel:WORD_0 src1_sel:DWORD
	v_cndmask_b32_e32 v97, v97, v84, vcc
; %bb.51:                               ;   in Loop: Header=BB130_33 Depth=1
	s_or_b64 exec, exec, s[28:29]
	v_and_b32_e32 v84, 0x7f800000, v85
	v_cmp_ne_u32_e32 vcc, s15, v84
                                        ; implicit-def: $vgpr84
	s_and_saveexec_b64 s[28:29], vcc
	s_xor_b64 s[28:29], exec, s[28:29]
; %bb.52:                               ;   in Loop: Header=BB130_33 Depth=1
	v_bfe_u32 v84, v85, 16, 1
	v_add3_u32 v84, v85, v84, s14
                                        ; implicit-def: $vgpr85
; %bb.53:                               ;   in Loop: Header=BB130_33 Depth=1
	s_andn2_saveexec_b64 s[28:29], s[28:29]
; %bb.54:                               ;   in Loop: Header=BB130_33 Depth=1
	v_or_b32_e32 v84, 0x10000, v85
	v_cmp_eq_u32_sdwa vcc, v85, v95 src0_sel:WORD_0 src1_sel:DWORD
	v_cndmask_b32_e32 v84, v84, v85, vcc
; %bb.55:                               ;   in Loop: Header=BB130_33 Depth=1
	s_or_b64 exec, exec, s[28:29]
	v_perm_b32 v84, v84, v97, s17
	ds_write_b32 v91, v84 offset:328
	s_andn2_b64 vcc, exec, s[22:23]
	v_mov_b32_e32 v84, 0
	v_mov_b32_e32 v85, 0
	s_cbranch_vccnz .LBB130_58
; %bb.56:                               ;   in Loop: Header=BB130_33 Depth=1
	ds_read_b32 v97, v90 offset:8
	v_mov_b32_e32 v85, 0
	v_mov_b32_e32 v84, 0
	s_waitcnt lgkmcnt(0)
	v_cmp_gt_i32_e32 vcc, 0, v97
	s_cbranch_vccnz .LBB130_58
; %bb.57:                               ;   in Loop: Header=BB130_33 Depth=1
	v_mul_lo_u32 v84, v97, s25
	v_add_u32_e32 v84, s36, v84
	v_add_u32_e32 v84, v84, v93
	v_ashrrev_i32_e32 v85, 31, v84
	v_lshlrev_b64 v[84:85], 2, v[84:85]
	v_mov_b32_e32 v97, s33
	v_add_co_u32_e32 v84, vcc, s27, v84
	v_addc_co_u32_e32 v85, vcc, v97, v85, vcc
	global_load_dwordx2 v[84:85], v[84:85], off
.LBB130_58:                             ;   in Loop: Header=BB130_33 Depth=1
	s_waitcnt vmcnt(0)
	v_and_b32_e32 v97, 0x7f800000, v84
	v_cmp_ne_u32_e32 vcc, s15, v97
                                        ; implicit-def: $vgpr97
	s_and_saveexec_b64 s[28:29], vcc
	s_xor_b64 s[28:29], exec, s[28:29]
; %bb.59:                               ;   in Loop: Header=BB130_33 Depth=1
	v_bfe_u32 v97, v84, 16, 1
	v_add3_u32 v97, v84, v97, s14
; %bb.60:                               ;   in Loop: Header=BB130_33 Depth=1
	s_andn2_saveexec_b64 s[28:29], s[28:29]
; %bb.61:                               ;   in Loop: Header=BB130_33 Depth=1
	v_or_b32_e32 v97, 0x10000, v84
	v_cmp_eq_u32_sdwa vcc, v84, v95 src0_sel:WORD_0 src1_sel:DWORD
	v_cndmask_b32_e32 v97, v97, v84, vcc
; %bb.62:                               ;   in Loop: Header=BB130_33 Depth=1
	s_or_b64 exec, exec, s[28:29]
	v_and_b32_e32 v84, 0x7f800000, v85
	v_cmp_ne_u32_e32 vcc, s15, v84
                                        ; implicit-def: $vgpr84
	s_and_saveexec_b64 s[28:29], vcc
	s_xor_b64 s[28:29], exec, s[28:29]
; %bb.63:                               ;   in Loop: Header=BB130_33 Depth=1
	v_bfe_u32 v84, v85, 16, 1
	v_add3_u32 v84, v85, v84, s14
                                        ; implicit-def: $vgpr85
; %bb.64:                               ;   in Loop: Header=BB130_33 Depth=1
	s_andn2_saveexec_b64 s[28:29], s[28:29]
; %bb.65:                               ;   in Loop: Header=BB130_33 Depth=1
	v_or_b32_e32 v84, 0x10000, v85
	v_cmp_eq_u32_sdwa vcc, v85, v95 src0_sel:WORD_0 src1_sel:DWORD
	v_cndmask_b32_e32 v84, v84, v85, vcc
; %bb.66:                               ;   in Loop: Header=BB130_33 Depth=1
	s_or_b64 exec, exec, s[28:29]
	v_perm_b32 v84, v84, v97, s17
	ds_write_b32 v91, v84 offset:592
	s_andn2_b64 vcc, exec, s[30:31]
	v_mov_b32_e32 v84, 0
	v_mov_b32_e32 v85, 0
	s_cbranch_vccnz .LBB130_69
; %bb.67:                               ;   in Loop: Header=BB130_33 Depth=1
	ds_read_b32 v97, v90 offset:12
	v_mov_b32_e32 v85, 0
	v_mov_b32_e32 v84, 0
	s_waitcnt lgkmcnt(0)
	v_cmp_gt_i32_e32 vcc, 0, v97
	s_cbranch_vccnz .LBB130_69
; %bb.68:                               ;   in Loop: Header=BB130_33 Depth=1
	v_mul_lo_u32 v84, v97, s25
	v_readlane_b32 s28, v103, 7
	v_add_u32_e32 v84, s28, v84
	v_add_u32_e32 v84, v84, v93
	v_ashrrev_i32_e32 v85, 31, v84
	v_lshlrev_b64 v[84:85], 2, v[84:85]
	v_mov_b32_e32 v97, s33
	v_add_co_u32_e32 v84, vcc, s27, v84
	v_addc_co_u32_e32 v85, vcc, v97, v85, vcc
	global_load_dwordx2 v[84:85], v[84:85], off
.LBB130_69:                             ;   in Loop: Header=BB130_33 Depth=1
	s_waitcnt vmcnt(0)
	v_and_b32_e32 v97, 0x7f800000, v84
	v_cmp_ne_u32_e32 vcc, s15, v97
                                        ; implicit-def: $vgpr97
	s_and_saveexec_b64 s[28:29], vcc
	s_xor_b64 s[28:29], exec, s[28:29]
; %bb.70:                               ;   in Loop: Header=BB130_33 Depth=1
	v_bfe_u32 v97, v84, 16, 1
	v_add3_u32 v97, v84, v97, s14
; %bb.71:                               ;   in Loop: Header=BB130_33 Depth=1
	s_andn2_saveexec_b64 s[28:29], s[28:29]
; %bb.72:                               ;   in Loop: Header=BB130_33 Depth=1
	v_or_b32_e32 v97, 0x10000, v84
	v_cmp_eq_u32_sdwa vcc, v84, v95 src0_sel:WORD_0 src1_sel:DWORD
	v_cndmask_b32_e32 v97, v97, v84, vcc
; %bb.73:                               ;   in Loop: Header=BB130_33 Depth=1
	s_or_b64 exec, exec, s[28:29]
	v_and_b32_e32 v84, 0x7f800000, v85
	v_cmp_ne_u32_e32 vcc, s15, v84
                                        ; implicit-def: $vgpr84
	s_and_saveexec_b64 s[28:29], vcc
	s_xor_b64 s[28:29], exec, s[28:29]
; %bb.74:                               ;   in Loop: Header=BB130_33 Depth=1
	v_bfe_u32 v84, v85, 16, 1
	v_add3_u32 v84, v85, v84, s14
                                        ; implicit-def: $vgpr85
; %bb.75:                               ;   in Loop: Header=BB130_33 Depth=1
	s_andn2_saveexec_b64 s[28:29], s[28:29]
	s_cbranch_execz .LBB130_32
; %bb.76:                               ;   in Loop: Header=BB130_33 Depth=1
	v_or_b32_e32 v84, 0x10000, v85
	v_cmp_eq_u32_sdwa vcc, v85, v95 src0_sel:WORD_0 src1_sel:DWORD
	v_cndmask_b32_e32 v84, v84, v85, vcc
	s_branch .LBB130_32
.LBB130_77:
	s_or_b64 exec, exec, s[18:19]
	v_readlane_b32 s44, v103, 3
	v_readlane_b32 s36, v103, 0
	;; [unrolled: 1-line block ×7, first 2 shown]
.LBB130_78:
	s_or_b64 exec, exec, s[4:5]
	v_mul_u32_u24_e32 v0, 0x308, v88
	s_movk_i32 s5, 0x100
	v_lshlrev_b32_e32 v1, 2, v87
	v_add3_u32 v0, s5, v0, v1
	v_and_b32_e32 v2, 0x3f0, v16
	v_add_u32_e32 v3, v0, v2
	s_barrier
	ds_write2_b32 v3, a12, a13 offset0:16 offset1:17
	v_or_b32_e32 v3, 12, v16
	v_add_u32_e32 v1, 64, v0
	v_and_b32_e32 v3, 0x3fc, v3
	v_add_u32_e32 v2, v1, v2
	v_add_u32_e32 v0, v0, v3
	ds_write_b32 v2, a14 offset:8
	ds_write_b32 v0, a15 offset:64
	ds_write2_b32 v2, a4, a5 offset0:16 offset1:17
	ds_write_b32 v2, a6 offset:72
	v_add_u32_e32 v0, v1, v3
	v_mov_b32_e32 v3, 0x100
	s_movk_i32 s4, 0x308
	ds_write_b32 v0, a7 offset:64
	ds_write2_b32 v2, a0, a1 offset0:32 offset1:33
	ds_write_b32 v2, a2 offset:136
	ds_write_b32 v0, a3 offset:128
	ds_write2_b32 v2, a8, a9 offset0:48 offset1:49
	ds_write_b32 v2, a10 offset:200
	ds_write_b32 v0, a11 offset:192
	v_lshl_add_u32 v2, v16, 2, v3
	v_mad_u32_u24 v4, v17, s4, v2
	s_waitcnt lgkmcnt(0)
	s_barrier
	ds_read2_b32 v[0:1], v4 offset0:16 offset1:80
	ds_read_b32 v4, v4 offset:576
	v_cmp_gt_u32_e32 vcc, 4, v17
	v_mov_b32_e32 v5, -1
	s_and_saveexec_b64 s[4:5], vcc
	s_cbranch_execz .LBB130_80
; %bb.79:
	v_lshl_add_u32 v3, v17, 2, v3
	ds_read_b32 v5, v3
.LBB130_80:
	s_or_b64 exec, exec, s[4:5]
	s_mul_hi_i32 s5, s46, s8
	s_mul_i32 s4, s46, s8
	s_lshl_b64 s[4:5], s[4:5], 2
	s_mul_hi_i32 s7, s9, s21
	s_mul_i32 s6, s9, s21
	s_add_u32 s8, s36, s4
	s_addc_u32 s9, s37, s5
	s_lshl_b64 s[4:5], s[6:7], 2
	s_add_u32 s4, s8, s4
	s_waitcnt lgkmcnt(0)
	v_cmp_lt_i32_e32 vcc, -1, v5
	v_add_u32_e32 v3, s15, v16
	s_addc_u32 s5, s9, s5
	s_and_b64 s[6:7], vcc, s[0:1]
	s_and_saveexec_b64 s[0:1], s[6:7]
	s_cbranch_execz .LBB130_82
; %bb.81:
	v_add_f32_e32 v0, 0, v0
	v_add_f32_e32 v0, v0, v1
	;; [unrolled: 1-line block ×3, first 2 shown]
	v_mul_lo_u32 v0, v5, s26
	v_mul_lo_u32 v1, v17, s21
	v_add3_u32 v0, v3, v1, v0
	v_mov_b32_e32 v1, 0
	v_lshlrev_b64 v[0:1], 2, v[0:1]
	v_mov_b32_e32 v5, s5
	v_add_co_u32_e32 v0, vcc, s4, v0
	v_addc_co_u32_e32 v1, vcc, v5, v1, vcc
	global_store_dword v[0:1], v4, off
.LBB130_82:
	s_or_b64 exec, exec, s[0:1]
	v_cmp_eq_u32_e32 vcc, 0, v17
	s_and_saveexec_b64 s[0:1], vcc
	s_cbranch_execz .LBB130_85
; %bb.83:
	v_mov_b32_e32 v0, 0x100
	ds_read_b32 v0, v0 offset:12
	s_waitcnt lgkmcnt(0)
	v_readfirstlane_b32 s0, v0
	s_cmp_gt_i32 s0, -1
	s_cselect_b64 s[0:1], -1, 0
	s_and_b64 s[0:1], s[0:1], s[2:3]
	s_and_b64 exec, exec, s[0:1]
	s_cbranch_execz .LBB130_85
; %bb.84:
	v_mul_u32_u24_e32 v1, 0x308, v17
	v_add_u32_e32 v1, v1, v2
	v_add_u32_e32 v2, 0x58, v1
	ds_read2st64_b32 v[4:5], v2 offset0:9 offset1:10
	ds_read_b32 v1, v1 offset:2904
	v_mul_lo_u32 v0, v0, s26
	v_mul_lo_u32 v2, v86, s21
	v_add3_u32 v0, v3, v2, v0
	s_waitcnt lgkmcnt(1)
	v_add_f32_e32 v2, 0, v4
	v_add_f32_e32 v2, v2, v5
	s_waitcnt lgkmcnt(0)
	v_add_f32_e32 v2, v2, v1
	v_mov_b32_e32 v1, 0
	v_lshlrev_b64 v[0:1], 2, v[0:1]
	v_mov_b32_e32 v3, s5
	v_add_co_u32_e32 v0, vcc, s4, v0
	v_addc_co_u32_e32 v1, vcc, v3, v1, vcc
	global_store_dword v[0:1], v2, off
.LBB130_85:
	s_endpgm
	.section	.rodata,"a",@progbits
	.p2align	6, 0x0
	.amdhsa_kernel _ZL9mul_mat_fI15__hip_bfloat162Li64ELi4ELi3ELb1EEvPKT_PKfPKiPfiiiiiiiiiiiiiiii
		.amdhsa_group_segment_fixed_size 256
		.amdhsa_private_segment_fixed_size 0
		.amdhsa_kernarg_size 352
		.amdhsa_user_sgpr_count 6
		.amdhsa_user_sgpr_private_segment_buffer 1
		.amdhsa_user_sgpr_dispatch_ptr 0
		.amdhsa_user_sgpr_queue_ptr 0
		.amdhsa_user_sgpr_kernarg_segment_ptr 1
		.amdhsa_user_sgpr_dispatch_id 0
		.amdhsa_user_sgpr_flat_scratch_init 0
		.amdhsa_user_sgpr_kernarg_preload_length 0
		.amdhsa_user_sgpr_kernarg_preload_offset 0
		.amdhsa_user_sgpr_private_segment_size 0
		.amdhsa_uses_dynamic_stack 0
		.amdhsa_system_sgpr_private_segment_wavefront_offset 0
		.amdhsa_system_sgpr_workgroup_id_x 1
		.amdhsa_system_sgpr_workgroup_id_y 1
		.amdhsa_system_sgpr_workgroup_id_z 1
		.amdhsa_system_sgpr_workgroup_info 0
		.amdhsa_system_vgpr_workitem_id 2
		.amdhsa_next_free_vgpr 124
		.amdhsa_next_free_sgpr 96
		.amdhsa_accum_offset 104
		.amdhsa_reserve_vcc 1
		.amdhsa_reserve_flat_scratch 0
		.amdhsa_float_round_mode_32 0
		.amdhsa_float_round_mode_16_64 0
		.amdhsa_float_denorm_mode_32 3
		.amdhsa_float_denorm_mode_16_64 3
		.amdhsa_dx10_clamp 1
		.amdhsa_ieee_mode 1
		.amdhsa_fp16_overflow 0
		.amdhsa_tg_split 0
		.amdhsa_exception_fp_ieee_invalid_op 0
		.amdhsa_exception_fp_denorm_src 0
		.amdhsa_exception_fp_ieee_div_zero 0
		.amdhsa_exception_fp_ieee_overflow 0
		.amdhsa_exception_fp_ieee_underflow 0
		.amdhsa_exception_fp_ieee_inexact 0
		.amdhsa_exception_int_div_zero 0
	.end_amdhsa_kernel
	.section	.text._ZL9mul_mat_fI15__hip_bfloat162Li64ELi4ELi3ELb1EEvPKT_PKfPKiPfiiiiiiiiiiiiiiii,"axG",@progbits,_ZL9mul_mat_fI15__hip_bfloat162Li64ELi4ELi3ELb1EEvPKT_PKfPKiPfiiiiiiiiiiiiiiii,comdat
.Lfunc_end130:
	.size	_ZL9mul_mat_fI15__hip_bfloat162Li64ELi4ELi3ELb1EEvPKT_PKfPKiPfiiiiiiiiiiiiiiii, .Lfunc_end130-_ZL9mul_mat_fI15__hip_bfloat162Li64ELi4ELi3ELb1EEvPKT_PKfPKiPfiiiiiiiiiiiiiiii
                                        ; -- End function
	.section	.AMDGPU.csdata,"",@progbits
; Kernel info:
; codeLenInByte = 7664
; NumSgprs: 100
; NumVgprs: 104
; NumAgprs: 20
; TotalNumVgprs: 124
; ScratchSize: 0
; MemoryBound: 0
; FloatMode: 240
; IeeeMode: 1
; LDSByteSize: 256 bytes/workgroup (compile time only)
; SGPRBlocks: 12
; VGPRBlocks: 15
; NumSGPRsForWavesPerEU: 100
; NumVGPRsForWavesPerEU: 124
; AccumOffset: 104
; Occupancy: 4
; WaveLimiterHint : 0
; COMPUTE_PGM_RSRC2:SCRATCH_EN: 0
; COMPUTE_PGM_RSRC2:USER_SGPR: 6
; COMPUTE_PGM_RSRC2:TRAP_HANDLER: 0
; COMPUTE_PGM_RSRC2:TGID_X_EN: 1
; COMPUTE_PGM_RSRC2:TGID_Y_EN: 1
; COMPUTE_PGM_RSRC2:TGID_Z_EN: 1
; COMPUTE_PGM_RSRC2:TIDIG_COMP_CNT: 2
; COMPUTE_PGM_RSRC3_GFX90A:ACCUM_OFFSET: 25
; COMPUTE_PGM_RSRC3_GFX90A:TG_SPLIT: 0
	.section	.text._ZL9mul_mat_fI15__hip_bfloat162Li64ELi4ELi3ELb0EEvPKT_PKfPKiPfiiiiiiiiiiiiiiii,"axG",@progbits,_ZL9mul_mat_fI15__hip_bfloat162Li64ELi4ELi3ELb0EEvPKT_PKfPKiPfiiiiiiiiiiiiiiii,comdat
	.globl	_ZL9mul_mat_fI15__hip_bfloat162Li64ELi4ELi3ELb0EEvPKT_PKfPKiPfiiiiiiiiiiiiiiii ; -- Begin function _ZL9mul_mat_fI15__hip_bfloat162Li64ELi4ELi3ELb0EEvPKT_PKfPKiPfiiiiiiiiiiiiiiii
	.p2align	8
	.type	_ZL9mul_mat_fI15__hip_bfloat162Li64ELi4ELi3ELb0EEvPKT_PKfPKiPfiiiiiiiiiiiiiiii,@function
_ZL9mul_mat_fI15__hip_bfloat162Li64ELi4ELi3ELb0EEvPKT_PKfPKiPfiiiiiiiiiiiiiiii: ; @_ZL9mul_mat_fI15__hip_bfloat162Li64ELi4ELi3ELb0EEvPKT_PKfPKiPfiiiiiiiiiiiiiiii
; %bb.0:
	s_load_dwordx8 s[12:19], s[4:5], 0x40
	s_load_dword s9, s[4:5], 0x20
	s_load_dwordx4 s[0:3], s[4:5], 0x2c
	v_bfe_u32 v86, v0, 10, 10
	v_lshlrev_b32_e32 v88, 6, v86
	v_and_b32_e32 v87, 0x3ff, v0
	s_waitcnt lgkmcnt(0)
	s_abs_i32 s27, s12
	s_abs_i32 s26, s16
	v_cvt_f32_u32_e32 v1, s27
	v_cvt_f32_u32_e32 v2, s26
	v_add_u32_e32 v90, v88, v87
	s_mov_b32 s22, 0
	v_rcp_iflag_f32_e32 v1, v1
	v_rcp_iflag_f32_e32 v2, v2
	s_ashr_i32 s28, s8, 31
	v_cmp_le_i32_e32 vcc, s9, v90
	v_mul_f32_e32 v1, 0x4f7ffffe, v1
	v_mul_f32_e32 v2, 0x4f7ffffe, v2
	v_cvt_u32_f32_e32 v1, v1
	v_cvt_u32_f32_e32 v2, v2
	v_and_b32_e32 v89, 15, v87
	v_readfirstlane_b32 s21, v1
	v_readfirstlane_b32 s20, v2
	s_and_saveexec_b64 s[10:11], vcc
	s_xor_b64 s[10:11], exec, s[10:11]
; %bb.1:
	v_and_b32_e32 v89, 15, v87
                                        ; implicit-def: $vgpr90
; %bb.2:
	s_or_saveexec_b64 s[24:25], s[10:11]
	s_load_dwordx2 s[10:11], s[4:5], 0x18
	s_lshl_b32 s3, s6, 6
	v_accvgpr_write_b32 a0, s22
	v_accvgpr_write_b32 a1, s22
	;; [unrolled: 1-line block ×16, first 2 shown]
	s_xor_b64 exec, exec, s[24:25]
	s_cbranch_execz .LBB131_38
; %bb.3:
	s_sub_i32 s6, 0, s27
	s_sub_i32 s22, 0, s26
	s_mul_i32 s6, s6, s21
	s_mul_i32 s22, s22, s20
	s_mul_hi_u32 s6, s21, s6
	s_mul_hi_u32 s22, s20, s22
	s_abs_i32 s29, s7
	s_add_i32 s6, s21, s6
	s_add_i32 s31, s20, s22
	s_load_dwordx4 s[20:23], s[4:5], 0x0
	s_mul_hi_u32 s4, s29, s6
	s_ashr_i32 s6, s7, 31
	s_ashr_i32 s12, s12, 31
	s_xor_b32 s6, s6, s12
	s_mul_i32 s12, s4, s27
	s_abs_i32 s30, s8
	s_sub_i32 s12, s29, s12
	s_mul_hi_u32 s5, s30, s31
	s_ashr_i32 s16, s16, 31
	s_add_i32 s29, s4, 1
	s_sub_i32 s31, s12, s27
	s_cmp_ge_u32 s12, s27
	s_cselect_b32 s4, s29, s4
	s_cselect_b32 s12, s31, s12
	s_add_i32 s29, s4, 1
	s_cmp_ge_u32 s12, s27
	s_cselect_b32 s4, s29, s4
	s_mul_i32 s12, s5, s26
	s_xor_b32 s4, s4, s6
	s_sub_i32 s12, s30, s12
	s_sub_i32 s6, s4, s6
	s_xor_b32 s4, s28, s16
	s_add_i32 s16, s5, 1
	s_sub_i32 s27, s12, s26
	s_cmp_ge_u32 s12, s26
	s_cselect_b32 s5, s16, s5
	s_cselect_b32 s12, s27, s12
	s_add_i32 s16, s5, 1
	s_cmp_ge_u32 s12, s26
	s_cselect_b32 s5, s16, s5
	s_xor_b32 s5, s5, s4
	s_sub_i32 s4, s5, s4
	s_mul_hi_i32 s5, s4, s17
	s_mul_i32 s4, s4, s17
	s_mul_i32 s12, s6, s13
	s_ashr_i32 s13, s12, 31
	s_lshl_b64 s[26:27], s[4:5], 2
	s_mul_i32 s16, s3, s0
	s_waitcnt lgkmcnt(0)
	s_add_u32 s6, s20, s26
	s_addc_u32 s29, s21, s27
	s_ashr_i32 s17, s16, 31
	s_lshl_b64 s[16:17], s[16:17], 2
	s_lshl_b64 s[12:13], s[12:13], 2
	s_add_u32 s30, s12, s16
	s_addc_u32 s31, s13, s17
	s_mul_i32 s28, s7, s14
	s_add_u32 s6, s30, s6
	s_mul_hi_i32 s5, s18, s8
	s_mul_i32 s4, s18, s8
	s_addc_u32 s76, s31, s29
	s_ashr_i32 s29, s28, 31
	s_lshl_b64 s[16:17], s[4:5], 2
	s_lshl_b64 s[4:5], s[28:29], 2
	s_add_u32 s22, s22, s4
	s_addc_u32 s23, s23, s5
	s_add_u32 s14, s22, s16
	s_movk_i32 s4, 0x1080
	s_addc_u32 s18, s23, s17
	v_mad_u32_u24 v0, v86, s4, 0
	s_ashr_i32 s5, s0, 31
	s_mov_b32 s4, s0
	v_lshrrev_b32_e32 v3, 1, v87
	s_ashr_i32 s13, s1, 31
	s_lshl_b64 s[4:5], s[4:5], 2
	v_lshlrev_b32_e32 v1, 2, v87
	v_mul_u32_u24_e32 v2, 0x108, v89
	v_and_b32_e32 v3, 0x1f8, v3
	s_add_u32 s26, s30, s26
	v_add_u32_e32 v91, v0, v1
	v_add3_u32 v92, v0, v2, v3
	v_lshlrev_b32_e32 v0, 8, v86
	s_addc_u32 s27, s31, s27
	v_mov_b32_e32 v2, s27
	v_add_co_u32_e32 v0, vcc, s26, v0
	v_addc_co_u32_e32 v2, vcc, 0, v2, vcc
	v_add_co_u32_e32 v0, vcc, v0, v1
	v_addc_co_u32_e32 v1, vcc, 0, v2, vcc
	v_mov_b32_e32 v2, s21
	v_add_co_u32_e32 v16, vcc, s20, v0
	v_addc_co_u32_e32 v17, vcc, v2, v1, vcc
	v_lshlrev_b32_e32 v0, 9, v86
	v_mov_b32_e32 v1, s17
	v_add_co_u32_e32 v0, vcc, s16, v0
	v_addc_co_u32_e32 v1, vcc, 0, v1, vcc
	v_lshlrev_b32_e32 v2, 3, v87
	v_add_co_u32_e32 v0, vcc, v0, v2
	v_addc_co_u32_e32 v1, vcc, 0, v1, vcc
	s_mov_b32 s12, s1
	v_mov_b32_e32 v2, s23
	v_add_co_u32_e32 v18, vcc, s22, v0
	s_lshl_b64 s[12:13], s[12:13], 3
	v_addc_co_u32_e32 v19, vcc, v2, v1, vcc
	s_mul_i32 s20, s0, 63
	s_lshl_b32 s21, s1, 1
	s_mul_i32 s22, s1, 3
	s_lshl_b32 s23, s0, 1
	;; [unrolled: 2-line block ×3, first 2 shown]
	s_mul_i32 s28, s0, 5
	s_mul_i32 s29, s0, 6
	;; [unrolled: 1-line block ×3, first 2 shown]
	s_lshl_b32 s31, s0, 3
	s_mul_i32 s33, s0, 9
	s_mul_i32 s34, s0, 10
	;; [unrolled: 1-line block ×7, first 2 shown]
	s_lshl_b32 s40, s0, 4
	s_mul_i32 s41, s0, 17
	s_mul_i32 s42, s0, 18
	s_mul_i32 s43, s0, 19
	s_mul_i32 s44, s0, 20
	s_mul_i32 s45, s0, 21
	s_mul_i32 s46, s0, 22
	s_mul_i32 s47, s0, 23
	s_mul_i32 s48, s0, 24
	s_mul_i32 s49, s0, 25
	s_mul_i32 s50, s0, 26
	s_mul_i32 s51, s0, 27
	s_mul_i32 s52, s0, 28
	s_mul_i32 s53, s0, 29
	s_mul_i32 s54, s0, 30
	s_mul_i32 s55, s0, 31
	s_lshl_b32 s56, s0, 5
	s_mul_i32 s57, s0, 33
	s_mul_i32 s58, s0, 34
	;; [unrolled: 1-line block ×19, first 2 shown]
	v_mov_b32_e32 v93, s76
	s_mul_i32 s76, s0, 52
	v_mov_b32_e32 v94, 0
	v_accvgpr_write_b32 a15, 0
	v_accvgpr_write_b32 a14, 0
	;; [unrolled: 1-line block ×16, first 2 shown]
	v_mov_b32_e32 v95, s5
	s_mul_i32 s5, s0, 53
	s_mul_i32 s77, s0, 54
	;; [unrolled: 1-line block ×10, first 2 shown]
	s_mov_b32 s86, 0x7f800000
	s_movk_i32 s87, 0x7fff
	s_mov_b32 s88, 0x7060302
	s_mov_b64 s[0:1], 0
	s_branch .LBB131_5
.LBB131_4:                              ;   in Loop: Header=BB131_5 Depth=1
	s_or_b64 exec, exec, s[16:17]
	v_perm_b32 v84, v97, v96, s88
	v_add_u32_e32 v85, 0x200, v91
	ds_write2_b32 v85, v84, v94 offset0:70 offset1:136
	v_add_u32_e32 v84, 0x400, v91
	ds_write2_b32 v84, v94, v94 offset0:74 offset1:140
	;; [unrolled: 2-line block ×6, first 2 shown]
	ds_write_b32 v91, v94 offset:3960
	ds_read2_b64 v[96:99], v92 offset1:4
	v_accvgpr_write_b32 a0, v0
	v_accvgpr_write_b32 a4, v4
	;; [unrolled: 1-line block ×16, first 2 shown]
	s_waitcnt lgkmcnt(0)
	v_mfma_f32_16x16x16bf16_1k a[0:3], v[38:39], v[96:97], a[0:3]
	ds_read2_b64 v[0:3], v92 offset0:8 offset1:12
	v_add_co_u32_e32 v16, vcc, 0x300, v16
	v_addc_co_u32_e32 v17, vcc, 0, v17, vcc
	v_add_co_u32_e32 v18, vcc, 0x600, v18
	v_mfma_f32_16x16x16bf16_1k a[4:7], v[52:53], v[96:97], a[4:7]
	v_add_u32_e32 v90, 0xc0, v90
	v_addc_co_u32_e32 v19, vcc, 0, v19, vcc
	v_cmp_le_i32_e32 vcc, s9, v90
	s_or_b64 s[0:1], vcc, s[0:1]
	v_mfma_f32_16x16x16bf16_1k a[8:11], v[68:69], v[96:97], a[8:11]
	v_mfma_f32_16x16x16bf16_1k a[12:15], v[82:83], v[96:97], a[12:15]
	;; [unrolled: 1-line block ×6, first 2 shown]
	s_waitcnt lgkmcnt(0)
	v_mfma_f32_16x16x16bf16_1k a[0:3], v[30:31], v[0:1], a[0:3]
	v_mfma_f32_16x16x16bf16_1k a[4:7], v[46:47], v[0:1], a[4:7]
	;; [unrolled: 1-line block ×8, first 2 shown]
	ds_read2_b64 v[0:3], v92 offset0:16 offset1:20
	s_waitcnt lgkmcnt(0)
	v_mfma_f32_16x16x16bf16_1k a[0:3], v[26:27], v[0:1], a[0:3]
	v_mfma_f32_16x16x16bf16_1k a[4:7], v[42:43], v[0:1], a[4:7]
	;; [unrolled: 1-line block ×8, first 2 shown]
	ds_read2_b64 v[0:3], v92 offset0:24 offset1:28
	s_waitcnt lgkmcnt(0)
	v_mfma_f32_16x16x16bf16_1k a[0:3], v[22:23], v[0:1], a[0:3]
	v_mfma_f32_16x16x16bf16_1k a[4:7], v[36:37], v[0:1], a[4:7]
	;; [unrolled: 1-line block ×8, first 2 shown]
	s_andn2_b64 exec, exec, s[0:1]
	s_cbranch_execz .LBB131_37
.LBB131_5:                              ; =>This Inner Loop Header: Depth=1
	v_add_co_u32_e32 v0, vcc, s4, v16
	v_addc_co_u32_e32 v1, vcc, v17, v95, vcc
	global_load_dword v20, v[16:17], off
	global_load_dword v21, v[0:1], off
	v_add_u32_e32 v0, s23, v90
	v_ashrrev_i32_e32 v1, 31, v0
	v_lshlrev_b64 v[0:1], 2, v[0:1]
	v_add_u32_e32 v2, s26, v90
	v_add_co_u32_e32 v0, vcc, s6, v0
	v_ashrrev_i32_e32 v3, 31, v2
	v_addc_co_u32_e32 v1, vcc, v93, v1, vcc
	v_lshlrev_b64 v[2:3], 2, v[2:3]
	v_add_u32_e32 v4, s27, v90
	v_add_co_u32_e32 v2, vcc, s6, v2
	v_ashrrev_i32_e32 v5, 31, v4
	v_addc_co_u32_e32 v3, vcc, v93, v3, vcc
	;; [unrolled: 5-line block ×6, first 2 shown]
	v_lshlrev_b64 v[12:13], 2, v[12:13]
	v_add_co_u32_e32 v12, vcc, s6, v12
	v_addc_co_u32_e32 v13, vcc, v93, v13, vcc
	global_load_dword v22, v[0:1], off
	global_load_dword v23, v[2:3], off
	;; [unrolled: 1-line block ×7, first 2 shown]
	v_add_u32_e32 v12, s33, v90
	v_ashrrev_i32_e32 v13, 31, v12
	v_lshlrev_b64 v[12:13], 2, v[12:13]
	v_add_co_u32_e32 v12, vcc, s6, v12
	v_addc_co_u32_e32 v13, vcc, v93, v13, vcc
	v_add_u32_e32 v30, s39, v90
	v_ashrrev_i32_e32 v31, 31, v30
	v_lshlrev_b64 v[30:31], 2, v[30:31]
	v_add_u32_e32 v32, s40, v90
	v_ashrrev_i32_e32 v33, 31, v32
	v_lshlrev_b64 v[32:33], 2, v[32:33]
	;; [unrolled: 3-line block ×6, first 2 shown]
	s_waitcnt vmcnt(8)
	ds_write_b32 v91, v20
	s_waitcnt vmcnt(7)
	ds_write_b32 v91, v21 offset:264
	v_add_u32_e32 v20, s34, v90
	v_ashrrev_i32_e32 v21, 31, v20
	global_load_dword v12, v[12:13], off
	v_lshlrev_b64 v[20:21], 2, v[20:21]
	v_add_co_u32_e32 v20, vcc, s6, v20
	v_addc_co_u32_e32 v21, vcc, v93, v21, vcc
	v_add_u32_e32 v42, s49, v90
	v_ashrrev_i32_e32 v43, 31, v42
	v_lshlrev_b64 v[42:43], 2, v[42:43]
	v_accvgpr_read_b32 v3, a15
	v_accvgpr_read_b32 v2, a14
	s_waitcnt vmcnt(7)
	ds_write_b32 v91, v22 offset:528
	s_waitcnt vmcnt(6)
	ds_write_b32 v91, v23 offset:792
	;; [unrolled: 2-line block ×7, first 2 shown]
	v_add_u32_e32 v22, s35, v90
	v_ashrrev_i32_e32 v23, 31, v22
	v_lshlrev_b64 v[22:23], 2, v[22:23]
	v_add_u32_e32 v24, s36, v90
	v_add_co_u32_e32 v22, vcc, s6, v22
	v_ashrrev_i32_e32 v25, 31, v24
	v_addc_co_u32_e32 v23, vcc, v93, v23, vcc
	v_lshlrev_b64 v[24:25], 2, v[24:25]
	v_add_u32_e32 v26, s37, v90
	v_add_co_u32_e32 v24, vcc, s6, v24
	v_ashrrev_i32_e32 v27, 31, v26
	v_addc_co_u32_e32 v25, vcc, v93, v25, vcc
	;; [unrolled: 5-line block ×3, first 2 shown]
	v_lshlrev_b64 v[28:29], 2, v[28:29]
	v_add_co_u32_e32 v28, vcc, s6, v28
	v_addc_co_u32_e32 v29, vcc, v93, v29, vcc
	v_add_co_u32_e32 v30, vcc, s6, v30
	v_addc_co_u32_e32 v31, vcc, v93, v31, vcc
	;; [unrolled: 2-line block ×4, first 2 shown]
	global_load_dword v20, v[20:21], off
	s_nop 0
	global_load_dword v21, v[22:23], off
	s_nop 0
	global_load_dword v22, v[24:25], off
	global_load_dword v23, v[26:27], off
	s_nop 0
	global_load_dword v24, v[28:29], off
	global_load_dword v25, v[30:31], off
	;; [unrolled: 1-line block ×3, first 2 shown]
	s_nop 0
	global_load_dword v34, v[34:35], off
	v_add_u32_e32 v26, s42, v90
	v_ashrrev_i32_e32 v27, 31, v26
	v_lshlrev_b64 v[26:27], 2, v[26:27]
	v_add_u32_e32 v28, s43, v90
	v_add_co_u32_e32 v26, vcc, s6, v26
	v_ashrrev_i32_e32 v29, 31, v28
	v_addc_co_u32_e32 v27, vcc, v93, v27, vcc
	v_lshlrev_b64 v[28:29], 2, v[28:29]
	v_add_u32_e32 v30, s44, v90
	v_add_co_u32_e32 v28, vcc, s6, v28
	v_ashrrev_i32_e32 v31, 31, v30
	v_addc_co_u32_e32 v29, vcc, v93, v29, vcc
	;; [unrolled: 5-line block ×3, first 2 shown]
	v_lshlrev_b64 v[32:33], 2, v[32:33]
	v_add_co_u32_e32 v32, vcc, s6, v32
	v_addc_co_u32_e32 v33, vcc, v93, v33, vcc
	v_add_co_u32_e32 v36, vcc, s6, v36
	v_addc_co_u32_e32 v37, vcc, v93, v37, vcc
	;; [unrolled: 2-line block ×5, first 2 shown]
	global_load_dword v35, v[26:27], off
	global_load_dword v44, v[28:29], off
	global_load_dword v45, v[30:31], off
	global_load_dword v46, v[32:33], off
	global_load_dword v47, v[36:37], off
	global_load_dword v48, v[38:39], off
	global_load_dword v49, v[40:41], off
	global_load_dword v50, v[42:43], off
	v_add_u32_e32 v26, s50, v90
	v_ashrrev_i32_e32 v27, 31, v26
	v_lshlrev_b64 v[26:27], 2, v[26:27]
	v_add_u32_e32 v28, s51, v90
	v_add_co_u32_e32 v26, vcc, s6, v26
	v_ashrrev_i32_e32 v29, 31, v28
	v_addc_co_u32_e32 v27, vcc, v93, v27, vcc
	v_lshlrev_b64 v[28:29], 2, v[28:29]
	v_add_u32_e32 v30, s52, v90
	v_add_co_u32_e32 v28, vcc, s6, v28
	v_ashrrev_i32_e32 v31, 31, v30
	v_addc_co_u32_e32 v29, vcc, v93, v29, vcc
	v_lshlrev_b64 v[30:31], 2, v[30:31]
	v_add_u32_e32 v32, s53, v90
	v_add_co_u32_e32 v30, vcc, s6, v30
	v_ashrrev_i32_e32 v33, 31, v32
	v_addc_co_u32_e32 v31, vcc, v93, v31, vcc
	v_lshlrev_b64 v[32:33], 2, v[32:33]
	v_add_u32_e32 v36, s54, v90
	v_add_co_u32_e32 v32, vcc, s6, v32
	v_ashrrev_i32_e32 v37, 31, v36
	v_addc_co_u32_e32 v33, vcc, v93, v33, vcc
	v_lshlrev_b64 v[36:37], 2, v[36:37]
	v_add_u32_e32 v38, s55, v90
	v_add_co_u32_e32 v36, vcc, s6, v36
	v_ashrrev_i32_e32 v39, 31, v38
	v_addc_co_u32_e32 v37, vcc, v93, v37, vcc
	v_lshlrev_b64 v[38:39], 2, v[38:39]
	v_add_u32_e32 v40, s56, v90
	v_add_co_u32_e32 v38, vcc, s6, v38
	v_ashrrev_i32_e32 v41, 31, v40
	v_addc_co_u32_e32 v39, vcc, v93, v39, vcc
	v_lshlrev_b64 v[40:41], 2, v[40:41]
	v_add_u32_e32 v42, s57, v90
	v_add_co_u32_e32 v40, vcc, s6, v40
	v_ashrrev_i32_e32 v43, 31, v42
	v_addc_co_u32_e32 v41, vcc, v93, v41, vcc
	v_lshlrev_b64 v[42:43], 2, v[42:43]
	v_add_co_u32_e32 v42, vcc, s6, v42
	v_addc_co_u32_e32 v43, vcc, v93, v43, vcc
	global_load_dword v51, v[26:27], off
	global_load_dword v52, v[28:29], off
	global_load_dword v53, v[30:31], off
	global_load_dword v54, v[32:33], off
	global_load_dword v55, v[36:37], off
	global_load_dword v56, v[38:39], off
	global_load_dword v57, v[40:41], off
	global_load_dword v58, v[42:43], off
	v_add_u32_e32 v26, s58, v90
	v_ashrrev_i32_e32 v27, 31, v26
	v_lshlrev_b64 v[26:27], 2, v[26:27]
	v_add_u32_e32 v28, s59, v90
	v_add_co_u32_e32 v26, vcc, s6, v26
	v_ashrrev_i32_e32 v29, 31, v28
	v_addc_co_u32_e32 v27, vcc, v93, v27, vcc
	v_lshlrev_b64 v[28:29], 2, v[28:29]
	v_add_u32_e32 v30, s60, v90
	v_add_co_u32_e32 v28, vcc, s6, v28
	v_ashrrev_i32_e32 v31, 31, v30
	v_addc_co_u32_e32 v29, vcc, v93, v29, vcc
	v_lshlrev_b64 v[30:31], 2, v[30:31]
	v_add_u32_e32 v32, s61, v90
	v_add_co_u32_e32 v30, vcc, s6, v30
	v_ashrrev_i32_e32 v33, 31, v32
	v_addc_co_u32_e32 v31, vcc, v93, v31, vcc
	v_lshlrev_b64 v[32:33], 2, v[32:33]
	v_add_u32_e32 v36, s62, v90
	v_add_co_u32_e32 v32, vcc, s6, v32
	v_ashrrev_i32_e32 v37, 31, v36
	v_addc_co_u32_e32 v33, vcc, v93, v33, vcc
	v_lshlrev_b64 v[36:37], 2, v[36:37]
	v_add_u32_e32 v38, s63, v90
	v_add_co_u32_e32 v36, vcc, s6, v36
	v_ashrrev_i32_e32 v39, 31, v38
	v_addc_co_u32_e32 v37, vcc, v93, v37, vcc
	v_lshlrev_b64 v[38:39], 2, v[38:39]
	v_add_u32_e32 v40, s64, v90
	v_add_co_u32_e32 v38, vcc, s6, v38
	v_ashrrev_i32_e32 v41, 31, v40
	v_addc_co_u32_e32 v39, vcc, v93, v39, vcc
	v_lshlrev_b64 v[40:41], 2, v[40:41]
	v_add_u32_e32 v42, s65, v90
	v_add_co_u32_e32 v40, vcc, s6, v40
	v_ashrrev_i32_e32 v43, 31, v42
	v_addc_co_u32_e32 v41, vcc, v93, v41, vcc
	v_lshlrev_b64 v[42:43], 2, v[42:43]
	v_add_co_u32_e32 v42, vcc, s6, v42
	v_addc_co_u32_e32 v43, vcc, v93, v43, vcc
	;; [unrolled: 48-line block ×4, first 2 shown]
	global_load_dword v75, v[26:27], off
	global_load_dword v76, v[28:29], off
	;; [unrolled: 1-line block ×8, first 2 shown]
	v_add_u32_e32 v26, s81, v90
	v_ashrrev_i32_e32 v27, 31, v26
	v_lshlrev_b64 v[26:27], 2, v[26:27]
	v_add_u32_e32 v28, s82, v90
	v_add_co_u32_e32 v26, vcc, s6, v26
	v_ashrrev_i32_e32 v29, 31, v28
	v_addc_co_u32_e32 v27, vcc, v93, v27, vcc
	v_lshlrev_b64 v[28:29], 2, v[28:29]
	v_add_u32_e32 v30, s83, v90
	v_add_co_u32_e32 v28, vcc, s6, v28
	v_ashrrev_i32_e32 v31, 31, v30
	v_addc_co_u32_e32 v29, vcc, v93, v29, vcc
	;; [unrolled: 5-line block ×5, first 2 shown]
	v_lshlrev_b64 v[38:39], 2, v[38:39]
	v_add_co_u32_e32 v38, vcc, s6, v38
	v_addc_co_u32_e32 v39, vcc, v93, v39, vcc
	global_load_dword v83, v[26:27], off
	global_load_dword v96, v[28:29], off
	;; [unrolled: 1-line block ×6, first 2 shown]
	s_waitcnt vmcnt(54)
	ds_write_b32 v91, v12 offset:2376
	s_waitcnt vmcnt(53)
	ds_write_b32 v91, v20 offset:2640
	s_waitcnt vmcnt(52)
	ds_write_b32 v91, v21 offset:2904
	s_waitcnt vmcnt(51)
	ds_write_b32 v91, v22 offset:3168
	s_waitcnt vmcnt(50)
	ds_write_b32 v91, v23 offset:3432
	s_waitcnt vmcnt(49)
	ds_write_b32 v91, v24 offset:3696
	s_waitcnt vmcnt(48)
	ds_write_b32 v91, v25 offset:3960
	global_load_dwordx2 v[84:85], v[18:19], off
	ds_read_b64 v[38:39], v92
	ds_read_b64 v[32:33], v92 offset:32
	ds_read_b64 v[30:31], v92 offset:64
	ds_read_b64 v[28:29], v92 offset:96
	ds_read_b64 v[26:27], v92 offset:128
	ds_read_b64 v[24:25], v92 offset:160
	ds_read_b64 v[22:23], v92 offset:192
	ds_read_b64 v[20:21], v92 offset:224
	s_waitcnt vmcnt(48)
	ds_write_b32 v91, v13
	s_waitcnt vmcnt(47)
	ds_write_b32 v91, v34 offset:264
	s_waitcnt vmcnt(46)
	ds_write_b32 v91, v35 offset:528
	s_waitcnt vmcnt(45)
	ds_write_b32 v91, v44 offset:792
	s_waitcnt vmcnt(44)
	ds_write_b32 v91, v45 offset:1056
	s_waitcnt vmcnt(43)
	ds_write_b32 v91, v46 offset:1320
	s_waitcnt vmcnt(42)
	ds_write_b32 v91, v47 offset:1584
	s_waitcnt vmcnt(41)
	ds_write_b32 v91, v48 offset:1848
	s_waitcnt vmcnt(40)
	ds_write_b32 v91, v49 offset:2112
	s_waitcnt vmcnt(39)
	ds_write_b32 v91, v50 offset:2376
	s_waitcnt vmcnt(38)
	ds_write_b32 v91, v51 offset:2640
	s_waitcnt vmcnt(37)
	ds_write_b32 v91, v52 offset:2904
	s_waitcnt vmcnt(36)
	ds_write_b32 v91, v53 offset:3168
	s_waitcnt vmcnt(35)
	ds_write_b32 v91, v54 offset:3432
	s_waitcnt vmcnt(34)
	ds_write_b32 v91, v55 offset:3696
	s_waitcnt vmcnt(33)
	ds_write_b32 v91, v56 offset:3960
	ds_read_b64 v[52:53], v92
	ds_read_b64 v[50:51], v92 offset:32
	ds_read_b64 v[46:47], v92 offset:64
	ds_read_b64 v[44:45], v92 offset:96
	ds_read_b64 v[42:43], v92 offset:128
	ds_read_b64 v[40:41], v92 offset:160
	ds_read_b64 v[36:37], v92 offset:192
	ds_read_b64 v[34:35], v92 offset:224
	s_waitcnt vmcnt(32)
	ds_write_b32 v91, v57
	s_waitcnt vmcnt(31)
	ds_write_b32 v91, v58 offset:264
	s_waitcnt vmcnt(30)
	ds_write_b32 v91, v59 offset:528
	s_waitcnt vmcnt(29)
	ds_write_b32 v91, v60 offset:792
	s_waitcnt vmcnt(28)
	ds_write_b32 v91, v61 offset:1056
	s_waitcnt vmcnt(27)
	ds_write_b32 v91, v62 offset:1320
	s_waitcnt vmcnt(26)
	ds_write_b32 v91, v63 offset:1584
	s_waitcnt vmcnt(25)
	ds_write_b32 v91, v64 offset:1848
	s_waitcnt vmcnt(24)
	ds_write_b32 v91, v65 offset:2112
	s_waitcnt vmcnt(23)
	ds_write_b32 v91, v66 offset:2376
	s_waitcnt vmcnt(22)
	ds_write_b32 v91, v67 offset:2640
	s_waitcnt vmcnt(21)
	ds_write_b32 v91, v68 offset:2904
	s_waitcnt vmcnt(20)
	ds_write_b32 v91, v69 offset:3168
	s_waitcnt vmcnt(19)
	ds_write_b32 v91, v70 offset:3432
	s_waitcnt vmcnt(18)
	ds_write_b32 v91, v71 offset:3696
	s_waitcnt vmcnt(17)
	ds_write_b32 v91, v72 offset:3960
	;; [unrolled: 40-line block ×3, first 2 shown]
	ds_read_b64 v[82:83], v92
	ds_read_b64 v[80:81], v92 offset:32
	ds_read_b64 v[78:79], v92 offset:64
	;; [unrolled: 1-line block ×7, first 2 shown]
	s_waitcnt vmcnt(0)
	v_and_b32_e32 v96, 0x7f800000, v84
	v_accvgpr_read_b32 v1, a13
	v_accvgpr_read_b32 v0, a12
	;; [unrolled: 1-line block ×14, first 2 shown]
	v_cmp_ne_u32_e32 vcc, s86, v96
                                        ; implicit-def: $vgpr96
	s_and_saveexec_b64 s[16:17], vcc
	s_xor_b64 s[16:17], exec, s[16:17]
; %bb.6:                                ;   in Loop: Header=BB131_5 Depth=1
	v_bfe_u32 v96, v84, 16, 1
	v_add3_u32 v96, v84, v96, s87
; %bb.7:                                ;   in Loop: Header=BB131_5 Depth=1
	s_andn2_saveexec_b64 s[16:17], s[16:17]
; %bb.8:                                ;   in Loop: Header=BB131_5 Depth=1
	v_or_b32_e32 v96, 0x10000, v84
	v_cmp_eq_u32_sdwa vcc, v84, v94 src0_sel:WORD_0 src1_sel:DWORD
	v_cndmask_b32_e32 v96, v96, v84, vcc
; %bb.9:                                ;   in Loop: Header=BB131_5 Depth=1
	s_or_b64 exec, exec, s[16:17]
	v_and_b32_e32 v84, 0x7f800000, v85
	v_cmp_ne_u32_e32 vcc, s86, v84
                                        ; implicit-def: $vgpr97
	s_and_saveexec_b64 s[16:17], vcc
	s_xor_b64 s[16:17], exec, s[16:17]
; %bb.10:                               ;   in Loop: Header=BB131_5 Depth=1
	v_bfe_u32 v84, v85, 16, 1
	v_add3_u32 v97, v85, v84, s87
                                        ; implicit-def: $vgpr84_vgpr85
; %bb.11:                               ;   in Loop: Header=BB131_5 Depth=1
	s_andn2_saveexec_b64 s[16:17], s[16:17]
; %bb.12:                               ;   in Loop: Header=BB131_5 Depth=1
	v_or_b32_e32 v84, 0x10000, v85
	v_cmp_eq_u32_sdwa vcc, v85, v94 src0_sel:WORD_0 src1_sel:DWORD
	v_cndmask_b32_e32 v97, v84, v85, vcc
; %bb.13:                               ;   in Loop: Header=BB131_5 Depth=1
	s_or_b64 exec, exec, s[16:17]
	v_mov_b32_e32 v85, s13
	v_add_co_u32_e32 v84, vcc, s12, v18
	v_addc_co_u32_e32 v85, vcc, v19, v85, vcc
	global_load_dwordx2 v[84:85], v[84:85], off
	v_perm_b32 v96, v97, v96, s88
	ds_write_b32 v91, v96
	s_waitcnt vmcnt(0)
	v_and_b32_e32 v96, 0x7f800000, v84
	v_cmp_ne_u32_e32 vcc, s86, v96
                                        ; implicit-def: $vgpr96
	s_and_saveexec_b64 s[16:17], vcc
	s_xor_b64 s[16:17], exec, s[16:17]
; %bb.14:                               ;   in Loop: Header=BB131_5 Depth=1
	v_bfe_u32 v96, v84, 16, 1
	v_add3_u32 v96, v84, v96, s87
; %bb.15:                               ;   in Loop: Header=BB131_5 Depth=1
	s_andn2_saveexec_b64 s[16:17], s[16:17]
; %bb.16:                               ;   in Loop: Header=BB131_5 Depth=1
	v_or_b32_e32 v96, 0x10000, v84
	v_cmp_eq_u32_sdwa vcc, v84, v94 src0_sel:WORD_0 src1_sel:DWORD
	v_cndmask_b32_e32 v96, v96, v84, vcc
; %bb.17:                               ;   in Loop: Header=BB131_5 Depth=1
	s_or_b64 exec, exec, s[16:17]
	v_and_b32_e32 v84, 0x7f800000, v85
	v_cmp_ne_u32_e32 vcc, s86, v84
                                        ; implicit-def: $vgpr97
	s_and_saveexec_b64 s[16:17], vcc
	s_xor_b64 s[16:17], exec, s[16:17]
; %bb.18:                               ;   in Loop: Header=BB131_5 Depth=1
	v_bfe_u32 v84, v85, 16, 1
	v_add3_u32 v97, v85, v84, s87
                                        ; implicit-def: $vgpr84_vgpr85
; %bb.19:                               ;   in Loop: Header=BB131_5 Depth=1
	s_andn2_saveexec_b64 s[16:17], s[16:17]
; %bb.20:                               ;   in Loop: Header=BB131_5 Depth=1
	v_or_b32_e32 v84, 0x10000, v85
	v_cmp_eq_u32_sdwa vcc, v85, v94 src0_sel:WORD_0 src1_sel:DWORD
	v_cndmask_b32_e32 v97, v84, v85, vcc
; %bb.21:                               ;   in Loop: Header=BB131_5 Depth=1
	s_or_b64 exec, exec, s[16:17]
	v_add_u32_e32 v84, s21, v90
	v_ashrrev_i32_e32 v85, 31, v84
	v_lshlrev_b64 v[84:85], 3, v[84:85]
	v_mov_b32_e32 v98, s18
	v_add_co_u32_e32 v84, vcc, s14, v84
	v_addc_co_u32_e32 v85, vcc, v98, v85, vcc
	global_load_dwordx2 v[84:85], v[84:85], off
	v_perm_b32 v96, v97, v96, s88
	ds_write_b32 v91, v96 offset:264
	s_waitcnt vmcnt(0)
	v_and_b32_e32 v96, 0x7f800000, v84
	v_cmp_ne_u32_e32 vcc, s86, v96
                                        ; implicit-def: $vgpr96
	s_and_saveexec_b64 s[16:17], vcc
	s_xor_b64 s[16:17], exec, s[16:17]
; %bb.22:                               ;   in Loop: Header=BB131_5 Depth=1
	v_bfe_u32 v96, v84, 16, 1
	v_add3_u32 v96, v84, v96, s87
; %bb.23:                               ;   in Loop: Header=BB131_5 Depth=1
	s_andn2_saveexec_b64 s[16:17], s[16:17]
; %bb.24:                               ;   in Loop: Header=BB131_5 Depth=1
	v_or_b32_e32 v96, 0x10000, v84
	v_cmp_eq_u32_sdwa vcc, v84, v94 src0_sel:WORD_0 src1_sel:DWORD
	v_cndmask_b32_e32 v96, v96, v84, vcc
; %bb.25:                               ;   in Loop: Header=BB131_5 Depth=1
	s_or_b64 exec, exec, s[16:17]
	v_and_b32_e32 v84, 0x7f800000, v85
	v_cmp_ne_u32_e32 vcc, s86, v84
                                        ; implicit-def: $vgpr97
	s_and_saveexec_b64 s[16:17], vcc
	s_xor_b64 s[16:17], exec, s[16:17]
; %bb.26:                               ;   in Loop: Header=BB131_5 Depth=1
	v_bfe_u32 v84, v85, 16, 1
	v_add3_u32 v97, v85, v84, s87
                                        ; implicit-def: $vgpr84_vgpr85
; %bb.27:                               ;   in Loop: Header=BB131_5 Depth=1
	s_andn2_saveexec_b64 s[16:17], s[16:17]
; %bb.28:                               ;   in Loop: Header=BB131_5 Depth=1
	v_or_b32_e32 v84, 0x10000, v85
	v_cmp_eq_u32_sdwa vcc, v85, v94 src0_sel:WORD_0 src1_sel:DWORD
	v_cndmask_b32_e32 v97, v84, v85, vcc
; %bb.29:                               ;   in Loop: Header=BB131_5 Depth=1
	s_or_b64 exec, exec, s[16:17]
	v_add_u32_e32 v84, s22, v90
	v_ashrrev_i32_e32 v85, 31, v84
	v_lshlrev_b64 v[84:85], 3, v[84:85]
	v_mov_b32_e32 v98, s18
	v_add_co_u32_e32 v84, vcc, s14, v84
	v_addc_co_u32_e32 v85, vcc, v98, v85, vcc
	global_load_dwordx2 v[84:85], v[84:85], off
	v_perm_b32 v96, v97, v96, s88
	ds_write_b32 v91, v96 offset:528
	s_waitcnt vmcnt(0)
	v_and_b32_e32 v96, 0x7f800000, v84
	v_cmp_ne_u32_e32 vcc, s86, v96
                                        ; implicit-def: $vgpr96
	s_and_saveexec_b64 s[16:17], vcc
	s_xor_b64 s[16:17], exec, s[16:17]
; %bb.30:                               ;   in Loop: Header=BB131_5 Depth=1
	v_bfe_u32 v96, v84, 16, 1
	v_add3_u32 v96, v84, v96, s87
; %bb.31:                               ;   in Loop: Header=BB131_5 Depth=1
	s_andn2_saveexec_b64 s[16:17], s[16:17]
; %bb.32:                               ;   in Loop: Header=BB131_5 Depth=1
	v_or_b32_e32 v96, 0x10000, v84
	v_cmp_eq_u32_sdwa vcc, v84, v94 src0_sel:WORD_0 src1_sel:DWORD
	v_cndmask_b32_e32 v96, v96, v84, vcc
; %bb.33:                               ;   in Loop: Header=BB131_5 Depth=1
	s_or_b64 exec, exec, s[16:17]
	v_and_b32_e32 v84, 0x7f800000, v85
	v_cmp_ne_u32_e32 vcc, s86, v84
                                        ; implicit-def: $vgpr97
	s_and_saveexec_b64 s[16:17], vcc
	s_xor_b64 s[16:17], exec, s[16:17]
; %bb.34:                               ;   in Loop: Header=BB131_5 Depth=1
	v_bfe_u32 v84, v85, 16, 1
	v_add3_u32 v97, v85, v84, s87
                                        ; implicit-def: $vgpr84_vgpr85
; %bb.35:                               ;   in Loop: Header=BB131_5 Depth=1
	s_andn2_saveexec_b64 s[16:17], s[16:17]
	s_cbranch_execz .LBB131_4
; %bb.36:                               ;   in Loop: Header=BB131_5 Depth=1
	v_or_b32_e32 v84, 0x10000, v85
	v_cmp_eq_u32_sdwa vcc, v85, v94 src0_sel:WORD_0 src1_sel:DWORD
	v_cndmask_b32_e32 v97, v84, v85, vcc
	s_branch .LBB131_4
.LBB131_37:
	s_or_b64 exec, exec, s[0:1]
.LBB131_38:
	s_or_b64 exec, exec, s[24:25]
	s_mul_hi_i32 s1, s19, s8
	s_mul_i32 s0, s19, s8
	s_lshl_b64 s[0:1], s[0:1], 2
	v_mul_u32_u24_e32 v0, 0x308, v89
	v_lshlrev_b32_e32 v1, 2, v88
	v_or_b32_e32 v2, 12, v87
	s_mul_i32 s4, s7, s15
	s_waitcnt lgkmcnt(0)
	s_add_u32 s6, s10, s0
	v_add3_u32 v0, 0, v0, v1
	v_and_b32_e32 v1, 0x3f0, v87
	v_and_b32_e32 v2, 0x3fc, v2
	s_addc_u32 s7, s11, s1
	s_ashr_i32 s5, s4, 31
	v_add_u32_e32 v1, v0, v1
	v_add_u32_e32 v0, v0, v2
	s_lshl_b64 s[0:1], s[4:5], 2
	s_barrier
	s_movk_i32 s4, 0x308
	ds_write2_b32 v1, a12, a13 offset1:1
	ds_write_b32 v1, a14 offset:8
	ds_write_b32 v0, a15
	ds_write2_b32 v1, a8, a9 offset0:16 offset1:17
	ds_write_b32 v1, a10 offset:72
	ds_write_b32 v0, a11 offset:64
	ds_write2_b32 v1, a4, a5 offset0:32 offset1:33
	ds_write_b32 v1, a6 offset:136
	ds_write_b32 v0, a7 offset:128
	;; [unrolled: 3-line block ×3, first 2 shown]
	v_lshl_add_u32 v1, v87, 2, 0
	v_mad_u32_u24 v0, v86, s4, v1
	s_waitcnt lgkmcnt(0)
	s_barrier
	ds_read2st64_b32 v[2:3], v0 offset1:1
	ds_read_b32 v4, v0 offset:512
	v_add_u32_e32 v0, s3, v87
	s_add_u32 s0, s6, s0
	s_addc_u32 s1, s7, s1
	s_waitcnt lgkmcnt(1)
	v_add_f32_e32 v2, 0, v2
	v_add_f32_e32 v2, v2, v3
	s_waitcnt lgkmcnt(0)
	v_add_f32_e32 v6, v2, v4
	v_mad_u64_u32 v[2:3], s[4:5], v86, s2, v[0:1]
	v_mov_b32_e32 v3, 0
	v_lshlrev_b64 v[4:5], 2, v[2:3]
	v_mov_b32_e32 v2, s1
	v_add_co_u32_e32 v4, vcc, s0, v4
	v_addc_co_u32_e32 v5, vcc, v2, v5, vcc
	v_cmp_eq_u32_e32 vcc, 0, v86
	global_store_dword v[4:5], v6, off
	s_and_saveexec_b64 s[4:5], vcc
	s_cbranch_execz .LBB131_40
; %bb.39:
	v_add_u32_e32 v2, 24, v1
	ds_read2st64_b32 v[4:5], v2 offset0:9 offset1:10
	ds_read_b32 v2, v1 offset:2840
	v_mad_u64_u32 v[0:1], s[2:3], s2, 3, v[0:1]
	v_mov_b32_e32 v1, v3
	s_waitcnt lgkmcnt(1)
	v_add_f32_e32 v3, 0, v4
	v_add_f32_e32 v3, v3, v5
	v_lshlrev_b64 v[0:1], 2, v[0:1]
	s_waitcnt lgkmcnt(0)
	v_add_f32_e32 v2, v3, v2
	v_mov_b32_e32 v3, s1
	v_add_co_u32_e32 v0, vcc, s0, v0
	v_addc_co_u32_e32 v1, vcc, v3, v1, vcc
	global_store_dword v[0:1], v2, off
.LBB131_40:
	s_endpgm
	.section	.rodata,"a",@progbits
	.p2align	6, 0x0
	.amdhsa_kernel _ZL9mul_mat_fI15__hip_bfloat162Li64ELi4ELi3ELb0EEvPKT_PKfPKiPfiiiiiiiiiiiiiiii
		.amdhsa_group_segment_fixed_size 0
		.amdhsa_private_segment_fixed_size 0
		.amdhsa_kernarg_size 96
		.amdhsa_user_sgpr_count 6
		.amdhsa_user_sgpr_private_segment_buffer 1
		.amdhsa_user_sgpr_dispatch_ptr 0
		.amdhsa_user_sgpr_queue_ptr 0
		.amdhsa_user_sgpr_kernarg_segment_ptr 1
		.amdhsa_user_sgpr_dispatch_id 0
		.amdhsa_user_sgpr_flat_scratch_init 0
		.amdhsa_user_sgpr_kernarg_preload_length 0
		.amdhsa_user_sgpr_kernarg_preload_offset 0
		.amdhsa_user_sgpr_private_segment_size 0
		.amdhsa_uses_dynamic_stack 0
		.amdhsa_system_sgpr_private_segment_wavefront_offset 0
		.amdhsa_system_sgpr_workgroup_id_x 1
		.amdhsa_system_sgpr_workgroup_id_y 1
		.amdhsa_system_sgpr_workgroup_id_z 1
		.amdhsa_system_sgpr_workgroup_info 0
		.amdhsa_system_vgpr_workitem_id 1
		.amdhsa_next_free_vgpr 128
		.amdhsa_next_free_sgpr 89
		.amdhsa_accum_offset 104
		.amdhsa_reserve_vcc 1
		.amdhsa_reserve_flat_scratch 0
		.amdhsa_float_round_mode_32 0
		.amdhsa_float_round_mode_16_64 0
		.amdhsa_float_denorm_mode_32 3
		.amdhsa_float_denorm_mode_16_64 3
		.amdhsa_dx10_clamp 1
		.amdhsa_ieee_mode 1
		.amdhsa_fp16_overflow 0
		.amdhsa_tg_split 0
		.amdhsa_exception_fp_ieee_invalid_op 0
		.amdhsa_exception_fp_denorm_src 0
		.amdhsa_exception_fp_ieee_div_zero 0
		.amdhsa_exception_fp_ieee_overflow 0
		.amdhsa_exception_fp_ieee_underflow 0
		.amdhsa_exception_fp_ieee_inexact 0
		.amdhsa_exception_int_div_zero 0
	.end_amdhsa_kernel
	.section	.text._ZL9mul_mat_fI15__hip_bfloat162Li64ELi4ELi3ELb0EEvPKT_PKfPKiPfiiiiiiiiiiiiiiii,"axG",@progbits,_ZL9mul_mat_fI15__hip_bfloat162Li64ELi4ELi3ELb0EEvPKT_PKfPKiPfiiiiiiiiiiiiiiii,comdat
.Lfunc_end131:
	.size	_ZL9mul_mat_fI15__hip_bfloat162Li64ELi4ELi3ELb0EEvPKT_PKfPKiPfiiiiiiiiiiiiiiii, .Lfunc_end131-_ZL9mul_mat_fI15__hip_bfloat162Li64ELi4ELi3ELb0EEvPKT_PKfPKiPfiiiiiiiiiiiiiiii
                                        ; -- End function
	.section	.AMDGPU.csdata,"",@progbits
; Kernel info:
; codeLenInByte = 6000
; NumSgprs: 93
; NumVgprs: 101
; NumAgprs: 24
; TotalNumVgprs: 128
; ScratchSize: 0
; MemoryBound: 0
; FloatMode: 240
; IeeeMode: 1
; LDSByteSize: 0 bytes/workgroup (compile time only)
; SGPRBlocks: 11
; VGPRBlocks: 15
; NumSGPRsForWavesPerEU: 93
; NumVGPRsForWavesPerEU: 128
; AccumOffset: 104
; Occupancy: 4
; WaveLimiterHint : 0
; COMPUTE_PGM_RSRC2:SCRATCH_EN: 0
; COMPUTE_PGM_RSRC2:USER_SGPR: 6
; COMPUTE_PGM_RSRC2:TRAP_HANDLER: 0
; COMPUTE_PGM_RSRC2:TGID_X_EN: 1
; COMPUTE_PGM_RSRC2:TGID_Y_EN: 1
; COMPUTE_PGM_RSRC2:TGID_Z_EN: 1
; COMPUTE_PGM_RSRC2:TIDIG_COMP_CNT: 1
; COMPUTE_PGM_RSRC3_GFX90A:ACCUM_OFFSET: 25
; COMPUTE_PGM_RSRC3_GFX90A:TG_SPLIT: 0
	.section	.text._ZL13mul_mat_f_idsI15__hip_bfloat162Li64ELi4ELi4EEvPKT_PKfPKiS7_S7_Pfiiiiiiiiiiiiii15HIP_vector_typeIjLj3EESA_,"axG",@progbits,_ZL13mul_mat_f_idsI15__hip_bfloat162Li64ELi4ELi4EEvPKT_PKfPKiS7_S7_Pfiiiiiiiiiiiiii15HIP_vector_typeIjLj3EESA_,comdat
	.globl	_ZL13mul_mat_f_idsI15__hip_bfloat162Li64ELi4ELi4EEvPKT_PKfPKiS7_S7_Pfiiiiiiiiiiiiii15HIP_vector_typeIjLj3EESA_ ; -- Begin function _ZL13mul_mat_f_idsI15__hip_bfloat162Li64ELi4ELi4EEvPKT_PKfPKiS7_S7_Pfiiiiiiiiiiiiii15HIP_vector_typeIjLj3EESA_
	.p2align	8
	.type	_ZL13mul_mat_f_idsI15__hip_bfloat162Li64ELi4ELi4EEvPKT_PKfPKiS7_S7_Pfiiiiiiiiiiiiii15HIP_vector_typeIjLj3EESA_,@function
_ZL13mul_mat_f_idsI15__hip_bfloat162Li64ELi4ELi4EEvPKT_PKfPKiS7_S7_Pfiiiiiiiiiiiiii15HIP_vector_typeIjLj3EESA_: ; @_ZL13mul_mat_f_idsI15__hip_bfloat162Li64ELi4ELi4EEvPKT_PKfPKiS7_S7_Pfiiiiiiiiiiiiii15HIP_vector_typeIjLj3EESA_
; %bb.0:
	s_load_dwordx2 s[0:1], s[4:5], 0x20
	s_mov_b32 s34, s7
	s_ashr_i32 s35, s7, 31
	s_lshl_b64 s[2:3], s[34:35], 2
	s_waitcnt lgkmcnt(0)
	s_add_u32 s0, s0, s2
	s_addc_u32 s1, s1, s3
	s_load_dwordx2 s[26:27], s[0:1], 0x0
	s_waitcnt lgkmcnt(0)
	s_sub_i32 s28, s27, s26
	s_add_i32 s0, s28, 3
	s_ashr_i32 s1, s0, 31
	s_lshr_b32 s1, s1, 30
	s_add_i32 s0, s0, s1
	s_ashr_i32 s0, s0, 2
	s_cmp_ge_i32 s8, s0
	s_cbranch_scc1 .LBB132_55
; %bb.1:
	v_bfe_u32 v75, v0, 10, 10
	v_lshlrev_b32_e32 v76, 6, v75
	v_and_b32_e32 v74, 0x3ff, v0
	s_load_dwordx4 s[12:15], s[4:5], 0x30
	s_load_dwordx2 s[20:21], s[4:5], 0x40
	s_load_dwordx4 s[0:3], s[4:5], 0x4c
	s_load_dwordx4 s[16:19], s[4:5], 0x68
	s_load_dwordx2 s[24:25], s[4:5], 0x78
	v_add_u32_e32 v78, v76, v74
	s_ashr_i32 s27, s26, 31
	s_waitcnt lgkmcnt(0)
	v_cmp_le_i32_e32 vcc, s12, v78
	v_and_b32_e32 v77, 15, v74
                                        ; implicit-def: $sgpr3
	s_and_saveexec_b64 s[10:11], vcc
	s_xor_b64 s[10:11], exec, s[10:11]
; %bb.2:
	v_and_b32_e32 v77, 15, v74
	s_mov_b32 s3, 0
                                        ; implicit-def: $vgpr78
; %bb.3:
	s_or_saveexec_b64 s[36:37], s[10:11]
	s_load_dwordx2 s[10:11], s[4:5], 0x18
                                        ; implicit-def: $vgpr85 : SGPR spill to VGPR lane
	s_lshl_b32 s22, s6, 6
	s_lshl_b32 s30, s8, 2
	v_accvgpr_write_b32 a0, s3
	v_accvgpr_write_b32 a1, s3
	s_waitcnt lgkmcnt(0)
	v_writelane_b32 v85, s10, 0
	v_writelane_b32 v85, s11, 1
	s_load_dwordx2 s[10:11], s[4:5], 0x28
	v_accvgpr_write_b32 a2, s3
	v_accvgpr_write_b32 a3, s3
	;; [unrolled: 1-line block ×4, first 2 shown]
	s_waitcnt lgkmcnt(0)
	v_writelane_b32 v85, s10, 2
	v_writelane_b32 v85, s11, 3
	v_accvgpr_write_b32 a6, s3
	v_accvgpr_write_b32 a7, s3
	;; [unrolled: 1-line block ×10, first 2 shown]
	v_writelane_b32 v85, s36, 4
	v_writelane_b32 v85, s37, 5
	s_xor_b64 exec, exec, s[36:37]
	s_cbranch_execz .LBB132_51
; %bb.4:
	v_writelane_b32 v85, s24, 6
	v_writelane_b32 v85, s25, 7
	s_load_dwordx4 s[8:11], s[4:5], 0x0
	s_load_dwordx2 s[6:7], s[4:5], 0x10
	s_mul_i32 s4, s34, s0
	v_writelane_b32 v85, s22, 8
	s_mul_i32 s22, s22, s15
	s_ashr_i32 s5, s4, 31
	s_ashr_i32 s23, s22, 31
	s_lshl_b64 s[22:23], s[22:23], 2
	s_lshl_b64 s[4:5], s[4:5], 2
	s_add_u32 s3, s4, s22
	s_addc_u32 s22, s5, s23
	s_waitcnt lgkmcnt(0)
	s_add_u32 s0, s3, s8
	s_addc_u32 s23, s22, s9
	v_writelane_b32 v85, s26, 9
	s_lshl_b64 s[4:5], s[26:27], 2
	s_add_u32 s24, s6, s4
	s_addc_u32 s25, s7, s5
	s_movk_i32 s4, 0x1080
	s_cmp_lt_i32 s30, s28
	v_mad_u32_u24 v0, v75, s4, 0
	s_cselect_b64 s[4:5], -1, 0
	s_ashr_i32 s31, s30, 31
	s_lshl_b64 s[6:7], s[30:31], 2
	s_add_u32 s34, s24, s6
	s_addc_u32 s35, s25, s7
	s_or_b32 s6, s30, 1
	v_lshrrev_b32_e32 v3, 1, v74
	s_cmp_lt_i32 s6, s28
	v_lshlrev_b32_e32 v1, 2, v74
	v_mul_u32_u24_e32 v2, 0x108, v77
	v_and_b32_e32 v3, 0x1f8, v3
	s_cselect_b64 s[36:37], -1, 0
	s_or_b32 s6, s30, 2
	v_writelane_b32 v85, s27, 10
	v_add_u32_e32 v79, v0, v1
	v_add3_u32 v80, v0, v2, v3
	s_cmp_lt_i32 s6, s28
	s_mov_b32 s6, s30
	v_lshlrev_b32_e32 v0, 8, v75
	v_writelane_b32 v85, s6, 11
	v_mov_b32_e32 v2, s22
	v_add_co_u32_e32 v0, vcc, s3, v0
	s_cselect_b64 s[38:39], -1, 0
	v_writelane_b32 v85, s7, 12
	s_or_b32 s6, s30, 3
	v_addc_co_u32_e32 v2, vcc, 0, v2, vcc
	s_cmp_lt_i32 s6, s28
	v_add_co_u32_e32 v0, vcc, v0, v1
	s_cselect_b64 s[40:41], -1, 0
	s_ashr_i32 s7, s15, 31
	s_mov_b32 s6, s15
	v_addc_co_u32_e32 v1, vcc, 0, v2, vcc
	s_lshl_b64 s[42:43], s[6:7], 2
	v_mov_b32_e32 v2, s9
	v_add_co_u32_e32 v0, vcc, s8, v0
	v_writelane_b32 v85, s28, 13
	v_addc_co_u32_e32 v1, vcc, v2, v1, vcc
	s_lshl_b32 s7, s15, 1
	s_mul_i32 s46, s15, 3
	s_lshl_b32 s47, s15, 2
	s_mul_i32 s48, s15, 5
	s_mul_i32 s49, s15, 6
	s_mul_i32 s50, s15, 7
	s_lshl_b32 s51, s15, 3
	s_mul_i32 s52, s15, 9
	s_mul_i32 s53, s15, 10
	;; [unrolled: 1-line block ×7, first 2 shown]
	s_lshl_b32 s59, s15, 4
	s_mul_i32 s60, s15, 17
	s_mul_i32 s61, s15, 18
	;; [unrolled: 1-line block ×15, first 2 shown]
	s_lshl_b32 s75, s15, 5
	s_mul_i32 s76, s15, 33
	s_mul_i32 s77, s15, 34
	;; [unrolled: 1-line block ×15, first 2 shown]
	v_mov_b32_e32 v81, s23
	s_mul_i32 s91, s15, 48
	v_mov_b32_e32 v82, 0
	v_accvgpr_write_b32 a15, 0
	v_accvgpr_write_b32 a14, 0
	;; [unrolled: 1-line block ×16, first 2 shown]
	v_mov_b32_e32 v83, s43
	s_mul_i32 s43, s15, 49
	s_mul_i32 s92, s15, 50
	;; [unrolled: 1-line block ×15, first 2 shown]
	s_mov_b32 s6, 0x7f800000
	s_movk_i32 s33, 0x7fff
	s_mov_b32 s26, 0x7060302
	s_mov_b64 s[8:9], 0
	s_branch .LBB132_6
.LBB132_5:                              ;   in Loop: Header=BB132_6 Depth=1
	s_or_b64 exec, exec, s[44:45]
	v_perm_b32 v66, v67, v66, s26
	v_add_u32_e32 v67, 0x200, v79
	ds_write2_b32 v67, v66, v82 offset0:70 offset1:136
	v_add_u32_e32 v66, 0x400, v79
	ds_write2_b32 v66, v82, v82 offset0:74 offset1:140
	;; [unrolled: 2-line block ×6, first 2 shown]
	ds_write_b32 v79, v82 offset:3960
	ds_read2_b64 v[66:69], v80 offset1:4
	s_waitcnt lgkmcnt(0)
	v_mfma_f32_16x16x16bf16_1k a[0:3], v[16:17], v[66:67], a[0:3]
	v_add_co_u32_e32 v0, vcc, 0x400, v0
	v_add_u32_e32 v78, 0x100, v78
	v_addc_co_u32_e32 v1, vcc, 0, v1, vcc
	v_cmp_le_i32_e32 vcc, s12, v78
	s_or_b64 s[8:9], vcc, s[8:9]
	v_mfma_f32_16x16x16bf16_1k a[4:7], v[34:35], v[66:67], a[4:7]
	v_mfma_f32_16x16x16bf16_1k a[8:11], v[48:49], v[66:67], a[8:11]
	;; [unrolled: 1-line block ×4, first 2 shown]
	ds_read2_b64 v[14:17], v80 offset0:8 offset1:12
	v_mfma_f32_16x16x16bf16_1k a[4:7], v[30:31], v[68:69], a[4:7]
	v_mfma_f32_16x16x16bf16_1k a[8:11], v[46:47], v[68:69], a[8:11]
	v_mfma_f32_16x16x16bf16_1k a[12:15], v[62:63], v[68:69], a[12:15]
	s_waitcnt lgkmcnt(0)
	v_mfma_f32_16x16x16bf16_1k a[0:3], v[10:11], v[14:15], a[0:3]
	v_mfma_f32_16x16x16bf16_1k a[4:7], v[28:29], v[14:15], a[4:7]
	;; [unrolled: 1-line block ×8, first 2 shown]
	ds_read2_b64 v[14:17], v80 offset0:16 offset1:20
	s_waitcnt lgkmcnt(0)
	v_mfma_f32_16x16x16bf16_1k a[0:3], v[12:13], v[14:15], a[0:3]
	v_mfma_f32_16x16x16bf16_1k a[4:7], v[24:25], v[14:15], a[4:7]
	;; [unrolled: 1-line block ×5, first 2 shown]
	ds_read2_b64 v[6:9], v80 offset0:24 offset1:28
	v_mfma_f32_16x16x16bf16_1k a[4:7], v[22:23], v[16:17], a[4:7]
	v_mfma_f32_16x16x16bf16_1k a[8:11], v[38:39], v[16:17], a[8:11]
	;; [unrolled: 1-line block ×3, first 2 shown]
	s_waitcnt lgkmcnt(0)
	v_mfma_f32_16x16x16bf16_1k a[0:3], v[4:5], v[6:7], a[0:3]
	v_mfma_f32_16x16x16bf16_1k a[4:7], v[20:21], v[6:7], a[4:7]
	;; [unrolled: 1-line block ×8, first 2 shown]
	s_andn2_b64 exec, exec, s[8:9]
	s_cbranch_execz .LBB132_50
.LBB132_6:                              ; =>This Inner Loop Header: Depth=1
	v_add_co_u32_e32 v2, vcc, s42, v0
	v_addc_co_u32_e32 v3, vcc, v1, v83, vcc
	global_load_dword v18, v[0:1], off
	global_load_dword v19, v[2:3], off
	v_add_u32_e32 v2, s7, v78
	v_ashrrev_i32_e32 v3, 31, v2
	v_lshlrev_b64 v[2:3], 2, v[2:3]
	v_add_u32_e32 v4, s46, v78
	v_add_co_u32_e32 v2, vcc, s0, v2
	v_ashrrev_i32_e32 v5, 31, v4
	v_addc_co_u32_e32 v3, vcc, v81, v3, vcc
	v_lshlrev_b64 v[4:5], 2, v[4:5]
	v_add_u32_e32 v6, s47, v78
	v_add_co_u32_e32 v4, vcc, s0, v4
	v_ashrrev_i32_e32 v7, 31, v6
	v_addc_co_u32_e32 v5, vcc, v81, v5, vcc
	;; [unrolled: 5-line block ×7, first 2 shown]
	v_lshlrev_b64 v[16:17], 2, v[16:17]
	v_add_co_u32_e32 v16, vcc, s0, v16
	v_addc_co_u32_e32 v17, vcc, v81, v17, vcc
	global_load_dword v20, v[2:3], off
	global_load_dword v21, v[4:5], off
	;; [unrolled: 1-line block ×6, first 2 shown]
	s_nop 0
	global_load_dword v14, v[14:15], off
	s_nop 0
	global_load_dword v15, v[16:17], off
	v_add_u32_e32 v2, s53, v78
	v_ashrrev_i32_e32 v3, 31, v2
	v_lshlrev_b64 v[2:3], 2, v[2:3]
	v_add_u32_e32 v4, s54, v78
	v_add_co_u32_e32 v2, vcc, s0, v2
	v_ashrrev_i32_e32 v5, 31, v4
	v_addc_co_u32_e32 v3, vcc, v81, v3, vcc
	v_lshlrev_b64 v[4:5], 2, v[4:5]
	v_add_u32_e32 v6, s55, v78
	v_add_co_u32_e32 v4, vcc, s0, v4
	v_ashrrev_i32_e32 v7, 31, v6
	v_addc_co_u32_e32 v5, vcc, v81, v5, vcc
	;; [unrolled: 5-line block ×5, first 2 shown]
	v_lshlrev_b64 v[12:13], 2, v[12:13]
	v_add_co_u32_e32 v12, vcc, s0, v12
	v_addc_co_u32_e32 v13, vcc, v81, v13, vcc
	global_load_dword v16, v[2:3], off
	global_load_dword v17, v[4:5], off
	s_nop 0
	global_load_dword v6, v[6:7], off
	s_nop 0
	;; [unrolled: 2-line block ×3, first 2 shown]
	global_load_dword v8, v[10:11], off
	global_load_dword v9, v[12:13], off
	v_add_u32_e32 v2, s59, v78
	v_ashrrev_i32_e32 v3, 31, v2
	v_lshlrev_b64 v[2:3], 2, v[2:3]
	v_add_u32_e32 v4, s60, v78
	v_add_co_u32_e32 v2, vcc, s0, v2
	v_ashrrev_i32_e32 v5, 31, v4
	v_addc_co_u32_e32 v3, vcc, v81, v3, vcc
	v_lshlrev_b64 v[4:5], 2, v[4:5]
	s_waitcnt vmcnt(15)
	ds_write_b32 v79, v18
	s_waitcnt vmcnt(14)
	ds_write_b32 v79, v19 offset:264
	s_waitcnt vmcnt(13)
	ds_write_b32 v79, v20 offset:528
	;; [unrolled: 2-line block ×9, first 2 shown]
	v_add_co_u32_e32 v4, vcc, s0, v4
	v_addc_co_u32_e32 v5, vcc, v81, v5, vcc
	global_load_dword v18, v[2:3], off
	global_load_dword v19, v[4:5], off
	v_add_u32_e32 v2, s61, v78
	v_ashrrev_i32_e32 v3, 31, v2
	v_lshlrev_b64 v[2:3], 2, v[2:3]
	v_add_u32_e32 v4, s62, v78
	v_add_co_u32_e32 v2, vcc, s0, v2
	v_ashrrev_i32_e32 v5, 31, v4
	s_waitcnt vmcnt(7)
	ds_write_b32 v79, v16 offset:2640
	s_waitcnt vmcnt(6)
	ds_write_b32 v79, v17 offset:2904
	;; [unrolled: 2-line block ×6, first 2 shown]
	v_addc_co_u32_e32 v3, vcc, v81, v3, vcc
	v_lshlrev_b64 v[4:5], 2, v[4:5]
	v_add_u32_e32 v6, s63, v78
	v_add_co_u32_e32 v4, vcc, s0, v4
	v_ashrrev_i32_e32 v7, 31, v6
	v_addc_co_u32_e32 v5, vcc, v81, v5, vcc
	v_lshlrev_b64 v[6:7], 2, v[6:7]
	v_add_u32_e32 v8, s64, v78
	v_add_co_u32_e32 v6, vcc, s0, v6
	v_ashrrev_i32_e32 v9, 31, v8
	v_addc_co_u32_e32 v7, vcc, v81, v7, vcc
	v_lshlrev_b64 v[8:9], 2, v[8:9]
	v_add_u32_e32 v10, s65, v78
	v_add_co_u32_e32 v8, vcc, s0, v8
	v_ashrrev_i32_e32 v11, 31, v10
	v_addc_co_u32_e32 v9, vcc, v81, v9, vcc
	v_lshlrev_b64 v[10:11], 2, v[10:11]
	v_add_u32_e32 v12, s66, v78
	v_add_co_u32_e32 v10, vcc, s0, v10
	v_ashrrev_i32_e32 v13, 31, v12
	v_addc_co_u32_e32 v11, vcc, v81, v11, vcc
	v_lshlrev_b64 v[12:13], 2, v[12:13]
	v_add_u32_e32 v14, s67, v78
	v_add_co_u32_e32 v12, vcc, s0, v12
	v_ashrrev_i32_e32 v15, 31, v14
	v_addc_co_u32_e32 v13, vcc, v81, v13, vcc
	v_lshlrev_b64 v[14:15], 2, v[14:15]
	v_add_u32_e32 v16, s68, v78
	v_add_co_u32_e32 v14, vcc, s0, v14
	v_ashrrev_i32_e32 v17, 31, v16
	v_addc_co_u32_e32 v15, vcc, v81, v15, vcc
	v_lshlrev_b64 v[16:17], 2, v[16:17]
	v_add_co_u32_e32 v16, vcc, s0, v16
	v_addc_co_u32_e32 v17, vcc, v81, v17, vcc
	global_load_dword v24, v[2:3], off
	global_load_dword v25, v[4:5], off
	global_load_dword v26, v[6:7], off
	global_load_dword v27, v[8:9], off
	global_load_dword v28, v[10:11], off
	global_load_dword v29, v[12:13], off
	global_load_dword v30, v[14:15], off
	global_load_dword v31, v[16:17], off
	v_add_u32_e32 v2, s69, v78
	v_ashrrev_i32_e32 v3, 31, v2
	v_lshlrev_b64 v[2:3], 2, v[2:3]
	v_add_u32_e32 v4, s70, v78
	v_add_co_u32_e32 v2, vcc, s0, v2
	v_ashrrev_i32_e32 v5, 31, v4
	v_addc_co_u32_e32 v3, vcc, v81, v3, vcc
	v_lshlrev_b64 v[4:5], 2, v[4:5]
	v_add_u32_e32 v6, s71, v78
	v_add_co_u32_e32 v4, vcc, s0, v4
	v_ashrrev_i32_e32 v7, 31, v6
	v_addc_co_u32_e32 v5, vcc, v81, v5, vcc
	v_lshlrev_b64 v[6:7], 2, v[6:7]
	v_add_u32_e32 v8, s72, v78
	v_add_co_u32_e32 v6, vcc, s0, v6
	v_ashrrev_i32_e32 v9, 31, v8
	v_addc_co_u32_e32 v7, vcc, v81, v7, vcc
	v_lshlrev_b64 v[8:9], 2, v[8:9]
	v_add_u32_e32 v10, s73, v78
	v_add_co_u32_e32 v8, vcc, s0, v8
	v_ashrrev_i32_e32 v11, 31, v10
	v_addc_co_u32_e32 v9, vcc, v81, v9, vcc
	v_lshlrev_b64 v[10:11], 2, v[10:11]
	v_add_u32_e32 v12, s74, v78
	v_add_co_u32_e32 v10, vcc, s0, v10
	v_ashrrev_i32_e32 v13, 31, v12
	v_addc_co_u32_e32 v11, vcc, v81, v11, vcc
	v_lshlrev_b64 v[12:13], 2, v[12:13]
	v_add_u32_e32 v14, s75, v78
	v_add_co_u32_e32 v12, vcc, s0, v12
	v_ashrrev_i32_e32 v15, 31, v14
	v_addc_co_u32_e32 v13, vcc, v81, v13, vcc
	v_lshlrev_b64 v[14:15], 2, v[14:15]
	v_add_u32_e32 v16, s76, v78
	v_add_co_u32_e32 v14, vcc, s0, v14
	v_ashrrev_i32_e32 v17, 31, v16
	v_addc_co_u32_e32 v15, vcc, v81, v15, vcc
	v_lshlrev_b64 v[16:17], 2, v[16:17]
	v_add_co_u32_e32 v16, vcc, s0, v16
	v_addc_co_u32_e32 v17, vcc, v81, v17, vcc
	global_load_dword v32, v[2:3], off
	global_load_dword v33, v[4:5], off
	global_load_dword v34, v[6:7], off
	global_load_dword v35, v[8:9], off
	global_load_dword v36, v[10:11], off
	global_load_dword v37, v[12:13], off
	global_load_dword v38, v[14:15], off
	global_load_dword v39, v[16:17], off
	v_add_u32_e32 v2, s77, v78
	v_ashrrev_i32_e32 v3, 31, v2
	v_lshlrev_b64 v[2:3], 2, v[2:3]
	v_add_u32_e32 v4, s78, v78
	v_add_co_u32_e32 v2, vcc, s0, v2
	v_ashrrev_i32_e32 v5, 31, v4
	v_addc_co_u32_e32 v3, vcc, v81, v3, vcc
	v_lshlrev_b64 v[4:5], 2, v[4:5]
	v_add_u32_e32 v6, s79, v78
	v_add_co_u32_e32 v4, vcc, s0, v4
	v_ashrrev_i32_e32 v7, 31, v6
	v_addc_co_u32_e32 v5, vcc, v81, v5, vcc
	v_lshlrev_b64 v[6:7], 2, v[6:7]
	v_add_u32_e32 v8, s80, v78
	v_add_co_u32_e32 v6, vcc, s0, v6
	v_ashrrev_i32_e32 v9, 31, v8
	v_addc_co_u32_e32 v7, vcc, v81, v7, vcc
	v_lshlrev_b64 v[8:9], 2, v[8:9]
	v_add_u32_e32 v10, s81, v78
	v_add_co_u32_e32 v8, vcc, s0, v8
	v_ashrrev_i32_e32 v11, 31, v10
	v_addc_co_u32_e32 v9, vcc, v81, v9, vcc
	v_lshlrev_b64 v[10:11], 2, v[10:11]
	v_add_u32_e32 v12, s82, v78
	v_add_co_u32_e32 v10, vcc, s0, v10
	v_ashrrev_i32_e32 v13, 31, v12
	v_addc_co_u32_e32 v11, vcc, v81, v11, vcc
	v_lshlrev_b64 v[12:13], 2, v[12:13]
	v_add_u32_e32 v14, s83, v78
	v_add_co_u32_e32 v12, vcc, s0, v12
	v_ashrrev_i32_e32 v15, 31, v14
	v_addc_co_u32_e32 v13, vcc, v81, v13, vcc
	v_lshlrev_b64 v[14:15], 2, v[14:15]
	v_add_u32_e32 v16, s84, v78
	v_add_co_u32_e32 v14, vcc, s0, v14
	v_ashrrev_i32_e32 v17, 31, v16
	v_addc_co_u32_e32 v15, vcc, v81, v15, vcc
	v_lshlrev_b64 v[16:17], 2, v[16:17]
	v_add_co_u32_e32 v16, vcc, s0, v16
	v_addc_co_u32_e32 v17, vcc, v81, v17, vcc
	global_load_dword v40, v[2:3], off
	global_load_dword v41, v[4:5], off
	global_load_dword v42, v[6:7], off
	global_load_dword v43, v[8:9], off
	global_load_dword v44, v[10:11], off
	global_load_dword v45, v[12:13], off
	global_load_dword v46, v[14:15], off
	global_load_dword v47, v[16:17], off
	v_add_u32_e32 v2, s85, v78
	v_ashrrev_i32_e32 v3, 31, v2
	v_lshlrev_b64 v[2:3], 2, v[2:3]
	v_add_u32_e32 v4, s86, v78
	v_add_co_u32_e32 v2, vcc, s0, v2
	v_ashrrev_i32_e32 v5, 31, v4
	v_addc_co_u32_e32 v3, vcc, v81, v3, vcc
	v_lshlrev_b64 v[4:5], 2, v[4:5]
	v_add_u32_e32 v6, s87, v78
	v_add_co_u32_e32 v4, vcc, s0, v4
	v_ashrrev_i32_e32 v7, 31, v6
	v_addc_co_u32_e32 v5, vcc, v81, v5, vcc
	v_lshlrev_b64 v[6:7], 2, v[6:7]
	v_add_u32_e32 v8, s88, v78
	v_add_co_u32_e32 v6, vcc, s0, v6
	v_ashrrev_i32_e32 v9, 31, v8
	v_addc_co_u32_e32 v7, vcc, v81, v7, vcc
	v_lshlrev_b64 v[8:9], 2, v[8:9]
	v_add_u32_e32 v10, s89, v78
	v_add_co_u32_e32 v8, vcc, s0, v8
	v_ashrrev_i32_e32 v11, 31, v10
	v_addc_co_u32_e32 v9, vcc, v81, v9, vcc
	v_lshlrev_b64 v[10:11], 2, v[10:11]
	v_add_u32_e32 v12, s90, v78
	v_add_co_u32_e32 v10, vcc, s0, v10
	v_ashrrev_i32_e32 v13, 31, v12
	v_addc_co_u32_e32 v11, vcc, v81, v11, vcc
	v_lshlrev_b64 v[12:13], 2, v[12:13]
	v_add_u32_e32 v14, s91, v78
	v_add_co_u32_e32 v12, vcc, s0, v12
	v_ashrrev_i32_e32 v15, 31, v14
	v_addc_co_u32_e32 v13, vcc, v81, v13, vcc
	v_lshlrev_b64 v[14:15], 2, v[14:15]
	v_add_u32_e32 v16, s43, v78
	v_add_co_u32_e32 v14, vcc, s0, v14
	v_ashrrev_i32_e32 v17, 31, v16
	v_addc_co_u32_e32 v15, vcc, v81, v15, vcc
	v_lshlrev_b64 v[16:17], 2, v[16:17]
	v_add_co_u32_e32 v16, vcc, s0, v16
	v_addc_co_u32_e32 v17, vcc, v81, v17, vcc
	global_load_dword v48, v[2:3], off
	global_load_dword v49, v[4:5], off
	global_load_dword v50, v[6:7], off
	global_load_dword v51, v[8:9], off
	global_load_dword v52, v[10:11], off
	global_load_dword v53, v[12:13], off
	global_load_dword v54, v[14:15], off
	global_load_dword v55, v[16:17], off
	v_add_u32_e32 v2, s92, v78
	v_ashrrev_i32_e32 v3, 31, v2
	v_lshlrev_b64 v[2:3], 2, v[2:3]
	v_add_u32_e32 v4, s93, v78
	v_add_co_u32_e32 v2, vcc, s0, v2
	v_ashrrev_i32_e32 v5, 31, v4
	v_addc_co_u32_e32 v3, vcc, v81, v3, vcc
	v_lshlrev_b64 v[4:5], 2, v[4:5]
	v_add_u32_e32 v6, s94, v78
	v_add_co_u32_e32 v4, vcc, s0, v4
	v_ashrrev_i32_e32 v7, 31, v6
	v_addc_co_u32_e32 v5, vcc, v81, v5, vcc
	v_lshlrev_b64 v[6:7], 2, v[6:7]
	v_add_u32_e32 v8, s95, v78
	v_add_co_u32_e32 v6, vcc, s0, v6
	v_ashrrev_i32_e32 v9, 31, v8
	v_addc_co_u32_e32 v7, vcc, v81, v7, vcc
	v_lshlrev_b64 v[8:9], 2, v[8:9]
	v_add_u32_e32 v10, s24, v78
	v_add_co_u32_e32 v8, vcc, s0, v8
	v_ashrrev_i32_e32 v11, 31, v10
	v_addc_co_u32_e32 v9, vcc, v81, v9, vcc
	v_lshlrev_b64 v[10:11], 2, v[10:11]
	v_add_u32_e32 v12, s25, v78
	v_add_co_u32_e32 v10, vcc, s0, v10
	v_ashrrev_i32_e32 v13, 31, v12
	v_addc_co_u32_e32 v11, vcc, v81, v11, vcc
	v_lshlrev_b64 v[12:13], 2, v[12:13]
	v_add_u32_e32 v14, s22, v78
	v_add_co_u32_e32 v12, vcc, s0, v12
	v_ashrrev_i32_e32 v15, 31, v14
	v_addc_co_u32_e32 v13, vcc, v81, v13, vcc
	v_lshlrev_b64 v[14:15], 2, v[14:15]
	v_add_u32_e32 v16, s23, v78
	v_add_co_u32_e32 v14, vcc, s0, v14
	v_ashrrev_i32_e32 v17, 31, v16
	v_addc_co_u32_e32 v15, vcc, v81, v15, vcc
	v_lshlrev_b64 v[16:17], 2, v[16:17]
	v_add_co_u32_e32 v16, vcc, s0, v16
	v_addc_co_u32_e32 v17, vcc, v81, v17, vcc
	global_load_dword v56, v[2:3], off
	global_load_dword v57, v[4:5], off
	global_load_dword v58, v[6:7], off
	global_load_dword v59, v[8:9], off
	global_load_dword v60, v[10:11], off
	global_load_dword v61, v[12:13], off
	global_load_dword v62, v[14:15], off
	global_load_dword v63, v[16:17], off
	v_add_u32_e32 v2, s28, v78
	v_ashrrev_i32_e32 v3, 31, v2
	v_lshlrev_b64 v[2:3], 2, v[2:3]
	v_add_u32_e32 v4, s29, v78
	v_add_co_u32_e32 v2, vcc, s0, v2
	v_ashrrev_i32_e32 v5, 31, v4
	v_addc_co_u32_e32 v3, vcc, v81, v3, vcc
	v_lshlrev_b64 v[4:5], 2, v[4:5]
	v_add_u32_e32 v6, s3, v78
	v_add_co_u32_e32 v4, vcc, s0, v4
	v_ashrrev_i32_e32 v7, 31, v6
	v_addc_co_u32_e32 v5, vcc, v81, v5, vcc
	v_lshlrev_b64 v[6:7], 2, v[6:7]
	v_add_co_u32_e32 v8, vcc, s0, v6
	v_add_u32_e32 v6, s30, v78
	v_addc_co_u32_e32 v9, vcc, v81, v7, vcc
	v_ashrrev_i32_e32 v7, 31, v6
	v_lshlrev_b64 v[6:7], 2, v[6:7]
	v_add_co_u32_e32 v12, vcc, s0, v6
	v_add_u32_e32 v6, s31, v78
	v_addc_co_u32_e32 v13, vcc, v81, v7, vcc
	v_ashrrev_i32_e32 v7, 31, v6
	;; [unrolled: 5-line block ×3, first 2 shown]
	v_lshlrev_b64 v[6:7], 2, v[6:7]
	v_add_co_u32_e32 v22, vcc, s0, v6
	v_addc_co_u32_e32 v23, vcc, v81, v7, vcc
	ds_read_b64 v[16:17], v80
	ds_read_b64 v[14:15], v80 offset:32
	ds_read_b64 v[10:11], v80 offset:64
	;; [unrolled: 1-line block ×3, first 2 shown]
	global_load_dword v64, v[2:3], off
	global_load_dword v65, v[4:5], off
	;; [unrolled: 1-line block ×6, first 2 shown]
	ds_read_b64 v[12:13], v80 offset:128
	ds_read_b64 v[8:9], v80 offset:160
	ds_read_b64 v[4:5], v80 offset:192
	ds_read_b64 v[2:3], v80 offset:224
	s_waitcnt vmcnt(47)
	ds_write_b32 v79, v18
	s_waitcnt vmcnt(46)
	ds_write_b32 v79, v19 offset:264
	s_waitcnt vmcnt(45)
	ds_write_b32 v79, v24 offset:528
	s_waitcnt vmcnt(44)
	ds_write_b32 v79, v25 offset:792
	s_waitcnt vmcnt(43)
	ds_write_b32 v79, v26 offset:1056
	s_waitcnt vmcnt(42)
	ds_write_b32 v79, v27 offset:1320
	s_waitcnt vmcnt(41)
	ds_write_b32 v79, v28 offset:1584
	s_waitcnt vmcnt(40)
	ds_write_b32 v79, v29 offset:1848
	s_waitcnt vmcnt(39)
	ds_write_b32 v79, v30 offset:2112
	s_waitcnt vmcnt(38)
	ds_write_b32 v79, v31 offset:2376
	s_waitcnt vmcnt(37)
	ds_write_b32 v79, v32 offset:2640
	s_waitcnt vmcnt(36)
	ds_write_b32 v79, v33 offset:2904
	s_waitcnt vmcnt(35)
	ds_write_b32 v79, v34 offset:3168
	s_waitcnt vmcnt(34)
	ds_write_b32 v79, v35 offset:3432
	s_waitcnt vmcnt(33)
	ds_write_b32 v79, v36 offset:3696
	s_waitcnt vmcnt(32)
	ds_write_b32 v79, v37 offset:3960
	ds_read_b64 v[34:35], v80
	ds_read_b64 v[30:31], v80 offset:32
	ds_read_b64 v[28:29], v80 offset:64
	ds_read_b64 v[26:27], v80 offset:96
	ds_read_b64 v[24:25], v80 offset:128
	ds_read_b64 v[22:23], v80 offset:160
	ds_read_b64 v[20:21], v80 offset:192
	ds_read_b64 v[18:19], v80 offset:224
	s_waitcnt vmcnt(31)
	ds_write_b32 v79, v38
	s_waitcnt vmcnt(30)
	ds_write_b32 v79, v39 offset:264
	s_waitcnt vmcnt(29)
	ds_write_b32 v79, v40 offset:528
	s_waitcnt vmcnt(28)
	ds_write_b32 v79, v41 offset:792
	s_waitcnt vmcnt(27)
	ds_write_b32 v79, v42 offset:1056
	s_waitcnt vmcnt(26)
	ds_write_b32 v79, v43 offset:1320
	s_waitcnt vmcnt(25)
	ds_write_b32 v79, v44 offset:1584
	s_waitcnt vmcnt(24)
	ds_write_b32 v79, v45 offset:1848
	s_waitcnt vmcnt(23)
	ds_write_b32 v79, v46 offset:2112
	s_waitcnt vmcnt(22)
	ds_write_b32 v79, v47 offset:2376
	s_waitcnt vmcnt(21)
	ds_write_b32 v79, v48 offset:2640
	s_waitcnt vmcnt(20)
	ds_write_b32 v79, v49 offset:2904
	s_waitcnt vmcnt(19)
	ds_write_b32 v79, v50 offset:3168
	s_waitcnt vmcnt(18)
	ds_write_b32 v79, v51 offset:3432
	s_waitcnt vmcnt(17)
	ds_write_b32 v79, v52 offset:3696
	s_waitcnt vmcnt(16)
	ds_write_b32 v79, v53 offset:3960
	ds_read_b64 v[48:49], v80
	ds_read_b64 v[46:47], v80 offset:32
	ds_read_b64 v[44:45], v80 offset:64
	ds_read_b64 v[42:43], v80 offset:96
	;; [unrolled: 40-line block ×3, first 2 shown]
	ds_read_b64 v[60:61], v80 offset:128
	ds_read_b64 v[56:57], v80 offset:160
	;; [unrolled: 1-line block ×4, first 2 shown]
	s_andn2_b64 vcc, exec, s[4:5]
	v_mov_b32_e32 v72, 0
	v_mov_b32_e32 v73, 0
	s_cbranch_vccnz .LBB132_9
; %bb.7:                                ;   in Loop: Header=BB132_6 Depth=1
	s_load_dword s27, s[34:35], 0x0
	v_mov_b32_e32 v73, 0
	v_mov_b32_e32 v72, 0
	s_waitcnt lgkmcnt(0)
	s_mul_hi_u32 s44, s27, s16
	s_add_i32 s44, s27, s44
	s_lshr_b32 s44, s44, s17
	s_cmp_ge_i32 s44, s13
	s_cbranch_scc1 .LBB132_9
; %bb.8:                                ;   in Loop: Header=BB132_6 Depth=1
	s_mul_i32 s45, s44, s18
	s_sub_i32 s27, s27, s45
	s_mul_i32 s44, s44, s20
	s_mul_i32 s27, s27, s1
	v_add_u32_e32 v66, s44, v78
	v_lshl_add_u32 v66, v66, 1, s27
	v_ashrrev_i32_e32 v67, 31, v66
	v_lshlrev_b64 v[66:67], 2, v[66:67]
	v_mov_b32_e32 v68, s11
	v_add_co_u32_e32 v66, vcc, s10, v66
	v_addc_co_u32_e32 v67, vcc, v68, v67, vcc
	global_load_dwordx2 v[72:73], v[66:67], off
.LBB132_9:                              ;   in Loop: Header=BB132_6 Depth=1
	s_andn2_b64 vcc, exec, s[36:37]
	v_mov_b32_e32 v66, 0
	v_mov_b32_e32 v70, 0
	;; [unrolled: 1-line block ×3, first 2 shown]
	s_cbranch_vccnz .LBB132_12
; %bb.10:                               ;   in Loop: Header=BB132_6 Depth=1
	s_load_dword s27, s[34:35], 0x4
	v_mov_b32_e32 v71, 0
	v_mov_b32_e32 v70, 0
	s_waitcnt lgkmcnt(0)
	s_mul_hi_u32 s44, s27, s16
	s_add_i32 s44, s27, s44
	s_lshr_b32 s44, s44, s17
	s_cmp_ge_i32 s44, s13
	s_cbranch_scc1 .LBB132_12
; %bb.11:                               ;   in Loop: Header=BB132_6 Depth=1
	s_mul_i32 s45, s44, s18
	s_sub_i32 s27, s27, s45
	s_mul_i32 s44, s44, s20
	s_mul_i32 s27, s27, s1
	v_add_u32_e32 v67, s44, v78
	v_lshl_add_u32 v68, v67, 1, s27
	v_ashrrev_i32_e32 v69, 31, v68
	v_lshlrev_b64 v[68:69], 2, v[68:69]
	v_mov_b32_e32 v67, s11
	v_add_co_u32_e32 v68, vcc, s10, v68
	v_addc_co_u32_e32 v69, vcc, v67, v69, vcc
	global_load_dwordx2 v[70:71], v[68:69], off
.LBB132_12:                             ;   in Loop: Header=BB132_6 Depth=1
	s_andn2_b64 vcc, exec, s[38:39]
	v_mov_b32_e32 v67, 0
	s_cbranch_vccnz .LBB132_15
; %bb.13:                               ;   in Loop: Header=BB132_6 Depth=1
	s_load_dword s27, s[34:35], 0x8
	v_mov_b32_e32 v67, 0
	v_mov_b32_e32 v66, 0
	s_waitcnt lgkmcnt(0)
	s_mul_hi_u32 s44, s27, s16
	s_add_i32 s44, s27, s44
	s_lshr_b32 s44, s44, s17
	s_cmp_ge_i32 s44, s13
	s_cbranch_scc1 .LBB132_15
; %bb.14:                               ;   in Loop: Header=BB132_6 Depth=1
	s_mul_i32 s45, s44, s18
	s_sub_i32 s27, s27, s45
	s_mul_i32 s44, s44, s20
	s_mul_i32 s27, s27, s1
	v_add_u32_e32 v66, s44, v78
	v_lshl_add_u32 v66, v66, 1, s27
	v_ashrrev_i32_e32 v67, 31, v66
	v_lshlrev_b64 v[66:67], 2, v[66:67]
	v_mov_b32_e32 v68, s11
	v_add_co_u32_e32 v66, vcc, s10, v66
	v_addc_co_u32_e32 v67, vcc, v68, v67, vcc
	global_load_dwordx2 v[66:67], v[66:67], off
.LBB132_15:                             ;   in Loop: Header=BB132_6 Depth=1
	s_andn2_b64 vcc, exec, s[40:41]
	v_mov_b32_e32 v68, 0
	v_mov_b32_e32 v69, 0
	s_cbranch_vccnz .LBB132_18
; %bb.16:                               ;   in Loop: Header=BB132_6 Depth=1
	s_load_dword s27, s[34:35], 0xc
	v_mov_b32_e32 v69, 0
	v_mov_b32_e32 v68, 0
	s_waitcnt lgkmcnt(0)
	s_mul_hi_u32 s44, s27, s16
	s_add_i32 s44, s27, s44
	s_lshr_b32 s44, s44, s17
	s_cmp_ge_i32 s44, s13
	s_cbranch_scc1 .LBB132_18
; %bb.17:                               ;   in Loop: Header=BB132_6 Depth=1
	s_mul_i32 s45, s44, s18
	s_sub_i32 s27, s27, s45
	s_mul_i32 s44, s44, s20
	s_mul_i32 s27, s27, s1
	v_add_u32_e32 v68, s44, v78
	v_lshl_add_u32 v68, v68, 1, s27
	v_ashrrev_i32_e32 v69, 31, v68
	v_lshlrev_b64 v[68:69], 2, v[68:69]
	v_mov_b32_e32 v84, s11
	v_add_co_u32_e32 v68, vcc, s10, v68
	v_addc_co_u32_e32 v69, vcc, v84, v69, vcc
	global_load_dwordx2 v[68:69], v[68:69], off
.LBB132_18:                             ;   in Loop: Header=BB132_6 Depth=1
	s_waitcnt vmcnt(0)
	v_and_b32_e32 v84, 0x7f800000, v72
	v_cmp_ne_u32_e32 vcc, s6, v84
                                        ; implicit-def: $vgpr84
	s_and_saveexec_b64 s[44:45], vcc
	s_xor_b64 s[44:45], exec, s[44:45]
; %bb.19:                               ;   in Loop: Header=BB132_6 Depth=1
	v_bfe_u32 v84, v72, 16, 1
	v_add3_u32 v84, v72, v84, s33
; %bb.20:                               ;   in Loop: Header=BB132_6 Depth=1
	s_andn2_saveexec_b64 s[44:45], s[44:45]
; %bb.21:                               ;   in Loop: Header=BB132_6 Depth=1
	v_or_b32_e32 v84, 0x10000, v72
	v_cmp_eq_u32_sdwa vcc, v72, v82 src0_sel:WORD_0 src1_sel:DWORD
	v_cndmask_b32_e32 v84, v84, v72, vcc
; %bb.22:                               ;   in Loop: Header=BB132_6 Depth=1
	s_or_b64 exec, exec, s[44:45]
	v_and_b32_e32 v72, 0x7f800000, v73
	v_cmp_ne_u32_e32 vcc, s6, v72
                                        ; implicit-def: $vgpr72
	s_and_saveexec_b64 s[44:45], vcc
	s_xor_b64 s[44:45], exec, s[44:45]
; %bb.23:                               ;   in Loop: Header=BB132_6 Depth=1
	v_bfe_u32 v72, v73, 16, 1
	v_add3_u32 v72, v73, v72, s33
                                        ; implicit-def: $vgpr73
; %bb.24:                               ;   in Loop: Header=BB132_6 Depth=1
	s_andn2_saveexec_b64 s[44:45], s[44:45]
; %bb.25:                               ;   in Loop: Header=BB132_6 Depth=1
	v_or_b32_e32 v72, 0x10000, v73
	v_cmp_eq_u32_sdwa vcc, v73, v82 src0_sel:WORD_0 src1_sel:DWORD
	v_cndmask_b32_e32 v72, v72, v73, vcc
; %bb.26:                               ;   in Loop: Header=BB132_6 Depth=1
	s_or_b64 exec, exec, s[44:45]
	v_perm_b32 v72, v72, v84, s26
	ds_write_b32 v79, v72
	v_and_b32_e32 v72, 0x7f800000, v70
	v_cmp_ne_u32_e32 vcc, s6, v72
                                        ; implicit-def: $vgpr72
	s_and_saveexec_b64 s[44:45], vcc
	s_xor_b64 s[44:45], exec, s[44:45]
; %bb.27:                               ;   in Loop: Header=BB132_6 Depth=1
	v_bfe_u32 v72, v70, 16, 1
	v_add3_u32 v72, v70, v72, s33
; %bb.28:                               ;   in Loop: Header=BB132_6 Depth=1
	s_andn2_saveexec_b64 s[44:45], s[44:45]
; %bb.29:                               ;   in Loop: Header=BB132_6 Depth=1
	v_or_b32_e32 v72, 0x10000, v70
	v_cmp_eq_u32_sdwa vcc, v70, v82 src0_sel:WORD_0 src1_sel:DWORD
	v_cndmask_b32_e32 v72, v72, v70, vcc
; %bb.30:                               ;   in Loop: Header=BB132_6 Depth=1
	s_or_b64 exec, exec, s[44:45]
	v_and_b32_e32 v70, 0x7f800000, v71
	v_cmp_ne_u32_e32 vcc, s6, v70
                                        ; implicit-def: $vgpr70
	s_and_saveexec_b64 s[44:45], vcc
	s_xor_b64 s[44:45], exec, s[44:45]
; %bb.31:                               ;   in Loop: Header=BB132_6 Depth=1
	v_bfe_u32 v70, v71, 16, 1
	v_add3_u32 v70, v71, v70, s33
                                        ; implicit-def: $vgpr71
; %bb.32:                               ;   in Loop: Header=BB132_6 Depth=1
	s_andn2_saveexec_b64 s[44:45], s[44:45]
; %bb.33:                               ;   in Loop: Header=BB132_6 Depth=1
	v_or_b32_e32 v70, 0x10000, v71
	v_cmp_eq_u32_sdwa vcc, v71, v82 src0_sel:WORD_0 src1_sel:DWORD
	v_cndmask_b32_e32 v70, v70, v71, vcc
; %bb.34:                               ;   in Loop: Header=BB132_6 Depth=1
	s_or_b64 exec, exec, s[44:45]
	v_perm_b32 v70, v70, v72, s26
	ds_write_b32 v79, v70 offset:264
	v_and_b32_e32 v70, 0x7f800000, v66
	v_cmp_ne_u32_e32 vcc, s6, v70
                                        ; implicit-def: $vgpr70
	s_and_saveexec_b64 s[44:45], vcc
	s_xor_b64 s[44:45], exec, s[44:45]
; %bb.35:                               ;   in Loop: Header=BB132_6 Depth=1
	v_bfe_u32 v70, v66, 16, 1
	v_add3_u32 v70, v66, v70, s33
; %bb.36:                               ;   in Loop: Header=BB132_6 Depth=1
	s_andn2_saveexec_b64 s[44:45], s[44:45]
; %bb.37:                               ;   in Loop: Header=BB132_6 Depth=1
	v_or_b32_e32 v70, 0x10000, v66
	v_cmp_eq_u32_sdwa vcc, v66, v82 src0_sel:WORD_0 src1_sel:DWORD
	v_cndmask_b32_e32 v70, v70, v66, vcc
; %bb.38:                               ;   in Loop: Header=BB132_6 Depth=1
	s_or_b64 exec, exec, s[44:45]
	v_and_b32_e32 v66, 0x7f800000, v67
	v_cmp_ne_u32_e32 vcc, s6, v66
                                        ; implicit-def: $vgpr66
	s_and_saveexec_b64 s[44:45], vcc
	s_xor_b64 s[44:45], exec, s[44:45]
; %bb.39:                               ;   in Loop: Header=BB132_6 Depth=1
	v_bfe_u32 v66, v67, 16, 1
	v_add3_u32 v66, v67, v66, s33
                                        ; implicit-def: $vgpr67
; %bb.40:                               ;   in Loop: Header=BB132_6 Depth=1
	s_andn2_saveexec_b64 s[44:45], s[44:45]
; %bb.41:                               ;   in Loop: Header=BB132_6 Depth=1
	v_or_b32_e32 v66, 0x10000, v67
	v_cmp_eq_u32_sdwa vcc, v67, v82 src0_sel:WORD_0 src1_sel:DWORD
	v_cndmask_b32_e32 v66, v66, v67, vcc
; %bb.42:                               ;   in Loop: Header=BB132_6 Depth=1
	s_or_b64 exec, exec, s[44:45]
	v_perm_b32 v66, v66, v70, s26
	ds_write_b32 v79, v66 offset:528
	v_and_b32_e32 v66, 0x7f800000, v68
	v_cmp_ne_u32_e32 vcc, s6, v66
                                        ; implicit-def: $vgpr66
	s_and_saveexec_b64 s[44:45], vcc
	s_xor_b64 s[44:45], exec, s[44:45]
; %bb.43:                               ;   in Loop: Header=BB132_6 Depth=1
	v_bfe_u32 v66, v68, 16, 1
	v_add3_u32 v66, v68, v66, s33
; %bb.44:                               ;   in Loop: Header=BB132_6 Depth=1
	s_andn2_saveexec_b64 s[44:45], s[44:45]
; %bb.45:                               ;   in Loop: Header=BB132_6 Depth=1
	v_or_b32_e32 v66, 0x10000, v68
	v_cmp_eq_u32_sdwa vcc, v68, v82 src0_sel:WORD_0 src1_sel:DWORD
	v_cndmask_b32_e32 v66, v66, v68, vcc
; %bb.46:                               ;   in Loop: Header=BB132_6 Depth=1
	s_or_b64 exec, exec, s[44:45]
	v_and_b32_e32 v67, 0x7f800000, v69
	v_cmp_ne_u32_e32 vcc, s6, v67
                                        ; implicit-def: $vgpr67
	s_and_saveexec_b64 s[44:45], vcc
	s_xor_b64 s[44:45], exec, s[44:45]
; %bb.47:                               ;   in Loop: Header=BB132_6 Depth=1
	v_bfe_u32 v67, v69, 16, 1
	v_add3_u32 v67, v69, v67, s33
                                        ; implicit-def: $vgpr69
; %bb.48:                               ;   in Loop: Header=BB132_6 Depth=1
	s_andn2_saveexec_b64 s[44:45], s[44:45]
	s_cbranch_execz .LBB132_5
; %bb.49:                               ;   in Loop: Header=BB132_6 Depth=1
	v_or_b32_e32 v67, 0x10000, v69
	v_cmp_eq_u32_sdwa vcc, v69, v82 src0_sel:WORD_0 src1_sel:DWORD
	v_cndmask_b32_e32 v67, v67, v69, vcc
	s_branch .LBB132_5
.LBB132_50:
	s_or_b64 exec, exec, s[8:9]
	v_readlane_b32 s24, v85, 6
	v_readlane_b32 s26, v85, 9
	v_readlane_b32 s25, v85, 7
	v_readlane_b32 s27, v85, 10
	v_readlane_b32 s22, v85, 8
	v_readlane_b32 s28, v85, 13
	v_readlane_b32 s30, v85, 11
	v_readlane_b32 s31, v85, 12
.LBB132_51:
	v_readlane_b32 s0, v85, 4
	v_readlane_b32 s1, v85, 5
	s_or_b64 exec, exec, s[0:1]
	v_mul_u32_u24_e32 v0, 0x408, v77
	v_lshlrev_b32_e32 v1, 2, v76
	v_or_b32_e32 v2, 12, v74
	v_add3_u32 v0, 0, v0, v1
	v_and_b32_e32 v1, 0x3f0, v74
	v_and_b32_e32 v2, 0x3fc, v2
	v_add_u32_e32 v1, v0, v1
	v_add_u32_e32 v0, v0, v2
	v_cmp_gt_u32_e32 vcc, 4, v75
	s_barrier
	ds_write2_b32 v1, a0, a1 offset1:1
	ds_write_b32 v1, a2 offset:8
	ds_write_b32 v0, a3
	ds_write2_b32 v1, a4, a5 offset0:16 offset1:17
	ds_write_b32 v1, a6 offset:72
	ds_write_b32 v0, a7 offset:64
	ds_write2_b32 v1, a8, a9 offset0:32 offset1:33
	ds_write_b32 v1, a10 offset:136
	ds_write_b32 v0, a11 offset:128
	;; [unrolled: 3-line block ×3, first 2 shown]
	s_waitcnt lgkmcnt(0)
	s_barrier
	s_and_saveexec_b64 s[0:1], vcc
	s_cbranch_execz .LBB132_55
; %bb.52:
	v_add_u32_e32 v0, s30, v75
	s_cmp_gt_i32 s14, 0
	v_cmp_gt_i32_e32 vcc, s28, v0
	s_cselect_b64 s[0:1], -1, 0
	s_and_b64 s[0:1], s[0:1], vcc
	s_and_b64 exec, exec, s[0:1]
	s_cbranch_execz .LBB132_55
; %bb.53:
	s_lshl_b64 s[0:1], s[26:27], 2
	v_readlane_b32 s4, v85, 0
	v_readlane_b32 s5, v85, 1
	s_add_u32 s0, s4, s0
	v_ashrrev_i32_e32 v1, 31, v0
	s_addc_u32 s1, s5, s1
	v_lshlrev_b64 v[0:1], 2, v[0:1]
	v_mov_b32_e32 v2, s1
	v_add_co_u32_e32 v0, vcc, s0, v0
	v_addc_co_u32_e32 v1, vcc, v2, v1, vcc
	global_load_dword v1, v[0:1], off
	s_waitcnt vmcnt(0)
	v_mul_hi_u32 v0, v1, s19
	v_add_u32_e32 v0, v1, v0
	v_lshrrev_b32_e32 v0, s24, v0
	v_cmp_gt_i32_e32 vcc, s13, v0
	s_and_b64 exec, exec, vcc
	s_cbranch_execz .LBB132_55
; %bb.54:
	v_mul_u32_u24_e32 v2, 0x408, v75
	v_lshlrev_b32_e32 v3, 2, v74
	v_add3_u32 v4, 0, v2, v3
	ds_read2st64_b32 v[2:3], v4 offset1:1
	ds_read2st64_b32 v[4:5], v4 offset0:2 offset1:3
	v_mul_lo_u32 v6, v0, s25
	v_sub_u32_e32 v1, v1, v6
	v_mul_lo_u32 v1, v1, s2
	s_waitcnt lgkmcnt(1)
	v_add_f32_e32 v2, 0, v2
	v_add_f32_e32 v2, v2, v3
	v_mul_lo_u32 v0, v0, s21
	v_add_u32_e32 v3, s22, v74
	v_add3_u32 v0, v3, v0, v1
	v_mov_b32_e32 v1, 0
	v_readlane_b32 s0, v85, 2
	v_lshlrev_b64 v[0:1], 2, v[0:1]
	v_readlane_b32 s1, v85, 3
	s_waitcnt lgkmcnt(0)
	v_add_f32_e32 v2, v2, v4
	v_mov_b32_e32 v3, s1
	v_add_co_u32_e32 v0, vcc, s0, v0
	v_add_f32_e32 v2, v2, v5
	v_addc_co_u32_e32 v1, vcc, v3, v1, vcc
	global_store_dword v[0:1], v2, off
.LBB132_55:
	s_endpgm
	.section	.rodata,"a",@progbits
	.p2align	6, 0x0
	.amdhsa_kernel _ZL13mul_mat_f_idsI15__hip_bfloat162Li64ELi4ELi4EEvPKT_PKfPKiS7_S7_Pfiiiiiiiiiiiiii15HIP_vector_typeIjLj3EESA_
		.amdhsa_group_segment_fixed_size 0
		.amdhsa_private_segment_fixed_size 0
		.amdhsa_kernarg_size 128
		.amdhsa_user_sgpr_count 6
		.amdhsa_user_sgpr_private_segment_buffer 1
		.amdhsa_user_sgpr_dispatch_ptr 0
		.amdhsa_user_sgpr_queue_ptr 0
		.amdhsa_user_sgpr_kernarg_segment_ptr 1
		.amdhsa_user_sgpr_dispatch_id 0
		.amdhsa_user_sgpr_flat_scratch_init 0
		.amdhsa_user_sgpr_kernarg_preload_length 0
		.amdhsa_user_sgpr_kernarg_preload_offset 0
		.amdhsa_user_sgpr_private_segment_size 0
		.amdhsa_uses_dynamic_stack 0
		.amdhsa_system_sgpr_private_segment_wavefront_offset 0
		.amdhsa_system_sgpr_workgroup_id_x 1
		.amdhsa_system_sgpr_workgroup_id_y 1
		.amdhsa_system_sgpr_workgroup_id_z 1
		.amdhsa_system_sgpr_workgroup_info 0
		.amdhsa_system_vgpr_workitem_id 1
		.amdhsa_next_free_vgpr 104
		.amdhsa_next_free_sgpr 96
		.amdhsa_accum_offset 88
		.amdhsa_reserve_vcc 1
		.amdhsa_reserve_flat_scratch 0
		.amdhsa_float_round_mode_32 0
		.amdhsa_float_round_mode_16_64 0
		.amdhsa_float_denorm_mode_32 3
		.amdhsa_float_denorm_mode_16_64 3
		.amdhsa_dx10_clamp 1
		.amdhsa_ieee_mode 1
		.amdhsa_fp16_overflow 0
		.amdhsa_tg_split 0
		.amdhsa_exception_fp_ieee_invalid_op 0
		.amdhsa_exception_fp_denorm_src 0
		.amdhsa_exception_fp_ieee_div_zero 0
		.amdhsa_exception_fp_ieee_overflow 0
		.amdhsa_exception_fp_ieee_underflow 0
		.amdhsa_exception_fp_ieee_inexact 0
		.amdhsa_exception_int_div_zero 0
	.end_amdhsa_kernel
	.section	.text._ZL13mul_mat_f_idsI15__hip_bfloat162Li64ELi4ELi4EEvPKT_PKfPKiS7_S7_Pfiiiiiiiiiiiiii15HIP_vector_typeIjLj3EESA_,"axG",@progbits,_ZL13mul_mat_f_idsI15__hip_bfloat162Li64ELi4ELi4EEvPKT_PKfPKiS7_S7_Pfiiiiiiiiiiiiii15HIP_vector_typeIjLj3EESA_,comdat
.Lfunc_end132:
	.size	_ZL13mul_mat_f_idsI15__hip_bfloat162Li64ELi4ELi4EEvPKT_PKfPKiS7_S7_Pfiiiiiiiiiiiiii15HIP_vector_typeIjLj3EESA_, .Lfunc_end132-_ZL13mul_mat_f_idsI15__hip_bfloat162Li64ELi4ELi4EEvPKT_PKfPKiS7_S7_Pfiiiiiiiiiiiiii15HIP_vector_typeIjLj3EESA_
                                        ; -- End function
	.section	.AMDGPU.csdata,"",@progbits
; Kernel info:
; codeLenInByte = 6172
; NumSgprs: 100
; NumVgprs: 86
; NumAgprs: 16
; TotalNumVgprs: 104
; ScratchSize: 0
; MemoryBound: 0
; FloatMode: 240
; IeeeMode: 1
; LDSByteSize: 0 bytes/workgroup (compile time only)
; SGPRBlocks: 12
; VGPRBlocks: 12
; NumSGPRsForWavesPerEU: 100
; NumVGPRsForWavesPerEU: 104
; AccumOffset: 88
; Occupancy: 4
; WaveLimiterHint : 1
; COMPUTE_PGM_RSRC2:SCRATCH_EN: 0
; COMPUTE_PGM_RSRC2:USER_SGPR: 6
; COMPUTE_PGM_RSRC2:TRAP_HANDLER: 0
; COMPUTE_PGM_RSRC2:TGID_X_EN: 1
; COMPUTE_PGM_RSRC2:TGID_Y_EN: 1
; COMPUTE_PGM_RSRC2:TGID_Z_EN: 1
; COMPUTE_PGM_RSRC2:TIDIG_COMP_CNT: 1
; COMPUTE_PGM_RSRC3_GFX90A:ACCUM_OFFSET: 21
; COMPUTE_PGM_RSRC3_GFX90A:TG_SPLIT: 0
	.section	.text._ZL9mul_mat_fI15__hip_bfloat162Li64ELi4ELi4ELb1EEvPKT_PKfPKiPfiiiiiiiiiiiiiiii,"axG",@progbits,_ZL9mul_mat_fI15__hip_bfloat162Li64ELi4ELi4ELb1EEvPKT_PKfPKiPfiiiiiiiiiiiiiiii,comdat
	.globl	_ZL9mul_mat_fI15__hip_bfloat162Li64ELi4ELi4ELb1EEvPKT_PKfPKiPfiiiiiiiiiiiiiiii ; -- Begin function _ZL9mul_mat_fI15__hip_bfloat162Li64ELi4ELi4ELb1EEvPKT_PKfPKiPfiiiiiiiiiiiiiiii
	.p2align	8
	.type	_ZL9mul_mat_fI15__hip_bfloat162Li64ELi4ELi4ELb1EEvPKT_PKfPKiPfiiiiiiiiiiiiiiii,@function
_ZL9mul_mat_fI15__hip_bfloat162Li64ELi4ELi4ELb1EEvPKT_PKfPKiPfiiiiiiiiiiiiiiii: ; @_ZL9mul_mat_fI15__hip_bfloat162Li64ELi4ELi4ELb1EEvPKT_PKfPKiPfiiiiiiiiiiiiiiii
; %bb.0:
	s_load_dwordx8 s[12:19], s[4:5], 0x20
	v_bfe_u32 v17, v0, 10, 10
	v_and_b32_e32 v16, 0x3ff, v0
	v_cmp_eq_u32_e32 vcc, 0, v16
	v_mul_i32_i24_e32 v87, 0xffffef84, v17
	s_waitcnt lgkmcnt(0)
	s_add_i32 s0, s13, 3
	s_ashr_i32 s1, s0, 31
	s_lshr_b32 s1, s1, 30
	s_add_i32 s0, s0, s1
	s_ashr_i32 s0, s0, 2
	v_cvt_f32_u32_e32 v1, s0
	s_load_dwordx8 s[20:27], s[4:5], 0x44
	s_load_dword s1, s[4:5], 0x64
	s_sub_i32 s2, 0, s0
	s_add_u32 s10, s4, 0x60
	v_rcp_iflag_f32_e32 v1, v1
	s_addc_u32 s11, s5, 0
	v_mul_f32_e32 v1, 0x4f7ffffe, v1
	v_cvt_u32_f32_e32 v1, v1
	v_readfirstlane_b32 s3, v1
	s_mul_i32 s2, s2, s3
	s_mul_hi_u32 s2, s3, s2
	s_add_i32 s3, s3, s2
	s_waitcnt lgkmcnt(0)
	s_mul_hi_u32 s2, s1, s3
	s_mul_i32 s3, s2, s0
	s_sub_i32 s1, s1, s3
	s_add_i32 s9, s2, 1
	s_sub_i32 s3, s1, s0
	s_cmp_ge_u32 s1, s0
	s_cselect_b32 s2, s9, s2
	s_cselect_b32 s1, s3, s1
	s_add_i32 s3, s2, 1
	s_cmp_ge_u32 s1, s0
	s_cselect_b32 s9, s3, s2
	s_abs_i32 s2, s23
	v_cvt_f32_u32_e32 v1, s9
	v_cvt_f32_u32_e32 v2, s2
	s_sub_i32 s0, 0, s9
	s_sub_i32 s1, 0, s2
	v_rcp_iflag_f32_e32 v1, v1
	v_rcp_iflag_f32_e32 v2, v2
	s_abs_i32 s3, s8
	v_mul_f32_e32 v1, 0x4f7ffffe, v1
	v_mul_f32_e32 v2, 0x4f7ffffe, v2
	v_cvt_u32_f32_e32 v1, v1
	v_cvt_u32_f32_e32 v2, v2
	v_readfirstlane_b32 s27, v1
	v_readfirstlane_b32 s28, v2
	s_mul_i32 s0, s0, s27
	s_mul_i32 s1, s1, s28
	s_mul_hi_u32 s0, s27, s0
	s_mul_hi_u32 s1, s28, s1
	s_add_i32 s27, s27, s0
	s_movk_i32 s0, 0x1080
	v_mov_b32_e32 v1, 0x100
	s_mul_hi_u32 s33, s7, s27
	s_add_i32 s27, s28, s1
	v_mad_u32_u24 v86, v17, s0, v1
	s_and_saveexec_b64 s[0:1], vcc
	s_cbranch_execz .LBB133_2
; %bb.1:
	v_add_u32_e32 v1, v86, v87
	v_mov_b32_e32 v2, -1
	ds_write_b32 v1, v2
.LBB133_2:
	s_or_b64 exec, exec, s[0:1]
	s_mul_i32 s0, s33, s9
	s_sub_i32 s0, s7, s0
	s_add_i32 s1, s33, 1
	s_sub_i32 s34, s0, s9
	s_cmp_ge_u32 s0, s9
	s_cselect_b32 s1, s1, s33
	s_cselect_b32 s0, s34, s0
	s_add_i32 s33, s1, 1
	s_cmp_ge_u32 s0, s9
	s_load_dwordx4 s[28:31], s[4:5], 0x0
	s_load_dwordx2 s[36:37], s[4:5], 0x18
	s_cselect_b32 s0, s33, s1
	s_mul_i32 s1, s0, s9
	s_lshl_b32 s9, s0, 2
	v_add_u32_e32 v88, s9, v17
	s_sub_i32 s7, s7, s1
	v_cmp_gt_i32_e32 vcc, s13, v88
	v_cmp_gt_i32_e64 s[0:1], s14, v16
	s_mul_hi_u32 s27, s3, s27
	s_and_b64 s[0:1], vcc, s[0:1]
	v_mov_b32_e32 v1, 0
	s_and_saveexec_b64 s[34:35], s[0:1]
	s_cbranch_execz .LBB133_8
; %bb.3:
	s_load_dwordx2 s[0:1], s[4:5], 0x10
	s_mul_hi_i32 s5, s9, s19
	s_mul_i32 s4, s9, s19
	v_mul_lo_u32 v2, v17, s19
	s_lshl_b64 s[4:5], s[4:5], 2
	s_waitcnt lgkmcnt(0)
	s_add_u32 s0, s0, s4
	v_ashrrev_i32_e32 v3, 31, v2
	s_addc_u32 s1, s1, s5
	v_lshlrev_b64 v[2:3], 2, v[2:3]
	v_mov_b32_e32 v4, s1
	v_add_co_u32_e32 v1, vcc, s0, v2
	v_addc_co_u32_e32 v4, vcc, v4, v3, vcc
	v_mul_lo_u32 v2, v16, s18
	s_lshl_b32 s33, s18, 6
	s_mov_b64 s[4:5], 0
	v_mov_b32_e32 v5, 0
	v_add_u32_e32 v6, v86, v87
	v_mov_b32_e32 v7, v16
	s_branch .LBB133_5
.LBB133_4:                              ;   in Loop: Header=BB133_5 Depth=1
	s_or_b64 exec, exec, s[18:19]
	v_add_u32_e32 v7, 64, v7
	v_cmp_le_i32_e64 s[0:1], s14, v7
	s_xor_b64 s[18:19], vcc, -1
	s_or_b64 s[0:1], s[18:19], s[0:1]
	s_and_b64 s[0:1], exec, s[0:1]
	s_or_b64 s[4:5], s[0:1], s[4:5]
	v_add_u32_e32 v2, s33, v2
	s_andn2_b64 exec, exec, s[4:5]
	s_cbranch_execz .LBB133_7
.LBB133_5:                              ; =>This Inner Loop Header: Depth=1
	v_ashrrev_i32_e32 v3, 31, v2
	v_lshlrev_b64 v[8:9], 2, v[2:3]
	v_add_co_u32_e32 v8, vcc, v1, v8
	v_addc_co_u32_e32 v9, vcc, v4, v9, vcc
	global_load_dword v3, v[8:9], off
	s_waitcnt vmcnt(0)
	v_cmp_ne_u32_e32 vcc, s7, v3
	v_cmp_eq_u32_e64 s[0:1], s7, v3
	s_and_saveexec_b64 s[18:19], s[0:1]
	s_cbranch_execz .LBB133_4
; %bb.6:                                ;   in Loop: Header=BB133_5 Depth=1
	v_mov_b32_e32 v5, 1
	ds_write_b32 v6, v7
	s_branch .LBB133_4
.LBB133_7:
	s_or_b64 exec, exec, s[4:5]
	v_cmp_ne_u32_e32 vcc, 0, v5
	v_cndmask_b32_e64 v1, 0, 1, vcc
.LBB133_8:
	s_or_b64 exec, exec, s[34:35]
	s_load_dwordx2 s[0:1], s[10:11], 0xc
	v_or_b32_dpp v1, v1, v1 row_shl:1 row_mask:0xf bank_mask:0xf bound_ctrl:1
	s_ashr_i32 s4, s8, 31
	s_ashr_i32 s5, s23, 31
	v_or_b32_dpp v1, v1, v1 row_shl:2 row_mask:0xf bank_mask:0xf bound_ctrl:1
	s_waitcnt lgkmcnt(0)
	s_and_b32 s10, s1, 0xffff
	s_lshr_b32 s1, s0, 16
	s_and_b32 s0, s0, 0xffff
	s_mul_i32 s11, s1, s0
	v_or_b32_dpp v1, v1, v1 row_shl:4 row_mask:0xf bank_mask:0xf bound_ctrl:1
	s_bfe_i32 s11, s11, 0x180000
	s_mul_i32 s10, s11, s10
	v_or_b32_dpp v1, v1, v1 row_shl:8 row_mask:0xf bank_mask:0xf bound_ctrl:1
	s_add_i32 s11, s10, 63
	s_bitcmp1_b32 exec_hi, 0
	v_mov_b32_dpp v2, v1 wave_shl:1 row_mask:0xf bank_mask:0xf bound_ctrl:1
	s_nop 1
	v_or_b32_dpp v1, v2, v1 row_mirror row_mask:0xf bank_mask:0xf bound_ctrl:1
	v_readlane_b32 s10, v1, 32
	s_cselect_b32 s10, s10, 0
	v_readlane_b32 s14, v1, 0
	s_or_b32 s10, s10, s14
	s_andn2_b32 s11, s11, 63
	s_cmp_lg_u32 s11, 64
	v_mov_b32_e32 v1, s10
	s_cbranch_scc0 .LBB133_15
; %bb.9:
	v_bfe_u32 v0, v0, 20, 10
	v_mbcnt_lo_u32_b32 v1, -1, 0
	v_mad_u32_u24 v0, v0, s1, v17
	v_mbcnt_hi_u32_b32 v2, -1, v1
	v_mad_u64_u32 v[0:1], s[0:1], v0, s0, v[16:17]
	v_lshrrev_b32_e32 v1, 6, v0
	v_or_b32_e32 v1, v2, v1
	v_cmp_eq_u32_e32 vcc, 0, v1
	s_and_saveexec_b64 s[0:1], vcc
	s_cbranch_execz .LBB133_11
; %bb.10:
	v_mov_b32_e32 v1, 0
	v_mov_b32_e32 v3, s10
	ds_write_b32 v1, v3
.LBB133_11:
	s_or_b64 exec, exec, s[0:1]
	v_cmp_eq_u32_e32 vcc, 0, v2
	v_cmp_lt_u32_e64 s[0:1], 63, v0
	s_and_b64 s[18:19], s[0:1], vcc
	s_waitcnt lgkmcnt(0)
	s_barrier
	s_and_saveexec_b64 s[0:1], s[18:19]
	s_cbranch_execz .LBB133_14
; %bb.12:
	v_mbcnt_lo_u32_b32 v0, exec_lo, 0
	v_mbcnt_hi_u32_b32 v0, exec_hi, v0
	v_cmp_eq_u32_e32 vcc, 0, v0
	s_and_b64 exec, exec, vcc
	s_cbranch_execz .LBB133_14
; %bb.13:
	v_mov_b32_e32 v0, 0
	v_mov_b32_e32 v1, s10
	ds_or_b32 v0, v1
.LBB133_14:
	s_or_b64 exec, exec, s[0:1]
	v_mov_b32_e32 v0, 0
	s_waitcnt lgkmcnt(0)
	s_barrier
	ds_read_b32 v1, v0
	s_waitcnt lgkmcnt(0)
	s_barrier
.LBB133_15:
	v_cmp_ne_u32_e32 vcc, 0, v1
	s_cbranch_vccz .LBB133_70
; %bb.16:
	v_lshlrev_b32_e32 v89, 6, v17
	v_add_u32_e32 v91, v89, v16
	v_cmp_le_i32_e32 vcc, s12, v91
	v_and_b32_e32 v90, 15, v16
                                        ; implicit-def: $sgpr10
	s_and_saveexec_b64 s[0:1], vcc
	s_xor_b64 s[0:1], exec, s[0:1]
; %bb.17:
	v_and_b32_e32 v90, 15, v16
	s_mov_b32 s10, 0
                                        ; implicit-def: $vgpr91
; %bb.18:
	s_or_saveexec_b64 s[0:1], s[0:1]
	s_lshl_b32 s23, s6, 6
	v_accvgpr_write_b32 a8, s10
	v_accvgpr_write_b32 a9, s10
	;; [unrolled: 1-line block ×16, first 2 shown]
	s_xor_b64 exec, exec, s[0:1]
	s_cbranch_execz .LBB133_66
; %bb.19:
	s_xor_b32 s4, s4, s5
	s_mul_i32 s5, s27, s2
	s_sub_i32 s3, s3, s5
	s_add_i32 s5, s27, 1
	s_sub_i32 s6, s3, s2
	s_cmp_ge_u32 s3, s2
	s_cselect_b32 s5, s5, s27
	s_cselect_b32 s3, s6, s3
	s_add_i32 s6, s5, 1
	s_cmp_ge_u32 s3, s2
	s_cselect_b32 s2, s6, s5
	s_xor_b32 s2, s2, s4
	s_sub_i32 s2, s2, s4
	s_mul_hi_i32 s3, s2, s24
	s_mul_i32 s2, s2, s24
	s_mul_i32 s4, s7, s20
	s_ashr_i32 s5, s4, 31
	s_lshl_b64 s[2:3], s[2:3], 2
	s_add_u32 s7, s28, s2
	s_addc_u32 s10, s29, s3
	s_lshl_b64 s[34:35], s[4:5], 2
                                        ; implicit-def: $vgpr105 : SGPR spill to VGPR lane
	s_mul_i32 s6, s23, s15
	s_add_u32 s14, s7, s34
	v_writelane_b32 v105, s36, 0
	s_addc_u32 s18, s10, s35
	s_mul_hi_i32 s11, s16, s9
	s_mul_i32 s10, s16, s9
	s_ashr_i32 s7, s6, 31
	v_writelane_b32 v105, s37, 1
	s_lshl_b64 s[10:11], s[10:11], 3
	s_lshl_b64 s[36:37], s[6:7], 2
	s_mul_hi_i32 s5, s25, s8
	s_mul_i32 s4, s25, s8
	s_add_u32 s20, s14, s36
	s_addc_u32 s14, s18, s37
	s_lshl_b64 s[4:5], s[4:5], 2
	s_add_u32 s4, s30, s4
	s_addc_u32 s5, s31, s5
	s_add_u32 s27, s4, s10
	s_addc_u32 s30, s5, s11
	s_cmp_lt_i32 s9, s13
	s_cselect_b64 s[4:5], -1, 0
	s_or_b32 s6, s9, 1
	s_cmp_lt_i32 s6, s13
	s_cselect_b64 s[6:7], -1, 0
	s_or_b32 s10, s9, 2
	s_cmp_lt_i32 s10, s13
	s_cselect_b64 s[10:11], -1, 0
	s_lshl_b32 s31, s16, 2
	s_or_b32 s18, s9, 3
	s_cmp_lt_i32 s18, s13
	s_cselect_b64 s[18:19], -1, 0
	s_ashr_i32 s25, s15, 31
	s_mov_b32 s24, s15
	s_lshl_b64 s[24:25], s[24:25], 2
	s_add_u32 s2, s2, s36
	s_addc_u32 s3, s3, s37
	v_lshrrev_b32_e32 v1, 1, v16
	s_add_u32 s2, s2, s34
	v_mul_u32_u24_e32 v0, 0x108, v90
	v_and_b32_e32 v1, 0x1f8, v1
	s_addc_u32 s3, s3, s35
	v_add3_u32 v93, v86, v0, v1
	v_lshlrev_b32_e32 v0, 1, v16
	s_add_u32 s2, s28, s2
	v_lshl_add_u32 v94, v17, 7, v0
	v_lshlrev_b32_e32 v0, 2, v91
	s_addc_u32 s3, s29, s3
	v_mov_b32_e32 v1, s3
	v_add_co_u32_e32 v18, vcc, s2, v0
	v_lshl_add_u32 v92, v16, 2, v86
	v_addc_co_u32_e32 v19, vcc, 0, v1, vcc
	s_mul_i32 s33, s16, 6
	s_lshl_b32 s16, s16, 1
	s_lshl_b32 s34, s15, 1
	s_mul_i32 s35, s15, 3
	s_lshl_b32 s36, s15, 2
	s_mul_i32 s37, s15, 5
	s_mul_i32 s38, s15, 6
	s_mul_i32 s39, s15, 7
	s_lshl_b32 s40, s15, 3
	s_mul_i32 s41, s15, 9
	s_mul_i32 s42, s15, 10
	;; [unrolled: 1-line block ×7, first 2 shown]
	s_lshl_b32 s48, s15, 4
	s_mul_i32 s49, s15, 17
	s_mul_i32 s50, s15, 18
	;; [unrolled: 1-line block ×15, first 2 shown]
	s_lshl_b32 s64, s15, 5
	s_mul_i32 s65, s15, 33
	s_mul_i32 s66, s15, 34
	;; [unrolled: 1-line block ×11, first 2 shown]
	v_mov_b32_e32 v95, s14
	s_mul_i32 s76, s15, 44
	v_mov_b32_e32 v96, 0
	v_accvgpr_write_b32 a15, 0
	v_accvgpr_write_b32 a14, 0
	;; [unrolled: 1-line block ×16, first 2 shown]
	v_mov_b32_e32 v97, s25
	v_mov_b32_e32 v98, 0x100
	s_mul_i32 s25, s15, 45
	s_mul_i32 s77, s15, 46
	;; [unrolled: 1-line block ×19, first 2 shown]
	s_mov_b32 s95, 0x7f800000
	s_movk_i32 s2, 0x7fff
	s_mov_b32 s3, 0x7060302
	s_mov_b64 s[14:15], 0
	s_branch .LBB133_21
.LBB133_20:                             ;   in Loop: Header=BB133_21 Depth=1
	s_or_b64 exec, exec, s[28:29]
	v_perm_b32 v84, v84, v99, s3
	v_add_u32_e32 v85, 0x200, v92
	ds_write2_b32 v85, v84, v96 offset0:86 offset1:152
	v_add_u32_e32 v84, 0x400, v92
	ds_write2_b32 v84, v96, v96 offset0:90 offset1:156
	;; [unrolled: 2-line block ×6, first 2 shown]
	ds_write_b32 v92, v96 offset:4024
	ds_read2_b64 v[100:103], v93 offset0:8 offset1:12
	v_accvgpr_write_b32 a0, v0
	v_accvgpr_write_b32 a4, v4
	;; [unrolled: 1-line block ×16, first 2 shown]
	s_waitcnt lgkmcnt(0)
	v_mfma_f32_16x16x16bf16_1k a[0:3], v[38:39], v[100:101], a[0:3]
	ds_read2_b64 v[0:3], v93 offset0:16 offset1:20
	v_add_co_u32_e32 v18, vcc, 0x400, v18
	v_add_u32_e32 v91, 0x100, v91
	v_addc_co_u32_e32 v19, vcc, 0, v19, vcc
	v_cmp_le_i32_e32 vcc, s12, v91
	v_mfma_f32_16x16x16bf16_1k a[4:7], v[52:53], v[100:101], a[4:7]
	v_add_u32_e32 v94, 0x200, v94
	s_or_b64 s[14:15], vcc, s[14:15]
	v_mfma_f32_16x16x16bf16_1k a[8:11], v[66:67], v[100:101], a[8:11]
	v_mfma_f32_16x16x16bf16_1k a[12:15], v[82:83], v[100:101], a[12:15]
	;; [unrolled: 1-line block ×6, first 2 shown]
	s_waitcnt lgkmcnt(0)
	v_mfma_f32_16x16x16bf16_1k a[0:3], v[30:31], v[0:1], a[0:3]
	v_mfma_f32_16x16x16bf16_1k a[4:7], v[46:47], v[0:1], a[4:7]
	;; [unrolled: 1-line block ×8, first 2 shown]
	ds_read2_b64 v[0:3], v93 offset0:24 offset1:28
	s_waitcnt lgkmcnt(0)
	v_mfma_f32_16x16x16bf16_1k a[0:3], v[26:27], v[0:1], a[0:3]
	v_mfma_f32_16x16x16bf16_1k a[4:7], v[42:43], v[0:1], a[4:7]
	v_mfma_f32_16x16x16bf16_1k a[8:11], v[58:59], v[0:1], a[8:11]
	v_mfma_f32_16x16x16bf16_1k a[12:15], v[74:75], v[0:1], a[12:15]
	v_mfma_f32_16x16x16bf16_1k a[0:3], v[24:25], v[2:3], a[0:3]
	v_mfma_f32_16x16x16bf16_1k a[4:7], v[40:41], v[2:3], a[4:7]
	v_mfma_f32_16x16x16bf16_1k a[8:11], v[56:57], v[2:3], a[8:11]
	v_mfma_f32_16x16x16bf16_1k a[12:15], v[72:73], v[2:3], a[12:15]
	ds_read2_b64 v[0:3], v93 offset0:32 offset1:36
	s_waitcnt lgkmcnt(0)
	v_mfma_f32_16x16x16bf16_1k a[0:3], v[22:23], v[0:1], a[0:3]
	v_mfma_f32_16x16x16bf16_1k a[4:7], v[36:37], v[0:1], a[4:7]
	;; [unrolled: 1-line block ×8, first 2 shown]
	s_andn2_b64 exec, exec, s[14:15]
	s_cbranch_execz .LBB133_65
.LBB133_21:                             ; =>This Inner Loop Header: Depth=1
	v_add_co_u32_e32 v0, vcc, s24, v18
	v_addc_co_u32_e32 v1, vcc, v19, v97, vcc
	global_load_dword v24, v[18:19], off
	global_load_dword v25, v[0:1], off
	v_add_u32_e32 v0, s34, v91
	v_ashrrev_i32_e32 v1, 31, v0
	v_lshlrev_b64 v[0:1], 2, v[0:1]
	v_add_u32_e32 v2, s35, v91
	v_add_co_u32_e32 v0, vcc, s20, v0
	v_ashrrev_i32_e32 v3, 31, v2
	v_addc_co_u32_e32 v1, vcc, v95, v1, vcc
	v_lshlrev_b64 v[2:3], 2, v[2:3]
	v_add_u32_e32 v4, s36, v91
	v_add_co_u32_e32 v2, vcc, s20, v2
	v_ashrrev_i32_e32 v5, 31, v4
	v_addc_co_u32_e32 v3, vcc, v95, v3, vcc
	;; [unrolled: 5-line block ×5, first 2 shown]
	v_lshlrev_b64 v[10:11], 2, v[10:11]
	v_add_co_u32_e32 v10, vcc, s20, v10
	v_addc_co_u32_e32 v11, vcc, v95, v11, vcc
	global_load_dword v26, v[0:1], off
	global_load_dword v27, v[2:3], off
	;; [unrolled: 1-line block ×6, first 2 shown]
	v_add_u32_e32 v20, s40, v91
	v_ashrrev_i32_e32 v21, 31, v20
	v_add_u32_e32 v22, s41, v91
	v_lshlrev_b64 v[20:21], 2, v[20:21]
	v_ashrrev_i32_e32 v23, 31, v22
	v_add_co_u32_e32 v20, vcc, s20, v20
	v_lshlrev_b64 v[22:23], 2, v[22:23]
	v_addc_co_u32_e32 v21, vcc, v95, v21, vcc
	v_add_co_u32_e32 v22, vcc, s20, v22
	v_addc_co_u32_e32 v23, vcc, v95, v23, vcc
	v_add_u32_e32 v32, s47, v91
	v_ashrrev_i32_e32 v33, 31, v32
	v_lshlrev_b64 v[32:33], 2, v[32:33]
	v_add_u32_e32 v34, s48, v91
	v_ashrrev_i32_e32 v35, 31, v34
	v_lshlrev_b64 v[34:35], 2, v[34:35]
	;; [unrolled: 3-line block ×4, first 2 shown]
	v_accvgpr_read_b32 v3, a15
	v_accvgpr_read_b32 v2, a14
	;; [unrolled: 1-line block ×6, first 2 shown]
	s_waitcnt vmcnt(7)
	ds_write_b32 v92, v24 offset:64
	s_waitcnt vmcnt(6)
	ds_write_b32 v92, v25 offset:328
	global_load_dword v20, v[20:21], off
	s_nop 0
	global_load_dword v21, v[22:23], off
	v_add_u32_e32 v22, s42, v91
	v_ashrrev_i32_e32 v23, 31, v22
	v_lshlrev_b64 v[22:23], 2, v[22:23]
	v_add_u32_e32 v24, s43, v91
	v_add_co_u32_e32 v22, vcc, s20, v22
	v_ashrrev_i32_e32 v25, 31, v24
	v_addc_co_u32_e32 v23, vcc, v95, v23, vcc
	v_lshlrev_b64 v[24:25], 2, v[24:25]
	s_waitcnt vmcnt(7)
	ds_write_b32 v92, v26 offset:592
	s_waitcnt vmcnt(6)
	ds_write_b32 v92, v27 offset:856
	s_waitcnt vmcnt(5)
	ds_write_b32 v92, v28 offset:1120
	s_waitcnt vmcnt(4)
	ds_write_b32 v92, v29 offset:1384
	s_waitcnt vmcnt(3)
	ds_write_b32 v92, v30 offset:1648
	s_waitcnt vmcnt(2)
	ds_write_b32 v92, v31 offset:1912
	v_add_u32_e32 v26, s44, v91
	v_add_co_u32_e32 v24, vcc, s20, v24
	v_ashrrev_i32_e32 v27, 31, v26
	v_addc_co_u32_e32 v25, vcc, v95, v25, vcc
	v_lshlrev_b64 v[26:27], 2, v[26:27]
	v_add_u32_e32 v28, s45, v91
	v_add_co_u32_e32 v26, vcc, s20, v26
	v_ashrrev_i32_e32 v29, 31, v28
	v_addc_co_u32_e32 v27, vcc, v95, v27, vcc
	v_lshlrev_b64 v[28:29], 2, v[28:29]
	;; [unrolled: 5-line block ×3, first 2 shown]
	v_add_co_u32_e32 v30, vcc, s20, v30
	v_addc_co_u32_e32 v31, vcc, v95, v31, vcc
	v_add_co_u32_e32 v32, vcc, s20, v32
	v_addc_co_u32_e32 v33, vcc, v95, v33, vcc
	;; [unrolled: 2-line block ×4, first 2 shown]
	global_load_dword v22, v[22:23], off
	s_nop 0
	global_load_dword v23, v[24:25], off
	s_nop 0
	global_load_dword v24, v[26:27], off
	global_load_dword v25, v[28:29], off
	s_nop 0
	global_load_dword v26, v[30:31], off
	;; [unrolled: 3-line block ×3, first 2 shown]
	s_nop 0
	global_load_dword v35, v[36:37], off
	v_add_u32_e32 v28, s50, v91
	v_ashrrev_i32_e32 v29, 31, v28
	v_lshlrev_b64 v[28:29], 2, v[28:29]
	v_add_u32_e32 v30, s51, v91
	v_add_co_u32_e32 v28, vcc, s20, v28
	v_ashrrev_i32_e32 v31, 31, v30
	v_addc_co_u32_e32 v29, vcc, v95, v29, vcc
	v_lshlrev_b64 v[30:31], 2, v[30:31]
	v_add_u32_e32 v32, s52, v91
	v_add_co_u32_e32 v30, vcc, s20, v30
	v_ashrrev_i32_e32 v33, 31, v32
	v_addc_co_u32_e32 v31, vcc, v95, v31, vcc
	;; [unrolled: 5-line block ×3, first 2 shown]
	v_lshlrev_b64 v[36:37], 2, v[36:37]
	v_add_co_u32_e32 v38, vcc, s20, v36
	v_add_u32_e32 v36, s54, v91
	v_addc_co_u32_e32 v39, vcc, v95, v37, vcc
	v_ashrrev_i32_e32 v37, 31, v36
	v_lshlrev_b64 v[36:37], 2, v[36:37]
	v_add_co_u32_e32 v42, vcc, s20, v36
	v_add_u32_e32 v36, s55, v91
	v_addc_co_u32_e32 v43, vcc, v95, v37, vcc
	v_ashrrev_i32_e32 v37, 31, v36
	;; [unrolled: 5-line block ×4, first 2 shown]
	v_lshlrev_b64 v[36:37], 2, v[36:37]
	v_add_co_u32_e32 v48, vcc, s20, v36
	v_addc_co_u32_e32 v49, vcc, v95, v37, vcc
	global_load_dword v36, v[28:29], off
	global_load_dword v37, v[30:31], off
	;; [unrolled: 1-line block ×4, first 2 shown]
	s_nop 0
	global_load_dword v42, v[42:43], off
	s_nop 0
	global_load_dword v43, v[44:45], off
	;; [unrolled: 2-line block ×3, first 2 shown]
	global_load_dword v45, v[48:49], off
	v_add_u32_e32 v28, s58, v91
	v_ashrrev_i32_e32 v29, 31, v28
	v_lshlrev_b64 v[28:29], 2, v[28:29]
	v_add_u32_e32 v30, s59, v91
	v_add_co_u32_e32 v28, vcc, s20, v28
	v_ashrrev_i32_e32 v31, 31, v30
	v_addc_co_u32_e32 v29, vcc, v95, v29, vcc
	v_lshlrev_b64 v[30:31], 2, v[30:31]
	v_add_u32_e32 v32, s60, v91
	v_add_co_u32_e32 v30, vcc, s20, v30
	v_ashrrev_i32_e32 v33, 31, v32
	v_addc_co_u32_e32 v31, vcc, v95, v31, vcc
	;; [unrolled: 5-line block ×4, first 2 shown]
	v_lshlrev_b64 v[46:47], 2, v[46:47]
	v_add_co_u32_e32 v48, vcc, s20, v46
	v_add_u32_e32 v46, s63, v91
	v_addc_co_u32_e32 v49, vcc, v95, v47, vcc
	v_ashrrev_i32_e32 v47, 31, v46
	v_lshlrev_b64 v[46:47], 2, v[46:47]
	v_add_co_u32_e32 v54, vcc, s20, v46
	v_add_u32_e32 v46, s64, v91
	v_addc_co_u32_e32 v55, vcc, v95, v47, vcc
	v_ashrrev_i32_e32 v47, 31, v46
	;; [unrolled: 5-line block ×3, first 2 shown]
	v_lshlrev_b64 v[46:47], 2, v[46:47]
	v_add_co_u32_e32 v58, vcc, s20, v46
	v_addc_co_u32_e32 v59, vcc, v95, v47, vcc
	global_load_dword v46, v[28:29], off
	global_load_dword v47, v[30:31], off
	;; [unrolled: 1-line block ×6, first 2 shown]
	s_nop 0
	global_load_dword v48, v[56:57], off
	global_load_dword v49, v[58:59], off
	v_add_u32_e32 v28, s66, v91
	v_ashrrev_i32_e32 v29, 31, v28
	v_lshlrev_b64 v[28:29], 2, v[28:29]
	v_add_u32_e32 v30, s67, v91
	v_add_co_u32_e32 v28, vcc, s20, v28
	v_ashrrev_i32_e32 v31, 31, v30
	v_addc_co_u32_e32 v29, vcc, v95, v29, vcc
	v_lshlrev_b64 v[30:31], 2, v[30:31]
	v_add_u32_e32 v32, s68, v91
	v_add_co_u32_e32 v30, vcc, s20, v30
	v_ashrrev_i32_e32 v33, 31, v32
	v_addc_co_u32_e32 v31, vcc, v95, v31, vcc
	;; [unrolled: 5-line block ×6, first 2 shown]
	v_lshlrev_b64 v[58:59], 2, v[58:59]
	v_add_co_u32_e32 v58, vcc, s20, v58
	v_addc_co_u32_e32 v59, vcc, v95, v59, vcc
	v_add_co_u32_e32 v60, vcc, s20, v60
	v_addc_co_u32_e32 v61, vcc, v95, v61, vcc
	global_load_dword v62, v[28:29], off
	global_load_dword v63, v[30:31], off
	;; [unrolled: 1-line block ×8, first 2 shown]
	v_add_u32_e32 v28, s74, v91
	v_ashrrev_i32_e32 v29, 31, v28
	v_lshlrev_b64 v[28:29], 2, v[28:29]
	v_add_u32_e32 v30, s75, v91
	v_add_co_u32_e32 v28, vcc, s20, v28
	v_ashrrev_i32_e32 v31, 31, v30
	v_addc_co_u32_e32 v29, vcc, v95, v29, vcc
	v_lshlrev_b64 v[30:31], 2, v[30:31]
	v_add_u32_e32 v32, s76, v91
	v_add_co_u32_e32 v30, vcc, s20, v30
	v_ashrrev_i32_e32 v33, 31, v32
	v_addc_co_u32_e32 v31, vcc, v95, v31, vcc
	;; [unrolled: 5-line block ×7, first 2 shown]
	v_lshlrev_b64 v[60:61], 2, v[60:61]
	v_add_co_u32_e32 v60, vcc, s20, v60
	v_addc_co_u32_e32 v61, vcc, v95, v61, vcc
	global_load_dword v70, v[28:29], off
	global_load_dword v71, v[30:31], off
	global_load_dword v72, v[32:33], off
	global_load_dword v73, v[38:39], off
	global_load_dword v74, v[54:55], off
	global_load_dword v75, v[56:57], off
	global_load_dword v76, v[58:59], off
	global_load_dword v77, v[60:61], off
	v_add_u32_e32 v28, s81, v91
	v_ashrrev_i32_e32 v29, 31, v28
	v_lshlrev_b64 v[28:29], 2, v[28:29]
	v_add_u32_e32 v30, s82, v91
	v_add_co_u32_e32 v28, vcc, s20, v28
	v_ashrrev_i32_e32 v31, 31, v30
	v_addc_co_u32_e32 v29, vcc, v95, v29, vcc
	v_lshlrev_b64 v[30:31], 2, v[30:31]
	v_add_u32_e32 v32, s83, v91
	v_add_co_u32_e32 v30, vcc, s20, v30
	v_ashrrev_i32_e32 v33, 31, v32
	v_addc_co_u32_e32 v31, vcc, v95, v31, vcc
	;; [unrolled: 5-line block ×7, first 2 shown]
	v_lshlrev_b64 v[60:61], 2, v[60:61]
	v_add_co_u32_e32 v60, vcc, s20, v60
	v_addc_co_u32_e32 v61, vcc, v95, v61, vcc
	global_load_dword v78, v[28:29], off
	global_load_dword v79, v[30:31], off
	;; [unrolled: 1-line block ×8, first 2 shown]
	v_add_u32_e32 v28, s89, v91
	v_ashrrev_i32_e32 v29, 31, v28
	v_lshlrev_b64 v[28:29], 2, v[28:29]
	v_add_u32_e32 v30, s90, v91
	v_add_co_u32_e32 v28, vcc, s20, v28
	v_ashrrev_i32_e32 v31, 31, v30
	v_addc_co_u32_e32 v29, vcc, v95, v29, vcc
	v_lshlrev_b64 v[30:31], 2, v[30:31]
	v_add_u32_e32 v32, s91, v91
	v_add_co_u32_e32 v30, vcc, s20, v30
	v_ashrrev_i32_e32 v33, 31, v32
	v_addc_co_u32_e32 v31, vcc, v95, v31, vcc
	;; [unrolled: 5-line block ×5, first 2 shown]
	v_lshlrev_b64 v[56:57], 2, v[56:57]
	v_add_co_u32_e32 v56, vcc, s20, v56
	v_addc_co_u32_e32 v57, vcc, v95, v57, vcc
	global_load_dword v99, v[28:29], off
	global_load_dword v100, v[30:31], off
	;; [unrolled: 1-line block ×6, first 2 shown]
	s_waitcnt vmcnt(55)
	ds_write_b32 v92, v20 offset:2176
	s_waitcnt vmcnt(54)
	ds_write_b32 v92, v21 offset:2440
	s_waitcnt vmcnt(53)
	ds_write_b32 v92, v22 offset:2704
	s_waitcnt vmcnt(52)
	ds_write_b32 v92, v23 offset:2968
	s_waitcnt vmcnt(51)
	ds_write_b32 v92, v24 offset:3232
	s_waitcnt vmcnt(50)
	ds_write_b32 v92, v25 offset:3496
	s_waitcnt vmcnt(49)
	ds_write_b32 v92, v26 offset:3760
	s_waitcnt vmcnt(48)
	ds_write_b32 v92, v27 offset:4024
	ds_read_b64 v[38:39], v93 offset:64
	ds_read_b64 v[32:33], v93 offset:96
	ds_read_b64 v[30:31], v93 offset:128
	ds_read_b64 v[28:29], v93 offset:160
	ds_read_b64 v[26:27], v93 offset:192
	ds_read_b64 v[24:25], v93 offset:224
	ds_read_b64 v[22:23], v93 offset:256
	ds_read_b64 v[20:21], v93 offset:288
	s_waitcnt vmcnt(47)
	ds_write_b32 v92, v34 offset:64
	s_waitcnt vmcnt(46)
	ds_write_b32 v92, v35 offset:328
	s_waitcnt vmcnt(45)
	ds_write_b32 v92, v36 offset:592
	s_waitcnt vmcnt(44)
	ds_write_b32 v92, v37 offset:856
	s_waitcnt vmcnt(43)
	ds_write_b32 v92, v40 offset:1120
	s_waitcnt vmcnt(42)
	ds_write_b32 v92, v41 offset:1384
	s_waitcnt vmcnt(41)
	ds_write_b32 v92, v42 offset:1648
	s_waitcnt vmcnt(40)
	ds_write_b32 v92, v43 offset:1912
	s_waitcnt vmcnt(39)
	ds_write_b32 v92, v44 offset:2176
	s_waitcnt vmcnt(38)
	ds_write_b32 v92, v45 offset:2440
	s_waitcnt vmcnt(37)
	ds_write_b32 v92, v46 offset:2704
	s_waitcnt vmcnt(36)
	ds_write_b32 v92, v47 offset:2968
	s_waitcnt vmcnt(35)
	ds_write_b32 v92, v50 offset:3232
	s_waitcnt vmcnt(34)
	ds_write_b32 v92, v51 offset:3496
	s_waitcnt vmcnt(33)
	ds_write_b32 v92, v52 offset:3760
	s_waitcnt vmcnt(32)
	ds_write_b32 v92, v53 offset:4024
	ds_read_b64 v[52:53], v93 offset:64
	ds_read_b64 v[50:51], v93 offset:96
	ds_read_b64 v[46:47], v93 offset:128
	ds_read_b64 v[44:45], v93 offset:160
	ds_read_b64 v[42:43], v93 offset:192
	ds_read_b64 v[40:41], v93 offset:224
	ds_read_b64 v[36:37], v93 offset:256
	ds_read_b64 v[34:35], v93 offset:288
	s_waitcnt vmcnt(31)
	ds_write_b32 v92, v48 offset:64
	s_waitcnt vmcnt(30)
	ds_write_b32 v92, v49 offset:328
	s_waitcnt vmcnt(29)
	ds_write_b32 v92, v62 offset:592
	s_waitcnt vmcnt(28)
	ds_write_b32 v92, v63 offset:856
	s_waitcnt vmcnt(27)
	ds_write_b32 v92, v64 offset:1120
	s_waitcnt vmcnt(26)
	ds_write_b32 v92, v65 offset:1384
	s_waitcnt vmcnt(25)
	ds_write_b32 v92, v66 offset:1648
	s_waitcnt vmcnt(24)
	ds_write_b32 v92, v67 offset:1912
	s_waitcnt vmcnt(23)
	ds_write_b32 v92, v68 offset:2176
	s_waitcnt vmcnt(22)
	ds_write_b32 v92, v69 offset:2440
	s_waitcnt vmcnt(21)
	ds_write_b32 v92, v70 offset:2704
	s_waitcnt vmcnt(20)
	ds_write_b32 v92, v71 offset:2968
	s_waitcnt vmcnt(19)
	ds_write_b32 v92, v72 offset:3232
	s_waitcnt vmcnt(18)
	ds_write_b32 v92, v73 offset:3496
	s_waitcnt vmcnt(17)
	ds_write_b32 v92, v74 offset:3760
	s_waitcnt vmcnt(16)
	ds_write_b32 v92, v75 offset:4024
	ds_read_b64 v[66:67], v93 offset:64
	ds_read_b64 v[64:65], v93 offset:96
	ds_read_b64 v[62:63], v93 offset:128
	ds_read_b64 v[60:61], v93 offset:160
	ds_read_b64 v[58:59], v93 offset:192
	ds_read_b64 v[56:57], v93 offset:224
	ds_read_b64 v[54:55], v93 offset:256
	ds_read_b64 v[48:49], v93 offset:288
	s_waitcnt vmcnt(15)
	ds_write_b32 v92, v76 offset:64
	s_waitcnt vmcnt(14)
	ds_write_b32 v92, v77 offset:328
	s_waitcnt vmcnt(13)
	ds_write_b32 v92, v78 offset:592
	s_waitcnt vmcnt(12)
	ds_write_b32 v92, v79 offset:856
	s_waitcnt vmcnt(11)
	ds_write_b32 v92, v80 offset:1120
	s_waitcnt vmcnt(10)
	ds_write_b32 v92, v81 offset:1384
	s_waitcnt vmcnt(9)
	ds_write_b32 v92, v82 offset:1648
	s_waitcnt vmcnt(8)
	ds_write_b32 v92, v83 offset:1912
	s_waitcnt vmcnt(7)
	ds_write_b32 v92, v84 offset:2176
	s_waitcnt vmcnt(6)
	ds_write_b32 v92, v85 offset:2440
	;; [unrolled: 2-line block ×8, first 2 shown]
	ds_read_b64 v[82:83], v93 offset:64
	ds_read_b64 v[80:81], v93 offset:96
	;; [unrolled: 1-line block ×8, first 2 shown]
	v_accvgpr_read_b32 v5, a5
	v_accvgpr_read_b32 v4, a4
	;; [unrolled: 1-line block ×10, first 2 shown]
	s_andn2_b64 vcc, exec, s[4:5]
	v_mov_b32_e32 v84, 0
	v_mov_b32_e32 v85, 0
	s_cbranch_vccnz .LBB133_24
; %bb.22:                               ;   in Loop: Header=BB133_21 Depth=1
	ds_read_b32 v99, v98
	v_mov_b32_e32 v85, 0
	v_mov_b32_e32 v84, 0
	s_waitcnt lgkmcnt(0)
	v_cmp_gt_i32_e32 vcc, 0, v99
	s_cbranch_vccnz .LBB133_24
; %bb.23:                               ;   in Loop: Header=BB133_21 Depth=1
	v_mul_lo_u32 v84, v99, s21
	v_add_u32_e32 v84, v94, v84
	v_ashrrev_i32_e32 v85, 31, v84
	v_lshlrev_b64 v[84:85], 2, v[84:85]
	v_mov_b32_e32 v99, s30
	v_add_co_u32_e32 v84, vcc, s27, v84
	v_addc_co_u32_e32 v85, vcc, v99, v85, vcc
	global_load_dwordx2 v[84:85], v[84:85], off
.LBB133_24:                             ;   in Loop: Header=BB133_21 Depth=1
	s_waitcnt vmcnt(0)
	v_and_b32_e32 v99, 0x7f800000, v84
	v_cmp_ne_u32_e32 vcc, s95, v99
                                        ; implicit-def: $vgpr99
	s_and_saveexec_b64 s[28:29], vcc
	s_xor_b64 s[28:29], exec, s[28:29]
; %bb.25:                               ;   in Loop: Header=BB133_21 Depth=1
	v_bfe_u32 v99, v84, 16, 1
	v_add3_u32 v99, v84, v99, s2
; %bb.26:                               ;   in Loop: Header=BB133_21 Depth=1
	s_andn2_saveexec_b64 s[28:29], s[28:29]
; %bb.27:                               ;   in Loop: Header=BB133_21 Depth=1
	v_or_b32_e32 v99, 0x10000, v84
	v_cmp_eq_u32_sdwa vcc, v84, v96 src0_sel:WORD_0 src1_sel:DWORD
	v_cndmask_b32_e32 v99, v99, v84, vcc
; %bb.28:                               ;   in Loop: Header=BB133_21 Depth=1
	s_or_b64 exec, exec, s[28:29]
	v_and_b32_e32 v84, 0x7f800000, v85
	v_cmp_ne_u32_e32 vcc, s95, v84
                                        ; implicit-def: $vgpr84
	s_and_saveexec_b64 s[28:29], vcc
	s_xor_b64 s[28:29], exec, s[28:29]
; %bb.29:                               ;   in Loop: Header=BB133_21 Depth=1
	v_bfe_u32 v84, v85, 16, 1
	v_add3_u32 v84, v85, v84, s2
                                        ; implicit-def: $vgpr85
; %bb.30:                               ;   in Loop: Header=BB133_21 Depth=1
	s_andn2_saveexec_b64 s[28:29], s[28:29]
; %bb.31:                               ;   in Loop: Header=BB133_21 Depth=1
	v_or_b32_e32 v84, 0x10000, v85
	v_cmp_eq_u32_sdwa vcc, v85, v96 src0_sel:WORD_0 src1_sel:DWORD
	v_cndmask_b32_e32 v84, v84, v85, vcc
; %bb.32:                               ;   in Loop: Header=BB133_21 Depth=1
	s_or_b64 exec, exec, s[28:29]
	v_perm_b32 v84, v84, v99, s3
	ds_write_b32 v92, v84 offset:64
	s_andn2_b64 vcc, exec, s[6:7]
	v_mov_b32_e32 v84, 0
	v_mov_b32_e32 v85, 0
	s_cbranch_vccnz .LBB133_35
; %bb.33:                               ;   in Loop: Header=BB133_21 Depth=1
	ds_read_b32 v99, v98 offset:4
	v_mov_b32_e32 v85, 0
	v_mov_b32_e32 v84, 0
	s_waitcnt lgkmcnt(0)
	v_cmp_gt_i32_e32 vcc, 0, v99
	s_cbranch_vccnz .LBB133_35
; %bb.34:                               ;   in Loop: Header=BB133_21 Depth=1
	v_mul_lo_u32 v84, v99, s21
	v_add_u32_e32 v84, s16, v84
	v_add_u32_e32 v84, v84, v94
	v_ashrrev_i32_e32 v85, 31, v84
	v_lshlrev_b64 v[84:85], 2, v[84:85]
	v_mov_b32_e32 v99, s30
	v_add_co_u32_e32 v84, vcc, s27, v84
	v_addc_co_u32_e32 v85, vcc, v99, v85, vcc
	global_load_dwordx2 v[84:85], v[84:85], off
.LBB133_35:                             ;   in Loop: Header=BB133_21 Depth=1
	s_waitcnt vmcnt(0)
	v_and_b32_e32 v99, 0x7f800000, v84
	v_cmp_ne_u32_e32 vcc, s95, v99
                                        ; implicit-def: $vgpr99
	s_and_saveexec_b64 s[28:29], vcc
	s_xor_b64 s[28:29], exec, s[28:29]
; %bb.36:                               ;   in Loop: Header=BB133_21 Depth=1
	v_bfe_u32 v99, v84, 16, 1
	v_add3_u32 v99, v84, v99, s2
; %bb.37:                               ;   in Loop: Header=BB133_21 Depth=1
	s_andn2_saveexec_b64 s[28:29], s[28:29]
; %bb.38:                               ;   in Loop: Header=BB133_21 Depth=1
	v_or_b32_e32 v99, 0x10000, v84
	v_cmp_eq_u32_sdwa vcc, v84, v96 src0_sel:WORD_0 src1_sel:DWORD
	v_cndmask_b32_e32 v99, v99, v84, vcc
; %bb.39:                               ;   in Loop: Header=BB133_21 Depth=1
	s_or_b64 exec, exec, s[28:29]
	v_and_b32_e32 v84, 0x7f800000, v85
	v_cmp_ne_u32_e32 vcc, s95, v84
                                        ; implicit-def: $vgpr84
	s_and_saveexec_b64 s[28:29], vcc
	s_xor_b64 s[28:29], exec, s[28:29]
; %bb.40:                               ;   in Loop: Header=BB133_21 Depth=1
	v_bfe_u32 v84, v85, 16, 1
	v_add3_u32 v84, v85, v84, s2
                                        ; implicit-def: $vgpr85
; %bb.41:                               ;   in Loop: Header=BB133_21 Depth=1
	s_andn2_saveexec_b64 s[28:29], s[28:29]
; %bb.42:                               ;   in Loop: Header=BB133_21 Depth=1
	v_or_b32_e32 v84, 0x10000, v85
	v_cmp_eq_u32_sdwa vcc, v85, v96 src0_sel:WORD_0 src1_sel:DWORD
	v_cndmask_b32_e32 v84, v84, v85, vcc
; %bb.43:                               ;   in Loop: Header=BB133_21 Depth=1
	s_or_b64 exec, exec, s[28:29]
	v_perm_b32 v84, v84, v99, s3
	ds_write_b32 v92, v84 offset:328
	s_andn2_b64 vcc, exec, s[10:11]
	v_mov_b32_e32 v84, 0
	v_mov_b32_e32 v85, 0
	s_cbranch_vccnz .LBB133_46
; %bb.44:                               ;   in Loop: Header=BB133_21 Depth=1
	ds_read_b32 v99, v98 offset:8
	v_mov_b32_e32 v85, 0
	v_mov_b32_e32 v84, 0
	s_waitcnt lgkmcnt(0)
	v_cmp_gt_i32_e32 vcc, 0, v99
	s_cbranch_vccnz .LBB133_46
; %bb.45:                               ;   in Loop: Header=BB133_21 Depth=1
	v_mul_lo_u32 v84, v99, s21
	v_add_u32_e32 v84, s31, v84
	v_add_u32_e32 v84, v84, v94
	v_ashrrev_i32_e32 v85, 31, v84
	v_lshlrev_b64 v[84:85], 2, v[84:85]
	v_mov_b32_e32 v99, s30
	v_add_co_u32_e32 v84, vcc, s27, v84
	v_addc_co_u32_e32 v85, vcc, v99, v85, vcc
	global_load_dwordx2 v[84:85], v[84:85], off
.LBB133_46:                             ;   in Loop: Header=BB133_21 Depth=1
	;; [unrolled: 58-line block ×3, first 2 shown]
	s_waitcnt vmcnt(0)
	v_and_b32_e32 v99, 0x7f800000, v84
	v_cmp_ne_u32_e32 vcc, s95, v99
                                        ; implicit-def: $vgpr99
	s_and_saveexec_b64 s[28:29], vcc
	s_xor_b64 s[28:29], exec, s[28:29]
; %bb.58:                               ;   in Loop: Header=BB133_21 Depth=1
	v_bfe_u32 v99, v84, 16, 1
	v_add3_u32 v99, v84, v99, s2
; %bb.59:                               ;   in Loop: Header=BB133_21 Depth=1
	s_andn2_saveexec_b64 s[28:29], s[28:29]
; %bb.60:                               ;   in Loop: Header=BB133_21 Depth=1
	v_or_b32_e32 v99, 0x10000, v84
	v_cmp_eq_u32_sdwa vcc, v84, v96 src0_sel:WORD_0 src1_sel:DWORD
	v_cndmask_b32_e32 v99, v99, v84, vcc
; %bb.61:                               ;   in Loop: Header=BB133_21 Depth=1
	s_or_b64 exec, exec, s[28:29]
	v_and_b32_e32 v84, 0x7f800000, v85
	v_cmp_ne_u32_e32 vcc, s95, v84
                                        ; implicit-def: $vgpr84
	s_and_saveexec_b64 s[28:29], vcc
	s_xor_b64 s[28:29], exec, s[28:29]
; %bb.62:                               ;   in Loop: Header=BB133_21 Depth=1
	v_bfe_u32 v84, v85, 16, 1
	v_add3_u32 v84, v85, v84, s2
                                        ; implicit-def: $vgpr85
; %bb.63:                               ;   in Loop: Header=BB133_21 Depth=1
	s_andn2_saveexec_b64 s[28:29], s[28:29]
	s_cbranch_execz .LBB133_20
; %bb.64:                               ;   in Loop: Header=BB133_21 Depth=1
	v_or_b32_e32 v84, 0x10000, v85
	v_cmp_eq_u32_sdwa vcc, v85, v96 src0_sel:WORD_0 src1_sel:DWORD
	v_cndmask_b32_e32 v84, v84, v85, vcc
	s_branch .LBB133_20
.LBB133_65:
	s_or_b64 exec, exec, s[14:15]
	v_readlane_b32 s36, v105, 0
	v_readlane_b32 s37, v105, 1
.LBB133_66:
	s_or_b64 exec, exec, s[0:1]
	v_mul_u32_u24_e32 v0, 0x408, v90
	s_movk_i32 s0, 0x100
	v_lshlrev_b32_e32 v1, 2, v89
	v_add3_u32 v0, s0, v0, v1
	v_and_b32_e32 v2, 0x3f0, v16
	v_add_u32_e32 v3, v0, v2
	s_barrier
	ds_write2_b32 v3, a12, a13 offset0:16 offset1:17
	v_or_b32_e32 v3, 12, v16
	v_add_u32_e32 v1, 64, v0
	v_and_b32_e32 v3, 0x3fc, v3
	v_add_u32_e32 v2, v1, v2
	v_add_u32_e32 v0, v0, v3
	ds_write_b32 v2, a14 offset:8
	ds_write_b32 v0, a15 offset:64
	ds_write2_b32 v2, a4, a5 offset0:16 offset1:17
	ds_write_b32 v2, a6 offset:72
	v_add_u32_e32 v0, v1, v3
	ds_write_b32 v0, a7 offset:64
	ds_write2_b32 v2, a0, a1 offset0:32 offset1:33
	ds_write_b32 v2, a2 offset:136
	ds_write_b32 v0, a3 offset:128
	ds_write2_b32 v2, a8, a9 offset0:48 offset1:49
	ds_write_b32 v2, a10 offset:200
	ds_write_b32 v0, a11 offset:192
	v_mul_u32_u24_e32 v0, 0x408, v17
	v_lshlrev_b32_e32 v1, 2, v16
	v_add3_u32 v0, s0, v0, v1
	s_waitcnt lgkmcnt(0)
	s_barrier
	ds_read2_b32 v[2:3], v0 offset0:16 offset1:80
	ds_read2_b32 v[0:1], v0 offset0:144 offset1:208
	v_cmp_gt_u32_e32 vcc, 4, v17
	v_mov_b32_e32 v4, -1
	s_and_saveexec_b64 s[0:1], vcc
	s_cbranch_execz .LBB133_68
; %bb.67:
	v_add_u32_e32 v4, v86, v87
	ds_read_b32 v4, v4
.LBB133_68:
	s_or_b64 exec, exec, s[0:1]
	s_waitcnt lgkmcnt(0)
	v_cmp_lt_i32_e32 vcc, -1, v4
	v_cmp_gt_i32_e64 s[0:1], s13, v88
	s_and_b64 s[0:1], vcc, s[0:1]
	s_and_saveexec_b64 s[2:3], s[0:1]
	s_cbranch_execz .LBB133_70
; %bb.69:
	v_add_f32_e32 v2, 0, v2
	s_mul_hi_i32 s1, s26, s8
	s_mul_i32 s0, s26, s8
	v_add_f32_e32 v2, v2, v3
	s_lshl_b64 s[0:1], s[0:1], 2
	v_add_f32_e32 v0, v2, v0
	s_mul_hi_i32 s3, s9, s17
	s_mul_i32 s2, s9, s17
	s_add_u32 s4, s36, s0
	v_add_f32_e32 v2, v0, v1
	s_addc_u32 s5, s37, s1
	s_lshl_b64 s[0:1], s[2:3], 2
	v_mul_lo_u32 v0, v4, s22
	v_mul_lo_u32 v1, v17, s17
	v_add_u32_e32 v3, s23, v16
	s_add_u32 s0, s4, s0
	v_add3_u32 v0, v3, v1, v0
	v_mov_b32_e32 v1, 0
	s_addc_u32 s1, s5, s1
	v_lshlrev_b64 v[0:1], 2, v[0:1]
	v_mov_b32_e32 v3, s1
	v_add_co_u32_e32 v0, vcc, s0, v0
	v_addc_co_u32_e32 v1, vcc, v3, v1, vcc
	global_store_dword v[0:1], v2, off
.LBB133_70:
	s_endpgm
	.section	.rodata,"a",@progbits
	.p2align	6, 0x0
	.amdhsa_kernel _ZL9mul_mat_fI15__hip_bfloat162Li64ELi4ELi4ELb1EEvPKT_PKfPKiPfiiiiiiiiiiiiiiii
		.amdhsa_group_segment_fixed_size 256
		.amdhsa_private_segment_fixed_size 0
		.amdhsa_kernarg_size 352
		.amdhsa_user_sgpr_count 6
		.amdhsa_user_sgpr_private_segment_buffer 1
		.amdhsa_user_sgpr_dispatch_ptr 0
		.amdhsa_user_sgpr_queue_ptr 0
		.amdhsa_user_sgpr_kernarg_segment_ptr 1
		.amdhsa_user_sgpr_dispatch_id 0
		.amdhsa_user_sgpr_flat_scratch_init 0
		.amdhsa_user_sgpr_kernarg_preload_length 0
		.amdhsa_user_sgpr_kernarg_preload_offset 0
		.amdhsa_user_sgpr_private_segment_size 0
		.amdhsa_uses_dynamic_stack 0
		.amdhsa_system_sgpr_private_segment_wavefront_offset 0
		.amdhsa_system_sgpr_workgroup_id_x 1
		.amdhsa_system_sgpr_workgroup_id_y 1
		.amdhsa_system_sgpr_workgroup_id_z 1
		.amdhsa_system_sgpr_workgroup_info 0
		.amdhsa_system_vgpr_workitem_id 2
		.amdhsa_next_free_vgpr 128
		.amdhsa_next_free_sgpr 96
		.amdhsa_accum_offset 108
		.amdhsa_reserve_vcc 1
		.amdhsa_reserve_flat_scratch 0
		.amdhsa_float_round_mode_32 0
		.amdhsa_float_round_mode_16_64 0
		.amdhsa_float_denorm_mode_32 3
		.amdhsa_float_denorm_mode_16_64 3
		.amdhsa_dx10_clamp 1
		.amdhsa_ieee_mode 1
		.amdhsa_fp16_overflow 0
		.amdhsa_tg_split 0
		.amdhsa_exception_fp_ieee_invalid_op 0
		.amdhsa_exception_fp_denorm_src 0
		.amdhsa_exception_fp_ieee_div_zero 0
		.amdhsa_exception_fp_ieee_overflow 0
		.amdhsa_exception_fp_ieee_underflow 0
		.amdhsa_exception_fp_ieee_inexact 0
		.amdhsa_exception_int_div_zero 0
	.end_amdhsa_kernel
	.section	.text._ZL9mul_mat_fI15__hip_bfloat162Li64ELi4ELi4ELb1EEvPKT_PKfPKiPfiiiiiiiiiiiiiiii,"axG",@progbits,_ZL9mul_mat_fI15__hip_bfloat162Li64ELi4ELi4ELb1EEvPKT_PKfPKiPfiiiiiiiiiiiiiiii,comdat
.Lfunc_end133:
	.size	_ZL9mul_mat_fI15__hip_bfloat162Li64ELi4ELi4ELb1EEvPKT_PKfPKiPfiiiiiiiiiiiiiiii, .Lfunc_end133-_ZL9mul_mat_fI15__hip_bfloat162Li64ELi4ELi4ELb1EEvPKT_PKfPKiPfiiiiiiiiiiiiiiii
                                        ; -- End function
	.section	.AMDGPU.csdata,"",@progbits
; Kernel info:
; codeLenInByte = 7072
; NumSgprs: 100
; NumVgprs: 106
; NumAgprs: 20
; TotalNumVgprs: 128
; ScratchSize: 0
; MemoryBound: 0
; FloatMode: 240
; IeeeMode: 1
; LDSByteSize: 256 bytes/workgroup (compile time only)
; SGPRBlocks: 12
; VGPRBlocks: 15
; NumSGPRsForWavesPerEU: 100
; NumVGPRsForWavesPerEU: 128
; AccumOffset: 108
; Occupancy: 4
; WaveLimiterHint : 0
; COMPUTE_PGM_RSRC2:SCRATCH_EN: 0
; COMPUTE_PGM_RSRC2:USER_SGPR: 6
; COMPUTE_PGM_RSRC2:TRAP_HANDLER: 0
; COMPUTE_PGM_RSRC2:TGID_X_EN: 1
; COMPUTE_PGM_RSRC2:TGID_Y_EN: 1
; COMPUTE_PGM_RSRC2:TGID_Z_EN: 1
; COMPUTE_PGM_RSRC2:TIDIG_COMP_CNT: 2
; COMPUTE_PGM_RSRC3_GFX90A:ACCUM_OFFSET: 26
; COMPUTE_PGM_RSRC3_GFX90A:TG_SPLIT: 0
	.section	.text._ZL9mul_mat_fI15__hip_bfloat162Li64ELi4ELi4ELb0EEvPKT_PKfPKiPfiiiiiiiiiiiiiiii,"axG",@progbits,_ZL9mul_mat_fI15__hip_bfloat162Li64ELi4ELi4ELb0EEvPKT_PKfPKiPfiiiiiiiiiiiiiiii,comdat
	.globl	_ZL9mul_mat_fI15__hip_bfloat162Li64ELi4ELi4ELb0EEvPKT_PKfPKiPfiiiiiiiiiiiiiiii ; -- Begin function _ZL9mul_mat_fI15__hip_bfloat162Li64ELi4ELi4ELb0EEvPKT_PKfPKiPfiiiiiiiiiiiiiiii
	.p2align	8
	.type	_ZL9mul_mat_fI15__hip_bfloat162Li64ELi4ELi4ELb0EEvPKT_PKfPKiPfiiiiiiiiiiiiiiii,@function
_ZL9mul_mat_fI15__hip_bfloat162Li64ELi4ELi4ELb0EEvPKT_PKfPKiPfiiiiiiiiiiiiiiii: ; @_ZL9mul_mat_fI15__hip_bfloat162Li64ELi4ELi4ELb0EEvPKT_PKfPKiPfiiiiiiiiiiiiiiii
; %bb.0:
	s_load_dwordx8 s[12:19], s[4:5], 0x40
	s_load_dword s9, s[4:5], 0x20
	s_load_dwordx4 s[0:3], s[4:5], 0x2c
	v_bfe_u32 v86, v0, 10, 10
	v_lshlrev_b32_e32 v88, 6, v86
	v_and_b32_e32 v87, 0x3ff, v0
	s_waitcnt lgkmcnt(0)
	s_abs_i32 s27, s12
	s_abs_i32 s26, s16
	v_cvt_f32_u32_e32 v1, s27
	v_cvt_f32_u32_e32 v2, s26
	v_add_u32_e32 v91, v88, v87
	s_mov_b32 s22, 0
	v_rcp_iflag_f32_e32 v1, v1
	v_rcp_iflag_f32_e32 v2, v2
	s_ashr_i32 s28, s8, 31
	v_cmp_le_i32_e32 vcc, s9, v91
	v_mul_f32_e32 v1, 0x4f7ffffe, v1
	v_mul_f32_e32 v2, 0x4f7ffffe, v2
	v_cvt_u32_f32_e32 v1, v1
	v_cvt_u32_f32_e32 v2, v2
	v_and_b32_e32 v89, 15, v87
	v_readfirstlane_b32 s21, v1
	v_readfirstlane_b32 s20, v2
	s_and_saveexec_b64 s[10:11], vcc
	s_xor_b64 s[10:11], exec, s[10:11]
; %bb.1:
	v_and_b32_e32 v89, 15, v87
                                        ; implicit-def: $vgpr91
; %bb.2:
	s_or_saveexec_b64 s[24:25], s[10:11]
	s_load_dwordx2 s[10:11], s[4:5], 0x18
	s_lshl_b32 s3, s6, 6
	v_accvgpr_write_b32 a0, s22
	v_accvgpr_write_b32 a1, s22
	;; [unrolled: 1-line block ×16, first 2 shown]
	v_lshlrev_b32_e32 v90, 2, v87
	s_xor_b64 exec, exec, s[24:25]
	s_cbranch_execz .LBB134_38
; %bb.3:
	s_sub_i32 s6, 0, s27
	s_sub_i32 s22, 0, s26
	s_mul_i32 s6, s6, s21
	s_mul_i32 s22, s22, s20
	s_mul_hi_u32 s6, s21, s6
	s_mul_hi_u32 s22, s20, s22
	s_abs_i32 s29, s7
	s_add_i32 s6, s21, s6
	s_add_i32 s31, s20, s22
	s_load_dwordx4 s[20:23], s[4:5], 0x0
	s_mul_hi_u32 s4, s29, s6
	s_ashr_i32 s6, s7, 31
	s_ashr_i32 s12, s12, 31
	s_xor_b32 s6, s6, s12
	s_mul_i32 s12, s4, s27
	s_abs_i32 s30, s8
	s_sub_i32 s12, s29, s12
	s_mul_hi_u32 s5, s30, s31
	s_ashr_i32 s16, s16, 31
	s_add_i32 s29, s4, 1
	s_sub_i32 s31, s12, s27
	s_cmp_ge_u32 s12, s27
	s_cselect_b32 s4, s29, s4
	s_cselect_b32 s12, s31, s12
	s_add_i32 s29, s4, 1
	s_cmp_ge_u32 s12, s27
	s_cselect_b32 s4, s29, s4
	s_mul_i32 s12, s5, s26
	s_xor_b32 s4, s4, s6
	s_sub_i32 s12, s30, s12
	s_sub_i32 s6, s4, s6
	s_xor_b32 s4, s28, s16
	s_add_i32 s16, s5, 1
	s_sub_i32 s27, s12, s26
	s_cmp_ge_u32 s12, s26
	s_cselect_b32 s5, s16, s5
	s_cselect_b32 s12, s27, s12
	s_add_i32 s16, s5, 1
	s_cmp_ge_u32 s12, s26
	s_cselect_b32 s5, s16, s5
	s_xor_b32 s5, s5, s4
	s_sub_i32 s4, s5, s4
	s_mul_hi_i32 s5, s4, s17
	s_mul_i32 s4, s4, s17
	s_mul_i32 s12, s6, s13
	s_ashr_i32 s13, s12, 31
	s_lshl_b64 s[26:27], s[4:5], 2
	s_mul_i32 s16, s3, s0
	s_waitcnt lgkmcnt(0)
	s_add_u32 s6, s20, s26
	s_addc_u32 s29, s21, s27
	s_ashr_i32 s17, s16, 31
	s_lshl_b64 s[16:17], s[16:17], 2
	s_lshl_b64 s[12:13], s[12:13], 2
	s_add_u32 s30, s12, s16
	s_addc_u32 s31, s13, s17
	s_mul_i32 s28, s7, s14
	s_add_u32 s6, s30, s6
	s_mul_hi_i32 s5, s18, s8
	s_mul_i32 s4, s18, s8
	s_addc_u32 s76, s31, s29
	s_ashr_i32 s29, s28, 31
	s_lshl_b64 s[16:17], s[4:5], 2
	s_lshl_b64 s[4:5], s[28:29], 2
	s_add_u32 s22, s22, s4
	s_addc_u32 s23, s23, s5
	s_add_u32 s14, s22, s16
	s_movk_i32 s4, 0x1080
	s_addc_u32 s18, s23, s17
	v_mad_u32_u24 v0, v86, s4, 0
	s_ashr_i32 s5, s0, 31
	s_mov_b32 s4, s0
	v_lshrrev_b32_e32 v2, 1, v87
	s_ashr_i32 s13, s1, 31
	s_lshl_b64 s[4:5], s[4:5], 2
	v_mul_u32_u24_e32 v1, 0x108, v89
	v_and_b32_e32 v2, 0x1f8, v2
	s_add_u32 s26, s30, s26
	v_add_u32_e32 v92, v0, v90
	v_add3_u32 v93, v0, v1, v2
	v_lshlrev_b32_e32 v0, 8, v86
	s_addc_u32 s27, s31, s27
	v_mov_b32_e32 v1, s27
	v_add_co_u32_e32 v0, vcc, s26, v0
	v_addc_co_u32_e32 v1, vcc, 0, v1, vcc
	v_add_co_u32_e32 v0, vcc, v0, v90
	v_addc_co_u32_e32 v1, vcc, 0, v1, vcc
	v_mov_b32_e32 v2, s21
	v_add_co_u32_e32 v16, vcc, s20, v0
	v_addc_co_u32_e32 v17, vcc, v2, v1, vcc
	v_lshlrev_b32_e32 v0, 9, v86
	v_mov_b32_e32 v1, s17
	v_add_co_u32_e32 v0, vcc, s16, v0
	v_addc_co_u32_e32 v1, vcc, 0, v1, vcc
	v_lshlrev_b32_e32 v2, 3, v87
	v_add_co_u32_e32 v0, vcc, v0, v2
	v_addc_co_u32_e32 v1, vcc, 0, v1, vcc
	s_mov_b32 s12, s1
	v_mov_b32_e32 v2, s23
	v_add_co_u32_e32 v18, vcc, s22, v0
	s_lshl_b64 s[12:13], s[12:13], 3
	v_addc_co_u32_e32 v19, vcc, v2, v1, vcc
	s_mul_i32 s20, s0, 63
	s_lshl_b32 s21, s1, 1
	s_mul_i32 s22, s1, 3
	s_lshl_b32 s23, s0, 1
	;; [unrolled: 2-line block ×3, first 2 shown]
	s_mul_i32 s28, s0, 5
	s_mul_i32 s29, s0, 6
	;; [unrolled: 1-line block ×3, first 2 shown]
	s_lshl_b32 s31, s0, 3
	s_mul_i32 s33, s0, 9
	s_mul_i32 s34, s0, 10
	;; [unrolled: 1-line block ×7, first 2 shown]
	s_lshl_b32 s40, s0, 4
	s_mul_i32 s41, s0, 17
	s_mul_i32 s42, s0, 18
	;; [unrolled: 1-line block ×15, first 2 shown]
	s_lshl_b32 s56, s0, 5
	s_mul_i32 s57, s0, 33
	s_mul_i32 s58, s0, 34
	;; [unrolled: 1-line block ×19, first 2 shown]
	v_mov_b32_e32 v94, s76
	s_mul_i32 s76, s0, 52
	v_mov_b32_e32 v95, 0
	v_accvgpr_write_b32 a15, 0
	v_accvgpr_write_b32 a14, 0
	;; [unrolled: 1-line block ×16, first 2 shown]
	v_mov_b32_e32 v96, s5
	s_mul_i32 s5, s0, 53
	s_mul_i32 s77, s0, 54
	;; [unrolled: 1-line block ×10, first 2 shown]
	s_mov_b32 s86, 0x7f800000
	s_movk_i32 s87, 0x7fff
	s_mov_b32 s88, 0x7060302
	s_mov_b64 s[0:1], 0
	s_branch .LBB134_5
.LBB134_4:                              ;   in Loop: Header=BB134_5 Depth=1
	s_or_b64 exec, exec, s[16:17]
	v_perm_b32 v84, v98, v97, s88
	v_add_u32_e32 v85, 0x200, v92
	ds_write2_b32 v85, v84, v95 offset0:70 offset1:136
	v_add_u32_e32 v84, 0x400, v92
	ds_write2_b32 v84, v95, v95 offset0:74 offset1:140
	;; [unrolled: 2-line block ×6, first 2 shown]
	ds_write_b32 v92, v95 offset:3960
	ds_read2_b64 v[98:101], v93 offset1:4
	v_accvgpr_write_b32 a0, v0
	v_accvgpr_write_b32 a4, v4
	v_accvgpr_write_b32 a8, v8
	v_accvgpr_write_b32 a12, v12
	v_accvgpr_write_b32 a1, v1
	v_accvgpr_write_b32 a2, v2
	v_accvgpr_write_b32 a3, v3
	v_accvgpr_write_b32 a5, v5
	v_accvgpr_write_b32 a6, v6
	v_accvgpr_write_b32 a7, v7
	v_accvgpr_write_b32 a9, v9
	v_accvgpr_write_b32 a10, v10
	v_accvgpr_write_b32 a11, v11
	v_accvgpr_write_b32 a13, v13
	v_accvgpr_write_b32 a14, v14
	v_accvgpr_write_b32 a15, v15
	s_waitcnt lgkmcnt(0)
	v_mfma_f32_16x16x16bf16_1k a[0:3], v[38:39], v[98:99], a[0:3]
	ds_read2_b64 v[0:3], v93 offset0:8 offset1:12
	v_add_co_u32_e32 v16, vcc, 0x400, v16
	v_addc_co_u32_e32 v17, vcc, 0, v17, vcc
	v_add_co_u32_e32 v18, vcc, 0x800, v18
	v_mfma_f32_16x16x16bf16_1k a[4:7], v[52:53], v[98:99], a[4:7]
	v_add_u32_e32 v91, 0x100, v91
	v_addc_co_u32_e32 v19, vcc, 0, v19, vcc
	v_cmp_le_i32_e32 vcc, s9, v91
	s_or_b64 s[0:1], vcc, s[0:1]
	v_mfma_f32_16x16x16bf16_1k a[8:11], v[68:69], v[98:99], a[8:11]
	v_mfma_f32_16x16x16bf16_1k a[12:15], v[82:83], v[98:99], a[12:15]
	v_mfma_f32_16x16x16bf16_1k a[0:3], v[32:33], v[100:101], a[0:3]
	v_mfma_f32_16x16x16bf16_1k a[4:7], v[50:51], v[100:101], a[4:7]
	v_mfma_f32_16x16x16bf16_1k a[8:11], v[66:67], v[100:101], a[8:11]
	v_mfma_f32_16x16x16bf16_1k a[12:15], v[80:81], v[100:101], a[12:15]
	s_waitcnt lgkmcnt(0)
	v_mfma_f32_16x16x16bf16_1k a[0:3], v[30:31], v[0:1], a[0:3]
	v_mfma_f32_16x16x16bf16_1k a[4:7], v[46:47], v[0:1], a[4:7]
	;; [unrolled: 1-line block ×8, first 2 shown]
	ds_read2_b64 v[0:3], v93 offset0:16 offset1:20
	s_waitcnt lgkmcnt(0)
	v_mfma_f32_16x16x16bf16_1k a[0:3], v[26:27], v[0:1], a[0:3]
	v_mfma_f32_16x16x16bf16_1k a[4:7], v[42:43], v[0:1], a[4:7]
	;; [unrolled: 1-line block ×8, first 2 shown]
	ds_read2_b64 v[0:3], v93 offset0:24 offset1:28
	s_waitcnt lgkmcnt(0)
	v_mfma_f32_16x16x16bf16_1k a[0:3], v[22:23], v[0:1], a[0:3]
	v_mfma_f32_16x16x16bf16_1k a[4:7], v[36:37], v[0:1], a[4:7]
	;; [unrolled: 1-line block ×8, first 2 shown]
	s_andn2_b64 exec, exec, s[0:1]
	s_cbranch_execz .LBB134_37
.LBB134_5:                              ; =>This Inner Loop Header: Depth=1
	v_add_co_u32_e32 v0, vcc, s4, v16
	v_addc_co_u32_e32 v1, vcc, v17, v96, vcc
	global_load_dword v20, v[16:17], off
	global_load_dword v21, v[0:1], off
	v_add_u32_e32 v0, s23, v91
	v_ashrrev_i32_e32 v1, 31, v0
	v_lshlrev_b64 v[0:1], 2, v[0:1]
	v_add_u32_e32 v2, s26, v91
	v_add_co_u32_e32 v0, vcc, s6, v0
	v_ashrrev_i32_e32 v3, 31, v2
	v_addc_co_u32_e32 v1, vcc, v94, v1, vcc
	v_lshlrev_b64 v[2:3], 2, v[2:3]
	v_add_u32_e32 v4, s27, v91
	v_add_co_u32_e32 v2, vcc, s6, v2
	v_ashrrev_i32_e32 v5, 31, v4
	v_addc_co_u32_e32 v3, vcc, v94, v3, vcc
	;; [unrolled: 5-line block ×6, first 2 shown]
	v_lshlrev_b64 v[12:13], 2, v[12:13]
	v_add_co_u32_e32 v12, vcc, s6, v12
	v_addc_co_u32_e32 v13, vcc, v94, v13, vcc
	global_load_dword v22, v[0:1], off
	global_load_dword v23, v[2:3], off
	;; [unrolled: 1-line block ×7, first 2 shown]
	v_add_u32_e32 v12, s33, v91
	v_ashrrev_i32_e32 v13, 31, v12
	v_lshlrev_b64 v[12:13], 2, v[12:13]
	v_add_co_u32_e32 v12, vcc, s6, v12
	v_addc_co_u32_e32 v13, vcc, v94, v13, vcc
	v_add_u32_e32 v30, s39, v91
	v_ashrrev_i32_e32 v31, 31, v30
	v_lshlrev_b64 v[30:31], 2, v[30:31]
	v_add_u32_e32 v32, s40, v91
	v_ashrrev_i32_e32 v33, 31, v32
	v_lshlrev_b64 v[32:33], 2, v[32:33]
	v_add_u32_e32 v34, s41, v91
	v_ashrrev_i32_e32 v35, 31, v34
	v_lshlrev_b64 v[34:35], 2, v[34:35]
	v_add_u32_e32 v36, s46, v91
	v_ashrrev_i32_e32 v37, 31, v36
	v_lshlrev_b64 v[36:37], 2, v[36:37]
	v_add_u32_e32 v38, s47, v91
	v_ashrrev_i32_e32 v39, 31, v38
	v_lshlrev_b64 v[38:39], 2, v[38:39]
	v_add_u32_e32 v40, s48, v91
	v_ashrrev_i32_e32 v41, 31, v40
	v_lshlrev_b64 v[40:41], 2, v[40:41]
	s_waitcnt vmcnt(8)
	ds_write_b32 v92, v20
	s_waitcnt vmcnt(7)
	ds_write_b32 v92, v21 offset:264
	v_add_u32_e32 v20, s34, v91
	v_ashrrev_i32_e32 v21, 31, v20
	global_load_dword v12, v[12:13], off
	v_lshlrev_b64 v[20:21], 2, v[20:21]
	v_add_co_u32_e32 v20, vcc, s6, v20
	v_addc_co_u32_e32 v21, vcc, v94, v21, vcc
	v_add_u32_e32 v42, s49, v91
	v_ashrrev_i32_e32 v43, 31, v42
	v_lshlrev_b64 v[42:43], 2, v[42:43]
	v_accvgpr_read_b32 v3, a15
	v_accvgpr_read_b32 v2, a14
	s_waitcnt vmcnt(7)
	ds_write_b32 v92, v22 offset:528
	s_waitcnt vmcnt(6)
	ds_write_b32 v92, v23 offset:792
	;; [unrolled: 2-line block ×7, first 2 shown]
	v_add_u32_e32 v22, s35, v91
	v_ashrrev_i32_e32 v23, 31, v22
	v_lshlrev_b64 v[22:23], 2, v[22:23]
	v_add_u32_e32 v24, s36, v91
	v_add_co_u32_e32 v22, vcc, s6, v22
	v_ashrrev_i32_e32 v25, 31, v24
	v_addc_co_u32_e32 v23, vcc, v94, v23, vcc
	v_lshlrev_b64 v[24:25], 2, v[24:25]
	v_add_u32_e32 v26, s37, v91
	v_add_co_u32_e32 v24, vcc, s6, v24
	v_ashrrev_i32_e32 v27, 31, v26
	v_addc_co_u32_e32 v25, vcc, v94, v25, vcc
	;; [unrolled: 5-line block ×3, first 2 shown]
	v_lshlrev_b64 v[28:29], 2, v[28:29]
	v_add_co_u32_e32 v28, vcc, s6, v28
	v_addc_co_u32_e32 v29, vcc, v94, v29, vcc
	v_add_co_u32_e32 v30, vcc, s6, v30
	v_addc_co_u32_e32 v31, vcc, v94, v31, vcc
	v_add_co_u32_e32 v32, vcc, s6, v32
	v_addc_co_u32_e32 v33, vcc, v94, v33, vcc
	v_add_co_u32_e32 v34, vcc, s6, v34
	v_addc_co_u32_e32 v35, vcc, v94, v35, vcc
	global_load_dword v20, v[20:21], off
	s_nop 0
	global_load_dword v21, v[22:23], off
	s_nop 0
	global_load_dword v22, v[24:25], off
	global_load_dword v23, v[26:27], off
	s_nop 0
	global_load_dword v24, v[28:29], off
	global_load_dword v25, v[30:31], off
	;; [unrolled: 1-line block ×3, first 2 shown]
	s_nop 0
	global_load_dword v34, v[34:35], off
	v_add_u32_e32 v26, s42, v91
	v_ashrrev_i32_e32 v27, 31, v26
	v_lshlrev_b64 v[26:27], 2, v[26:27]
	v_add_u32_e32 v28, s43, v91
	v_add_co_u32_e32 v26, vcc, s6, v26
	v_ashrrev_i32_e32 v29, 31, v28
	v_addc_co_u32_e32 v27, vcc, v94, v27, vcc
	v_lshlrev_b64 v[28:29], 2, v[28:29]
	v_add_u32_e32 v30, s44, v91
	v_add_co_u32_e32 v28, vcc, s6, v28
	v_ashrrev_i32_e32 v31, 31, v30
	v_addc_co_u32_e32 v29, vcc, v94, v29, vcc
	;; [unrolled: 5-line block ×3, first 2 shown]
	v_lshlrev_b64 v[32:33], 2, v[32:33]
	v_add_co_u32_e32 v32, vcc, s6, v32
	v_addc_co_u32_e32 v33, vcc, v94, v33, vcc
	v_add_co_u32_e32 v36, vcc, s6, v36
	v_addc_co_u32_e32 v37, vcc, v94, v37, vcc
	;; [unrolled: 2-line block ×5, first 2 shown]
	global_load_dword v35, v[26:27], off
	global_load_dword v44, v[28:29], off
	global_load_dword v45, v[30:31], off
	global_load_dword v46, v[32:33], off
	global_load_dword v47, v[36:37], off
	global_load_dword v48, v[38:39], off
	global_load_dword v49, v[40:41], off
	global_load_dword v50, v[42:43], off
	v_add_u32_e32 v26, s50, v91
	v_ashrrev_i32_e32 v27, 31, v26
	v_lshlrev_b64 v[26:27], 2, v[26:27]
	v_add_u32_e32 v28, s51, v91
	v_add_co_u32_e32 v26, vcc, s6, v26
	v_ashrrev_i32_e32 v29, 31, v28
	v_addc_co_u32_e32 v27, vcc, v94, v27, vcc
	v_lshlrev_b64 v[28:29], 2, v[28:29]
	v_add_u32_e32 v30, s52, v91
	v_add_co_u32_e32 v28, vcc, s6, v28
	v_ashrrev_i32_e32 v31, 31, v30
	v_addc_co_u32_e32 v29, vcc, v94, v29, vcc
	v_lshlrev_b64 v[30:31], 2, v[30:31]
	v_add_u32_e32 v32, s53, v91
	v_add_co_u32_e32 v30, vcc, s6, v30
	v_ashrrev_i32_e32 v33, 31, v32
	v_addc_co_u32_e32 v31, vcc, v94, v31, vcc
	v_lshlrev_b64 v[32:33], 2, v[32:33]
	v_add_u32_e32 v36, s54, v91
	v_add_co_u32_e32 v32, vcc, s6, v32
	v_ashrrev_i32_e32 v37, 31, v36
	v_addc_co_u32_e32 v33, vcc, v94, v33, vcc
	v_lshlrev_b64 v[36:37], 2, v[36:37]
	v_add_u32_e32 v38, s55, v91
	v_add_co_u32_e32 v36, vcc, s6, v36
	v_ashrrev_i32_e32 v39, 31, v38
	v_addc_co_u32_e32 v37, vcc, v94, v37, vcc
	v_lshlrev_b64 v[38:39], 2, v[38:39]
	v_add_u32_e32 v40, s56, v91
	v_add_co_u32_e32 v38, vcc, s6, v38
	v_ashrrev_i32_e32 v41, 31, v40
	v_addc_co_u32_e32 v39, vcc, v94, v39, vcc
	v_lshlrev_b64 v[40:41], 2, v[40:41]
	v_add_u32_e32 v42, s57, v91
	v_add_co_u32_e32 v40, vcc, s6, v40
	v_ashrrev_i32_e32 v43, 31, v42
	v_addc_co_u32_e32 v41, vcc, v94, v41, vcc
	v_lshlrev_b64 v[42:43], 2, v[42:43]
	v_add_co_u32_e32 v42, vcc, s6, v42
	v_addc_co_u32_e32 v43, vcc, v94, v43, vcc
	global_load_dword v51, v[26:27], off
	global_load_dword v52, v[28:29], off
	global_load_dword v53, v[30:31], off
	global_load_dword v54, v[32:33], off
	global_load_dword v55, v[36:37], off
	global_load_dword v56, v[38:39], off
	global_load_dword v57, v[40:41], off
	global_load_dword v58, v[42:43], off
	v_add_u32_e32 v26, s58, v91
	v_ashrrev_i32_e32 v27, 31, v26
	v_lshlrev_b64 v[26:27], 2, v[26:27]
	v_add_u32_e32 v28, s59, v91
	v_add_co_u32_e32 v26, vcc, s6, v26
	v_ashrrev_i32_e32 v29, 31, v28
	v_addc_co_u32_e32 v27, vcc, v94, v27, vcc
	v_lshlrev_b64 v[28:29], 2, v[28:29]
	v_add_u32_e32 v30, s60, v91
	v_add_co_u32_e32 v28, vcc, s6, v28
	v_ashrrev_i32_e32 v31, 31, v30
	v_addc_co_u32_e32 v29, vcc, v94, v29, vcc
	v_lshlrev_b64 v[30:31], 2, v[30:31]
	v_add_u32_e32 v32, s61, v91
	v_add_co_u32_e32 v30, vcc, s6, v30
	v_ashrrev_i32_e32 v33, 31, v32
	v_addc_co_u32_e32 v31, vcc, v94, v31, vcc
	v_lshlrev_b64 v[32:33], 2, v[32:33]
	v_add_u32_e32 v36, s62, v91
	v_add_co_u32_e32 v32, vcc, s6, v32
	v_ashrrev_i32_e32 v37, 31, v36
	v_addc_co_u32_e32 v33, vcc, v94, v33, vcc
	v_lshlrev_b64 v[36:37], 2, v[36:37]
	v_add_u32_e32 v38, s63, v91
	v_add_co_u32_e32 v36, vcc, s6, v36
	v_ashrrev_i32_e32 v39, 31, v38
	v_addc_co_u32_e32 v37, vcc, v94, v37, vcc
	v_lshlrev_b64 v[38:39], 2, v[38:39]
	v_add_u32_e32 v40, s64, v91
	v_add_co_u32_e32 v38, vcc, s6, v38
	v_ashrrev_i32_e32 v41, 31, v40
	v_addc_co_u32_e32 v39, vcc, v94, v39, vcc
	v_lshlrev_b64 v[40:41], 2, v[40:41]
	v_add_u32_e32 v42, s65, v91
	v_add_co_u32_e32 v40, vcc, s6, v40
	v_ashrrev_i32_e32 v43, 31, v42
	v_addc_co_u32_e32 v41, vcc, v94, v41, vcc
	v_lshlrev_b64 v[42:43], 2, v[42:43]
	v_add_co_u32_e32 v42, vcc, s6, v42
	v_addc_co_u32_e32 v43, vcc, v94, v43, vcc
	;; [unrolled: 48-line block ×4, first 2 shown]
	global_load_dword v75, v[26:27], off
	global_load_dword v76, v[28:29], off
	;; [unrolled: 1-line block ×8, first 2 shown]
	v_add_u32_e32 v26, s81, v91
	v_ashrrev_i32_e32 v27, 31, v26
	v_lshlrev_b64 v[26:27], 2, v[26:27]
	v_add_u32_e32 v28, s82, v91
	v_add_co_u32_e32 v26, vcc, s6, v26
	v_ashrrev_i32_e32 v29, 31, v28
	v_addc_co_u32_e32 v27, vcc, v94, v27, vcc
	v_lshlrev_b64 v[28:29], 2, v[28:29]
	v_add_u32_e32 v30, s83, v91
	v_add_co_u32_e32 v28, vcc, s6, v28
	v_ashrrev_i32_e32 v31, 31, v30
	v_addc_co_u32_e32 v29, vcc, v94, v29, vcc
	;; [unrolled: 5-line block ×5, first 2 shown]
	v_lshlrev_b64 v[38:39], 2, v[38:39]
	v_add_co_u32_e32 v38, vcc, s6, v38
	v_addc_co_u32_e32 v39, vcc, v94, v39, vcc
	global_load_dword v83, v[26:27], off
	global_load_dword v97, v[28:29], off
	global_load_dword v98, v[30:31], off
	global_load_dword v99, v[32:33], off
	global_load_dword v100, v[36:37], off
	global_load_dword v101, v[38:39], off
	s_waitcnt vmcnt(54)
	ds_write_b32 v92, v12 offset:2376
	s_waitcnt vmcnt(53)
	ds_write_b32 v92, v20 offset:2640
	;; [unrolled: 2-line block ×7, first 2 shown]
	global_load_dwordx2 v[84:85], v[18:19], off
	ds_read_b64 v[38:39], v93
	ds_read_b64 v[32:33], v93 offset:32
	ds_read_b64 v[30:31], v93 offset:64
	ds_read_b64 v[28:29], v93 offset:96
	ds_read_b64 v[26:27], v93 offset:128
	ds_read_b64 v[24:25], v93 offset:160
	ds_read_b64 v[22:23], v93 offset:192
	ds_read_b64 v[20:21], v93 offset:224
	s_waitcnt vmcnt(48)
	ds_write_b32 v92, v13
	s_waitcnt vmcnt(47)
	ds_write_b32 v92, v34 offset:264
	s_waitcnt vmcnt(46)
	ds_write_b32 v92, v35 offset:528
	s_waitcnt vmcnt(45)
	ds_write_b32 v92, v44 offset:792
	s_waitcnt vmcnt(44)
	ds_write_b32 v92, v45 offset:1056
	s_waitcnt vmcnt(43)
	ds_write_b32 v92, v46 offset:1320
	s_waitcnt vmcnt(42)
	ds_write_b32 v92, v47 offset:1584
	s_waitcnt vmcnt(41)
	ds_write_b32 v92, v48 offset:1848
	s_waitcnt vmcnt(40)
	ds_write_b32 v92, v49 offset:2112
	s_waitcnt vmcnt(39)
	ds_write_b32 v92, v50 offset:2376
	s_waitcnt vmcnt(38)
	ds_write_b32 v92, v51 offset:2640
	s_waitcnt vmcnt(37)
	ds_write_b32 v92, v52 offset:2904
	s_waitcnt vmcnt(36)
	ds_write_b32 v92, v53 offset:3168
	s_waitcnt vmcnt(35)
	ds_write_b32 v92, v54 offset:3432
	s_waitcnt vmcnt(34)
	ds_write_b32 v92, v55 offset:3696
	s_waitcnt vmcnt(33)
	ds_write_b32 v92, v56 offset:3960
	ds_read_b64 v[52:53], v93
	ds_read_b64 v[50:51], v93 offset:32
	ds_read_b64 v[46:47], v93 offset:64
	ds_read_b64 v[44:45], v93 offset:96
	ds_read_b64 v[42:43], v93 offset:128
	ds_read_b64 v[40:41], v93 offset:160
	ds_read_b64 v[36:37], v93 offset:192
	ds_read_b64 v[34:35], v93 offset:224
	s_waitcnt vmcnt(32)
	ds_write_b32 v92, v57
	s_waitcnt vmcnt(31)
	ds_write_b32 v92, v58 offset:264
	s_waitcnt vmcnt(30)
	ds_write_b32 v92, v59 offset:528
	s_waitcnt vmcnt(29)
	ds_write_b32 v92, v60 offset:792
	s_waitcnt vmcnt(28)
	ds_write_b32 v92, v61 offset:1056
	s_waitcnt vmcnt(27)
	ds_write_b32 v92, v62 offset:1320
	s_waitcnt vmcnt(26)
	ds_write_b32 v92, v63 offset:1584
	s_waitcnt vmcnt(25)
	ds_write_b32 v92, v64 offset:1848
	s_waitcnt vmcnt(24)
	ds_write_b32 v92, v65 offset:2112
	s_waitcnt vmcnt(23)
	ds_write_b32 v92, v66 offset:2376
	s_waitcnt vmcnt(22)
	ds_write_b32 v92, v67 offset:2640
	s_waitcnt vmcnt(21)
	ds_write_b32 v92, v68 offset:2904
	s_waitcnt vmcnt(20)
	ds_write_b32 v92, v69 offset:3168
	s_waitcnt vmcnt(19)
	ds_write_b32 v92, v70 offset:3432
	s_waitcnt vmcnt(18)
	ds_write_b32 v92, v71 offset:3696
	s_waitcnt vmcnt(17)
	ds_write_b32 v92, v72 offset:3960
	;; [unrolled: 40-line block ×3, first 2 shown]
	ds_read_b64 v[82:83], v93
	ds_read_b64 v[80:81], v93 offset:32
	ds_read_b64 v[78:79], v93 offset:64
	;; [unrolled: 1-line block ×7, first 2 shown]
	s_waitcnt vmcnt(0)
	v_and_b32_e32 v97, 0x7f800000, v84
	v_accvgpr_read_b32 v1, a13
	v_accvgpr_read_b32 v0, a12
	;; [unrolled: 1-line block ×14, first 2 shown]
	v_cmp_ne_u32_e32 vcc, s86, v97
                                        ; implicit-def: $vgpr97
	s_and_saveexec_b64 s[16:17], vcc
	s_xor_b64 s[16:17], exec, s[16:17]
; %bb.6:                                ;   in Loop: Header=BB134_5 Depth=1
	v_bfe_u32 v97, v84, 16, 1
	v_add3_u32 v97, v84, v97, s87
; %bb.7:                                ;   in Loop: Header=BB134_5 Depth=1
	s_andn2_saveexec_b64 s[16:17], s[16:17]
; %bb.8:                                ;   in Loop: Header=BB134_5 Depth=1
	v_or_b32_e32 v97, 0x10000, v84
	v_cmp_eq_u32_sdwa vcc, v84, v95 src0_sel:WORD_0 src1_sel:DWORD
	v_cndmask_b32_e32 v97, v97, v84, vcc
; %bb.9:                                ;   in Loop: Header=BB134_5 Depth=1
	s_or_b64 exec, exec, s[16:17]
	v_and_b32_e32 v84, 0x7f800000, v85
	v_cmp_ne_u32_e32 vcc, s86, v84
                                        ; implicit-def: $vgpr98
	s_and_saveexec_b64 s[16:17], vcc
	s_xor_b64 s[16:17], exec, s[16:17]
; %bb.10:                               ;   in Loop: Header=BB134_5 Depth=1
	v_bfe_u32 v84, v85, 16, 1
	v_add3_u32 v98, v85, v84, s87
                                        ; implicit-def: $vgpr84_vgpr85
; %bb.11:                               ;   in Loop: Header=BB134_5 Depth=1
	s_andn2_saveexec_b64 s[16:17], s[16:17]
; %bb.12:                               ;   in Loop: Header=BB134_5 Depth=1
	v_or_b32_e32 v84, 0x10000, v85
	v_cmp_eq_u32_sdwa vcc, v85, v95 src0_sel:WORD_0 src1_sel:DWORD
	v_cndmask_b32_e32 v98, v84, v85, vcc
; %bb.13:                               ;   in Loop: Header=BB134_5 Depth=1
	s_or_b64 exec, exec, s[16:17]
	v_mov_b32_e32 v85, s13
	v_add_co_u32_e32 v84, vcc, s12, v18
	v_addc_co_u32_e32 v85, vcc, v19, v85, vcc
	global_load_dwordx2 v[84:85], v[84:85], off
	v_perm_b32 v97, v98, v97, s88
	ds_write_b32 v92, v97
	s_waitcnt vmcnt(0)
	v_and_b32_e32 v97, 0x7f800000, v84
	v_cmp_ne_u32_e32 vcc, s86, v97
                                        ; implicit-def: $vgpr97
	s_and_saveexec_b64 s[16:17], vcc
	s_xor_b64 s[16:17], exec, s[16:17]
; %bb.14:                               ;   in Loop: Header=BB134_5 Depth=1
	v_bfe_u32 v97, v84, 16, 1
	v_add3_u32 v97, v84, v97, s87
; %bb.15:                               ;   in Loop: Header=BB134_5 Depth=1
	s_andn2_saveexec_b64 s[16:17], s[16:17]
; %bb.16:                               ;   in Loop: Header=BB134_5 Depth=1
	v_or_b32_e32 v97, 0x10000, v84
	v_cmp_eq_u32_sdwa vcc, v84, v95 src0_sel:WORD_0 src1_sel:DWORD
	v_cndmask_b32_e32 v97, v97, v84, vcc
; %bb.17:                               ;   in Loop: Header=BB134_5 Depth=1
	s_or_b64 exec, exec, s[16:17]
	v_and_b32_e32 v84, 0x7f800000, v85
	v_cmp_ne_u32_e32 vcc, s86, v84
                                        ; implicit-def: $vgpr98
	s_and_saveexec_b64 s[16:17], vcc
	s_xor_b64 s[16:17], exec, s[16:17]
; %bb.18:                               ;   in Loop: Header=BB134_5 Depth=1
	v_bfe_u32 v84, v85, 16, 1
	v_add3_u32 v98, v85, v84, s87
                                        ; implicit-def: $vgpr84_vgpr85
; %bb.19:                               ;   in Loop: Header=BB134_5 Depth=1
	s_andn2_saveexec_b64 s[16:17], s[16:17]
; %bb.20:                               ;   in Loop: Header=BB134_5 Depth=1
	v_or_b32_e32 v84, 0x10000, v85
	v_cmp_eq_u32_sdwa vcc, v85, v95 src0_sel:WORD_0 src1_sel:DWORD
	v_cndmask_b32_e32 v98, v84, v85, vcc
; %bb.21:                               ;   in Loop: Header=BB134_5 Depth=1
	s_or_b64 exec, exec, s[16:17]
	v_add_u32_e32 v84, s21, v91
	v_ashrrev_i32_e32 v85, 31, v84
	v_lshlrev_b64 v[84:85], 3, v[84:85]
	v_mov_b32_e32 v99, s18
	v_add_co_u32_e32 v84, vcc, s14, v84
	v_addc_co_u32_e32 v85, vcc, v99, v85, vcc
	global_load_dwordx2 v[84:85], v[84:85], off
	v_perm_b32 v97, v98, v97, s88
	ds_write_b32 v92, v97 offset:264
	s_waitcnt vmcnt(0)
	v_and_b32_e32 v97, 0x7f800000, v84
	v_cmp_ne_u32_e32 vcc, s86, v97
                                        ; implicit-def: $vgpr97
	s_and_saveexec_b64 s[16:17], vcc
	s_xor_b64 s[16:17], exec, s[16:17]
; %bb.22:                               ;   in Loop: Header=BB134_5 Depth=1
	v_bfe_u32 v97, v84, 16, 1
	v_add3_u32 v97, v84, v97, s87
; %bb.23:                               ;   in Loop: Header=BB134_5 Depth=1
	s_andn2_saveexec_b64 s[16:17], s[16:17]
; %bb.24:                               ;   in Loop: Header=BB134_5 Depth=1
	v_or_b32_e32 v97, 0x10000, v84
	v_cmp_eq_u32_sdwa vcc, v84, v95 src0_sel:WORD_0 src1_sel:DWORD
	v_cndmask_b32_e32 v97, v97, v84, vcc
; %bb.25:                               ;   in Loop: Header=BB134_5 Depth=1
	s_or_b64 exec, exec, s[16:17]
	v_and_b32_e32 v84, 0x7f800000, v85
	v_cmp_ne_u32_e32 vcc, s86, v84
                                        ; implicit-def: $vgpr98
	s_and_saveexec_b64 s[16:17], vcc
	s_xor_b64 s[16:17], exec, s[16:17]
; %bb.26:                               ;   in Loop: Header=BB134_5 Depth=1
	v_bfe_u32 v84, v85, 16, 1
	v_add3_u32 v98, v85, v84, s87
                                        ; implicit-def: $vgpr84_vgpr85
; %bb.27:                               ;   in Loop: Header=BB134_5 Depth=1
	s_andn2_saveexec_b64 s[16:17], s[16:17]
; %bb.28:                               ;   in Loop: Header=BB134_5 Depth=1
	v_or_b32_e32 v84, 0x10000, v85
	v_cmp_eq_u32_sdwa vcc, v85, v95 src0_sel:WORD_0 src1_sel:DWORD
	v_cndmask_b32_e32 v98, v84, v85, vcc
; %bb.29:                               ;   in Loop: Header=BB134_5 Depth=1
	s_or_b64 exec, exec, s[16:17]
	v_add_u32_e32 v84, s22, v91
	v_ashrrev_i32_e32 v85, 31, v84
	v_lshlrev_b64 v[84:85], 3, v[84:85]
	v_mov_b32_e32 v99, s18
	v_add_co_u32_e32 v84, vcc, s14, v84
	v_addc_co_u32_e32 v85, vcc, v99, v85, vcc
	global_load_dwordx2 v[84:85], v[84:85], off
	v_perm_b32 v97, v98, v97, s88
	ds_write_b32 v92, v97 offset:528
	s_waitcnt vmcnt(0)
	v_and_b32_e32 v97, 0x7f800000, v84
	v_cmp_ne_u32_e32 vcc, s86, v97
                                        ; implicit-def: $vgpr97
	s_and_saveexec_b64 s[16:17], vcc
	s_xor_b64 s[16:17], exec, s[16:17]
; %bb.30:                               ;   in Loop: Header=BB134_5 Depth=1
	v_bfe_u32 v97, v84, 16, 1
	v_add3_u32 v97, v84, v97, s87
; %bb.31:                               ;   in Loop: Header=BB134_5 Depth=1
	s_andn2_saveexec_b64 s[16:17], s[16:17]
; %bb.32:                               ;   in Loop: Header=BB134_5 Depth=1
	v_or_b32_e32 v97, 0x10000, v84
	v_cmp_eq_u32_sdwa vcc, v84, v95 src0_sel:WORD_0 src1_sel:DWORD
	v_cndmask_b32_e32 v97, v97, v84, vcc
; %bb.33:                               ;   in Loop: Header=BB134_5 Depth=1
	s_or_b64 exec, exec, s[16:17]
	v_and_b32_e32 v84, 0x7f800000, v85
	v_cmp_ne_u32_e32 vcc, s86, v84
                                        ; implicit-def: $vgpr98
	s_and_saveexec_b64 s[16:17], vcc
	s_xor_b64 s[16:17], exec, s[16:17]
; %bb.34:                               ;   in Loop: Header=BB134_5 Depth=1
	v_bfe_u32 v84, v85, 16, 1
	v_add3_u32 v98, v85, v84, s87
                                        ; implicit-def: $vgpr84_vgpr85
; %bb.35:                               ;   in Loop: Header=BB134_5 Depth=1
	s_andn2_saveexec_b64 s[16:17], s[16:17]
	s_cbranch_execz .LBB134_4
; %bb.36:                               ;   in Loop: Header=BB134_5 Depth=1
	v_or_b32_e32 v84, 0x10000, v85
	v_cmp_eq_u32_sdwa vcc, v85, v95 src0_sel:WORD_0 src1_sel:DWORD
	v_cndmask_b32_e32 v98, v84, v85, vcc
	s_branch .LBB134_4
.LBB134_37:
	s_or_b64 exec, exec, s[0:1]
.LBB134_38:
	s_or_b64 exec, exec, s[24:25]
	v_mul_u32_u24_e32 v0, 0x408, v89
	v_lshlrev_b32_e32 v1, 2, v88
	v_or_b32_e32 v2, 12, v87
	v_add3_u32 v0, 0, v0, v1
	v_and_b32_e32 v1, 0x3f0, v87
	v_and_b32_e32 v2, 0x3fc, v2
	v_add_u32_e32 v1, v0, v1
	v_add_u32_e32 v0, v0, v2
	s_waitcnt lgkmcnt(0)
	s_barrier
	ds_write2_b32 v1, a12, a13 offset1:1
	ds_write_b32 v1, a14 offset:8
	ds_write_b32 v0, a15
	ds_write2_b32 v1, a8, a9 offset0:16 offset1:17
	ds_write_b32 v1, a10 offset:72
	ds_write_b32 v0, a11 offset:64
	ds_write2_b32 v1, a4, a5 offset0:32 offset1:33
	ds_write_b32 v1, a6 offset:136
	ds_write_b32 v0, a7 offset:128
	;; [unrolled: 3-line block ×3, first 2 shown]
	v_mul_u32_u24_e32 v0, 0x408, v86
	v_add3_u32 v2, 0, v0, v90
	s_waitcnt lgkmcnt(0)
	s_barrier
	ds_read2st64_b32 v[0:1], v2 offset1:1
	ds_read2st64_b32 v[2:3], v2 offset0:2 offset1:3
	s_mul_hi_i32 s1, s19, s8
	s_mul_i32 s0, s19, s8
	s_lshl_b64 s[0:1], s[0:1], 2
	s_waitcnt lgkmcnt(1)
	v_add_f32_e32 v0, 0, v0
	v_add_f32_e32 v0, v0, v1
	s_add_u32 s4, s10, s0
	s_mul_i32 s0, s7, s15
	s_waitcnt lgkmcnt(0)
	v_add_f32_e32 v0, v0, v2
	s_addc_u32 s5, s11, s1
	s_ashr_i32 s1, s0, 31
	v_add_f32_e32 v2, v0, v3
	s_lshl_b64 s[0:1], s[0:1], 2
	v_mul_lo_u32 v0, v86, s2
	s_add_u32 s0, s4, s0
	v_add3_u32 v0, s3, v87, v0
	v_mov_b32_e32 v1, 0
	s_addc_u32 s1, s5, s1
	v_lshlrev_b64 v[0:1], 2, v[0:1]
	v_mov_b32_e32 v3, s1
	v_add_co_u32_e32 v0, vcc, s0, v0
	v_addc_co_u32_e32 v1, vcc, v3, v1, vcc
	global_store_dword v[0:1], v2, off
	s_endpgm
	.section	.rodata,"a",@progbits
	.p2align	6, 0x0
	.amdhsa_kernel _ZL9mul_mat_fI15__hip_bfloat162Li64ELi4ELi4ELb0EEvPKT_PKfPKiPfiiiiiiiiiiiiiiii
		.amdhsa_group_segment_fixed_size 0
		.amdhsa_private_segment_fixed_size 0
		.amdhsa_kernarg_size 96
		.amdhsa_user_sgpr_count 6
		.amdhsa_user_sgpr_private_segment_buffer 1
		.amdhsa_user_sgpr_dispatch_ptr 0
		.amdhsa_user_sgpr_queue_ptr 0
		.amdhsa_user_sgpr_kernarg_segment_ptr 1
		.amdhsa_user_sgpr_dispatch_id 0
		.amdhsa_user_sgpr_flat_scratch_init 0
		.amdhsa_user_sgpr_kernarg_preload_length 0
		.amdhsa_user_sgpr_kernarg_preload_offset 0
		.amdhsa_user_sgpr_private_segment_size 0
		.amdhsa_uses_dynamic_stack 0
		.amdhsa_system_sgpr_private_segment_wavefront_offset 0
		.amdhsa_system_sgpr_workgroup_id_x 1
		.amdhsa_system_sgpr_workgroup_id_y 1
		.amdhsa_system_sgpr_workgroup_id_z 1
		.amdhsa_system_sgpr_workgroup_info 0
		.amdhsa_system_vgpr_workitem_id 1
		.amdhsa_next_free_vgpr 128
		.amdhsa_next_free_sgpr 89
		.amdhsa_accum_offset 104
		.amdhsa_reserve_vcc 1
		.amdhsa_reserve_flat_scratch 0
		.amdhsa_float_round_mode_32 0
		.amdhsa_float_round_mode_16_64 0
		.amdhsa_float_denorm_mode_32 3
		.amdhsa_float_denorm_mode_16_64 3
		.amdhsa_dx10_clamp 1
		.amdhsa_ieee_mode 1
		.amdhsa_fp16_overflow 0
		.amdhsa_tg_split 0
		.amdhsa_exception_fp_ieee_invalid_op 0
		.amdhsa_exception_fp_denorm_src 0
		.amdhsa_exception_fp_ieee_div_zero 0
		.amdhsa_exception_fp_ieee_overflow 0
		.amdhsa_exception_fp_ieee_underflow 0
		.amdhsa_exception_fp_ieee_inexact 0
		.amdhsa_exception_int_div_zero 0
	.end_amdhsa_kernel
	.section	.text._ZL9mul_mat_fI15__hip_bfloat162Li64ELi4ELi4ELb0EEvPKT_PKfPKiPfiiiiiiiiiiiiiiii,"axG",@progbits,_ZL9mul_mat_fI15__hip_bfloat162Li64ELi4ELi4ELb0EEvPKT_PKfPKiPfiiiiiiiiiiiiiiii,comdat
.Lfunc_end134:
	.size	_ZL9mul_mat_fI15__hip_bfloat162Li64ELi4ELi4ELb0EEvPKT_PKfPKiPfiiiiiiiiiiiiiiii, .Lfunc_end134-_ZL9mul_mat_fI15__hip_bfloat162Li64ELi4ELi4ELb0EEvPKT_PKfPKiPfiiiiiiiiiiiiiiii
                                        ; -- End function
	.section	.AMDGPU.csdata,"",@progbits
; Kernel info:
; codeLenInByte = 5912
; NumSgprs: 93
; NumVgprs: 102
; NumAgprs: 24
; TotalNumVgprs: 128
; ScratchSize: 0
; MemoryBound: 0
; FloatMode: 240
; IeeeMode: 1
; LDSByteSize: 0 bytes/workgroup (compile time only)
; SGPRBlocks: 11
; VGPRBlocks: 15
; NumSGPRsForWavesPerEU: 93
; NumVGPRsForWavesPerEU: 128
; AccumOffset: 104
; Occupancy: 4
; WaveLimiterHint : 0
; COMPUTE_PGM_RSRC2:SCRATCH_EN: 0
; COMPUTE_PGM_RSRC2:USER_SGPR: 6
; COMPUTE_PGM_RSRC2:TRAP_HANDLER: 0
; COMPUTE_PGM_RSRC2:TGID_X_EN: 1
; COMPUTE_PGM_RSRC2:TGID_Y_EN: 1
; COMPUTE_PGM_RSRC2:TGID_Z_EN: 1
; COMPUTE_PGM_RSRC2:TIDIG_COMP_CNT: 1
; COMPUTE_PGM_RSRC3_GFX90A:ACCUM_OFFSET: 25
; COMPUTE_PGM_RSRC3_GFX90A:TG_SPLIT: 0
	.section	.text._ZL13mul_mat_f_idsI15__hip_bfloat162Li64ELi4ELi5EEvPKT_PKfPKiS7_S7_Pfiiiiiiiiiiiiii15HIP_vector_typeIjLj3EESA_,"axG",@progbits,_ZL13mul_mat_f_idsI15__hip_bfloat162Li64ELi4ELi5EEvPKT_PKfPKiS7_S7_Pfiiiiiiiiiiiiii15HIP_vector_typeIjLj3EESA_,comdat
	.globl	_ZL13mul_mat_f_idsI15__hip_bfloat162Li64ELi4ELi5EEvPKT_PKfPKiS7_S7_Pfiiiiiiiiiiiiii15HIP_vector_typeIjLj3EESA_ ; -- Begin function _ZL13mul_mat_f_idsI15__hip_bfloat162Li64ELi4ELi5EEvPKT_PKfPKiS7_S7_Pfiiiiiiiiiiiiii15HIP_vector_typeIjLj3EESA_
	.p2align	8
	.type	_ZL13mul_mat_f_idsI15__hip_bfloat162Li64ELi4ELi5EEvPKT_PKfPKiS7_S7_Pfiiiiiiiiiiiiii15HIP_vector_typeIjLj3EESA_,@function
_ZL13mul_mat_f_idsI15__hip_bfloat162Li64ELi4ELi5EEvPKT_PKfPKiS7_S7_Pfiiiiiiiiiiiiii15HIP_vector_typeIjLj3EESA_: ; @_ZL13mul_mat_f_idsI15__hip_bfloat162Li64ELi4ELi5EEvPKT_PKfPKiS7_S7_Pfiiiiiiiiiiiiii15HIP_vector_typeIjLj3EESA_
; %bb.0:
	s_load_dwordx2 s[0:1], s[4:5], 0x20
	s_mov_b32 s34, s7
	s_ashr_i32 s35, s7, 31
	s_lshl_b64 s[2:3], s[34:35], 2
	s_waitcnt lgkmcnt(0)
	s_add_u32 s0, s0, s2
	s_addc_u32 s1, s1, s3
	s_load_dwordx2 s[26:27], s[0:1], 0x0
	s_waitcnt lgkmcnt(0)
	s_sub_i32 s28, s27, s26
	s_add_i32 s0, s28, 3
	s_ashr_i32 s1, s0, 31
	s_lshr_b32 s1, s1, 30
	s_add_i32 s0, s0, s1
	s_ashr_i32 s0, s0, 2
	s_cmp_ge_i32 s8, s0
	s_cbranch_scc1 .LBB135_55
; %bb.1:
	v_bfe_u32 v91, v0, 10, 10
	v_lshlrev_b32_e32 v92, 6, v91
	v_and_b32_e32 v90, 0x3ff, v0
	s_load_dwordx4 s[12:15], s[4:5], 0x30
	s_load_dwordx2 s[20:21], s[4:5], 0x40
	s_load_dwordx4 s[0:3], s[4:5], 0x4c
	s_load_dwordx4 s[16:19], s[4:5], 0x68
	s_load_dwordx2 s[24:25], s[4:5], 0x78
	v_add_u32_e32 v94, v92, v90
	s_ashr_i32 s27, s26, 31
	s_waitcnt lgkmcnt(0)
	v_cmp_le_i32_e32 vcc, s12, v94
	v_and_b32_e32 v93, 15, v90
                                        ; implicit-def: $sgpr3
	s_and_saveexec_b64 s[10:11], vcc
	s_xor_b64 s[10:11], exec, s[10:11]
; %bb.2:
	v_and_b32_e32 v93, 15, v90
	s_mov_b32 s3, 0
                                        ; implicit-def: $vgpr94
; %bb.3:
	s_or_saveexec_b64 s[36:37], s[10:11]
	s_load_dwordx2 s[10:11], s[4:5], 0x18
                                        ; implicit-def: $vgpr101 : SGPR spill to VGPR lane
	s_lshl_b32 s22, s6, 6
	s_lshl_b32 s30, s8, 2
	v_mov_b32_e32 v15, s3
	v_mov_b32_e32 v14, s3
	s_waitcnt lgkmcnt(0)
	v_writelane_b32 v101, s10, 0
	v_writelane_b32 v101, s11, 1
	s_load_dwordx2 s[10:11], s[4:5], 0x28
	v_mov_b32_e32 v13, s3
	v_mov_b32_e32 v12, s3
	;; [unrolled: 1-line block ×4, first 2 shown]
	s_waitcnt lgkmcnt(0)
	v_writelane_b32 v101, s10, 2
	v_writelane_b32 v101, s11, 3
	v_mov_b32_e32 v1, s3
	v_mov_b32_e32 v0, s3
	;; [unrolled: 1-line block ×10, first 2 shown]
	v_writelane_b32 v101, s36, 4
	v_writelane_b32 v101, s37, 5
	s_xor_b64 exec, exec, s[36:37]
	s_cbranch_execz .LBB135_51
; %bb.4:
	v_writelane_b32 v101, s24, 6
	v_writelane_b32 v101, s25, 7
	s_load_dwordx4 s[8:11], s[4:5], 0x0
	s_load_dwordx2 s[6:7], s[4:5], 0x10
	s_mul_i32 s4, s34, s0
	v_writelane_b32 v101, s22, 8
	s_mul_i32 s22, s22, s15
	s_ashr_i32 s5, s4, 31
	s_ashr_i32 s23, s22, 31
	s_lshl_b64 s[22:23], s[22:23], 2
	s_lshl_b64 s[4:5], s[4:5], 2
	s_add_u32 s3, s4, s22
	s_addc_u32 s22, s5, s23
	s_waitcnt lgkmcnt(0)
	s_add_u32 s0, s3, s8
	s_addc_u32 s23, s22, s9
	v_writelane_b32 v101, s26, 9
	s_lshl_b64 s[4:5], s[26:27], 2
	s_add_u32 s24, s6, s4
	s_addc_u32 s25, s7, s5
	s_movk_i32 s4, 0x1080
	s_cmp_lt_i32 s30, s28
	v_mad_u32_u24 v0, v91, s4, 0
	s_cselect_b64 s[4:5], -1, 0
	s_ashr_i32 s31, s30, 31
	s_lshl_b64 s[6:7], s[30:31], 2
	s_add_u32 s34, s24, s6
	s_addc_u32 s35, s25, s7
	s_or_b32 s6, s30, 1
	v_lshrrev_b32_e32 v3, 1, v90
	s_cmp_lt_i32 s6, s28
	v_lshlrev_b32_e32 v1, 2, v90
	v_mul_u32_u24_e32 v2, 0x108, v93
	v_and_b32_e32 v3, 0x1f8, v3
	s_cselect_b64 s[36:37], -1, 0
	s_or_b32 s6, s30, 2
	v_writelane_b32 v101, s27, 10
	v_add_u32_e32 v95, v0, v1
	v_add3_u32 v96, v0, v2, v3
	s_cmp_lt_i32 s6, s28
	s_mov_b32 s6, s30
	v_lshlrev_b32_e32 v0, 8, v91
	v_writelane_b32 v101, s6, 11
	v_mov_b32_e32 v2, s22
	v_add_co_u32_e32 v0, vcc, s3, v0
	s_cselect_b64 s[38:39], -1, 0
	v_writelane_b32 v101, s7, 12
	s_or_b32 s6, s30, 3
	v_addc_co_u32_e32 v2, vcc, 0, v2, vcc
	s_cmp_lt_i32 s6, s28
	v_add_co_u32_e32 v0, vcc, v0, v1
	s_cselect_b64 s[40:41], -1, 0
	s_ashr_i32 s7, s15, 31
	s_mov_b32 s6, s15
	v_addc_co_u32_e32 v1, vcc, 0, v2, vcc
	s_lshl_b64 s[42:43], s[6:7], 2
	v_mov_b32_e32 v2, s9
	v_add_co_u32_e32 v16, vcc, s8, v0
	v_mov_b32_e32 v98, 0
	v_writelane_b32 v101, s28, 13
	v_addc_co_u32_e32 v17, vcc, v2, v1, vcc
	s_lshl_b32 s7, s15, 1
	s_mul_i32 s46, s15, 3
	s_lshl_b32 s47, s15, 2
	s_mul_i32 s48, s15, 5
	s_mul_i32 s49, s15, 6
	;; [unrolled: 1-line block ×3, first 2 shown]
	s_lshl_b32 s51, s15, 3
	s_mul_i32 s52, s15, 9
	s_mul_i32 s53, s15, 10
	;; [unrolled: 1-line block ×7, first 2 shown]
	s_lshl_b32 s59, s15, 4
	s_mul_i32 s60, s15, 17
	s_mul_i32 s61, s15, 18
	;; [unrolled: 1-line block ×15, first 2 shown]
	s_lshl_b32 s75, s15, 5
	s_mul_i32 s76, s15, 33
	s_mul_i32 s77, s15, 34
	;; [unrolled: 1-line block ×15, first 2 shown]
	v_mov_b32_e32 v97, s23
	s_mul_i32 s91, s15, 48
	v_mov_b32_e32 v99, s43
	v_mov_b32_e32 v8, 0
	;; [unrolled: 1-line block ×17, first 2 shown]
	s_mul_i32 s43, s15, 49
	s_mul_i32 s92, s15, 50
	;; [unrolled: 1-line block ×15, first 2 shown]
	s_mov_b32 s6, 0x7f800000
	s_movk_i32 s33, 0x7fff
	s_mov_b32 s26, 0x7060302
	s_mov_b64 s[8:9], 0
	s_branch .LBB135_6
.LBB135_5:                              ;   in Loop: Header=BB135_6 Depth=1
	s_or_b64 exec, exec, s[44:45]
	v_perm_b32 v82, v83, v82, s26
	v_add_u32_e32 v83, 0x200, v95
	ds_write2_b32 v83, v82, v98 offset0:70 offset1:136
	v_add_u32_e32 v82, 0x400, v95
	ds_write2_b32 v82, v98, v98 offset0:74 offset1:140
	;; [unrolled: 2-line block ×6, first 2 shown]
	ds_write_b32 v95, v98 offset:3960
	ds_read2_b64 v[82:85], v96 offset1:4
	s_waitcnt lgkmcnt(0)
	v_mfma_f32_16x16x16bf16_1k v[8:11], v[34:35], v[82:83], v[8:11]
	v_add_co_u32_e32 v16, vcc, 0x500, v16
	v_add_u32_e32 v94, 0x140, v94
	v_addc_co_u32_e32 v17, vcc, 0, v17, vcc
	v_cmp_le_i32_e32 vcc, s12, v94
	s_or_b64 s[8:9], vcc, s[8:9]
	v_mfma_f32_16x16x16bf16_1k v[4:7], v[50:51], v[82:83], v[4:7]
	v_mfma_f32_16x16x16bf16_1k v[0:3], v[64:65], v[82:83], v[0:3]
	;; [unrolled: 1-line block ×6, first 2 shown]
	ds_read2_b64 v[62:65], v96 offset0:8 offset1:12
	v_mfma_f32_16x16x16bf16_1k v[12:15], v[78:79], v[84:85], v[12:15]
	s_waitcnt lgkmcnt(0)
	v_mfma_f32_16x16x16bf16_1k v[8:11], v[28:29], v[62:63], v[8:11]
	v_mfma_f32_16x16x16bf16_1k v[4:7], v[44:45], v[62:63], v[4:7]
	;; [unrolled: 1-line block ×5, first 2 shown]
	ds_read2_b64 v[26:29], v96 offset0:16 offset1:20
	v_mfma_f32_16x16x16bf16_1k v[4:7], v[42:43], v[64:65], v[4:7]
	v_mfma_f32_16x16x16bf16_1k v[0:3], v[58:59], v[64:65], v[0:3]
	;; [unrolled: 1-line block ×3, first 2 shown]
	s_waitcnt lgkmcnt(0)
	v_mfma_f32_16x16x16bf16_1k v[8:11], v[24:25], v[26:27], v[8:11]
	v_mfma_f32_16x16x16bf16_1k v[4:7], v[40:41], v[26:27], v[4:7]
	v_mfma_f32_16x16x16bf16_1k v[0:3], v[56:57], v[26:27], v[0:3]
	v_mfma_f32_16x16x16bf16_1k v[12:15], v[72:73], v[26:27], v[12:15]
	v_mfma_f32_16x16x16bf16_1k v[8:11], v[22:23], v[28:29], v[8:11]
	ds_read2_b64 v[22:25], v96 offset0:24 offset1:28
	v_mfma_f32_16x16x16bf16_1k v[4:7], v[38:39], v[28:29], v[4:7]
	v_mfma_f32_16x16x16bf16_1k v[0:3], v[54:55], v[28:29], v[0:3]
	;; [unrolled: 1-line block ×3, first 2 shown]
	s_waitcnt lgkmcnt(0)
	v_mfma_f32_16x16x16bf16_1k v[8:11], v[20:21], v[22:23], v[8:11]
	v_mfma_f32_16x16x16bf16_1k v[4:7], v[36:37], v[22:23], v[4:7]
	;; [unrolled: 1-line block ×8, first 2 shown]
	s_andn2_b64 exec, exec, s[8:9]
	s_cbranch_execz .LBB135_50
.LBB135_6:                              ; =>This Inner Loop Header: Depth=1
	v_add_co_u32_e32 v18, vcc, s42, v16
	v_addc_co_u32_e32 v19, vcc, v17, v99, vcc
	global_load_dword v30, v[16:17], off
	global_load_dword v31, v[18:19], off
	v_add_u32_e32 v18, s7, v94
	v_ashrrev_i32_e32 v19, 31, v18
	v_lshlrev_b64 v[18:19], 2, v[18:19]
	v_add_u32_e32 v20, s46, v94
	v_add_co_u32_e32 v18, vcc, s0, v18
	v_ashrrev_i32_e32 v21, 31, v20
	v_addc_co_u32_e32 v19, vcc, v97, v19, vcc
	v_lshlrev_b64 v[20:21], 2, v[20:21]
	v_add_u32_e32 v22, s47, v94
	v_add_co_u32_e32 v20, vcc, s0, v20
	v_ashrrev_i32_e32 v23, 31, v22
	v_addc_co_u32_e32 v21, vcc, v97, v21, vcc
	v_lshlrev_b64 v[22:23], 2, v[22:23]
	v_add_u32_e32 v24, s48, v94
	v_add_co_u32_e32 v22, vcc, s0, v22
	v_ashrrev_i32_e32 v25, 31, v24
	v_addc_co_u32_e32 v23, vcc, v97, v23, vcc
	v_lshlrev_b64 v[24:25], 2, v[24:25]
	v_add_u32_e32 v26, s49, v94
	v_add_co_u32_e32 v24, vcc, s0, v24
	v_ashrrev_i32_e32 v27, 31, v26
	v_addc_co_u32_e32 v25, vcc, v97, v25, vcc
	v_lshlrev_b64 v[26:27], 2, v[26:27]
	v_add_u32_e32 v28, s50, v94
	v_add_co_u32_e32 v26, vcc, s0, v26
	v_ashrrev_i32_e32 v29, 31, v28
	v_addc_co_u32_e32 v27, vcc, v97, v27, vcc
	v_lshlrev_b64 v[28:29], 2, v[28:29]
	v_add_co_u32_e32 v28, vcc, s0, v28
	v_addc_co_u32_e32 v29, vcc, v97, v29, vcc
	global_load_dword v32, v[18:19], off
	global_load_dword v33, v[20:21], off
	;; [unrolled: 1-line block ×3, first 2 shown]
	s_nop 0
	global_load_dword v24, v[24:25], off
	s_nop 0
	global_load_dword v25, v[26:27], off
	;; [unrolled: 2-line block ×3, first 2 shown]
	v_add_u32_e32 v18, s51, v94
	v_ashrrev_i32_e32 v19, 31, v18
	v_add_u32_e32 v20, s52, v94
	v_lshlrev_b64 v[18:19], 2, v[18:19]
	v_ashrrev_i32_e32 v21, 31, v20
	v_add_co_u32_e32 v18, vcc, s0, v18
	v_add_u32_e32 v22, s53, v94
	v_lshlrev_b64 v[20:21], 2, v[20:21]
	v_addc_co_u32_e32 v19, vcc, v97, v19, vcc
	v_ashrrev_i32_e32 v23, 31, v22
	v_add_co_u32_e32 v20, vcc, s0, v20
	v_lshlrev_b64 v[22:23], 2, v[22:23]
	v_addc_co_u32_e32 v21, vcc, v97, v21, vcc
	global_load_dword v18, v[18:19], off
	s_nop 0
	global_load_dword v19, v[20:21], off
	v_add_u32_e32 v20, s54, v94
	v_add_co_u32_e32 v22, vcc, s0, v22
	v_ashrrev_i32_e32 v21, 31, v20
	v_addc_co_u32_e32 v23, vcc, v97, v23, vcc
	v_lshlrev_b64 v[20:21], 2, v[20:21]
	v_add_u32_e32 v58, s84, v94
	v_ashrrev_i32_e32 v59, 31, v58
	v_lshlrev_b64 v[58:59], 2, v[58:59]
	s_waitcnt vmcnt(9)
	ds_write_b32 v95, v30
	s_waitcnt vmcnt(8)
	ds_write_b32 v95, v31 offset:264
	s_waitcnt vmcnt(7)
	ds_write_b32 v95, v32 offset:528
	;; [unrolled: 2-line block ×7, first 2 shown]
	v_add_co_u32_e32 v24, vcc, s0, v20
	v_add_u32_e32 v20, s55, v94
	v_addc_co_u32_e32 v25, vcc, v97, v21, vcc
	v_ashrrev_i32_e32 v21, 31, v20
	v_lshlrev_b64 v[20:21], 2, v[20:21]
	v_add_co_u32_e32 v26, vcc, s0, v20
	v_add_u32_e32 v20, s56, v94
	v_addc_co_u32_e32 v27, vcc, v97, v21, vcc
	v_ashrrev_i32_e32 v21, 31, v20
	v_lshlrev_b64 v[20:21], 2, v[20:21]
	;; [unrolled: 5-line block ×6, first 2 shown]
	v_add_co_u32_e32 v36, vcc, s0, v20
	v_addc_co_u32_e32 v37, vcc, v97, v21, vcc
	global_load_dword v20, v[22:23], off
	global_load_dword v21, v[24:25], off
	s_nop 0
	global_load_dword v22, v[26:27], off
	global_load_dword v23, v[28:29], off
	global_load_dword v24, v[30:31], off
	global_load_dword v25, v[32:33], off
	s_nop 0
	global_load_dword v32, v[34:35], off
	global_load_dword v33, v[36:37], off
	v_add_u32_e32 v26, s61, v94
	v_ashrrev_i32_e32 v27, 31, v26
	v_lshlrev_b64 v[26:27], 2, v[26:27]
	v_add_u32_e32 v28, s62, v94
	v_add_co_u32_e32 v26, vcc, s0, v26
	v_ashrrev_i32_e32 v29, 31, v28
	v_addc_co_u32_e32 v27, vcc, v97, v27, vcc
	v_lshlrev_b64 v[28:29], 2, v[28:29]
	v_add_u32_e32 v30, s63, v94
	v_add_co_u32_e32 v28, vcc, s0, v28
	v_ashrrev_i32_e32 v31, 31, v30
	v_addc_co_u32_e32 v29, vcc, v97, v29, vcc
	;; [unrolled: 5-line block ×4, first 2 shown]
	v_lshlrev_b64 v[36:37], 2, v[36:37]
	v_add_co_u32_e32 v40, vcc, s0, v36
	v_add_u32_e32 v36, s66, v94
	v_addc_co_u32_e32 v41, vcc, v97, v37, vcc
	v_ashrrev_i32_e32 v37, 31, v36
	v_lshlrev_b64 v[36:37], 2, v[36:37]
	v_add_co_u32_e32 v42, vcc, s0, v36
	v_add_u32_e32 v36, s67, v94
	v_addc_co_u32_e32 v43, vcc, v97, v37, vcc
	v_ashrrev_i32_e32 v37, 31, v36
	;; [unrolled: 5-line block ×3, first 2 shown]
	v_lshlrev_b64 v[36:37], 2, v[36:37]
	v_add_co_u32_e32 v46, vcc, s0, v36
	v_addc_co_u32_e32 v47, vcc, v97, v37, vcc
	global_load_dword v36, v[26:27], off
	global_load_dword v37, v[28:29], off
	;; [unrolled: 1-line block ×4, first 2 shown]
	s_nop 0
	global_load_dword v40, v[40:41], off
	s_nop 0
	global_load_dword v41, v[42:43], off
	;; [unrolled: 2-line block ×3, first 2 shown]
	global_load_dword v43, v[46:47], off
	v_add_u32_e32 v26, s69, v94
	v_ashrrev_i32_e32 v27, 31, v26
	v_lshlrev_b64 v[26:27], 2, v[26:27]
	v_add_u32_e32 v28, s70, v94
	v_add_co_u32_e32 v26, vcc, s0, v26
	v_ashrrev_i32_e32 v29, 31, v28
	v_addc_co_u32_e32 v27, vcc, v97, v27, vcc
	v_lshlrev_b64 v[28:29], 2, v[28:29]
	v_add_u32_e32 v30, s71, v94
	v_add_co_u32_e32 v28, vcc, s0, v28
	v_ashrrev_i32_e32 v31, 31, v30
	v_addc_co_u32_e32 v29, vcc, v97, v29, vcc
	;; [unrolled: 5-line block ×4, first 2 shown]
	v_lshlrev_b64 v[44:45], 2, v[44:45]
	v_add_co_u32_e32 v48, vcc, s0, v44
	v_add_u32_e32 v44, s74, v94
	v_addc_co_u32_e32 v49, vcc, v97, v45, vcc
	v_ashrrev_i32_e32 v45, 31, v44
	v_lshlrev_b64 v[44:45], 2, v[44:45]
	v_add_co_u32_e32 v52, vcc, s0, v44
	v_add_u32_e32 v44, s75, v94
	v_addc_co_u32_e32 v53, vcc, v97, v45, vcc
	v_ashrrev_i32_e32 v45, 31, v44
	;; [unrolled: 5-line block ×3, first 2 shown]
	v_lshlrev_b64 v[44:45], 2, v[44:45]
	v_add_co_u32_e32 v56, vcc, s0, v44
	v_addc_co_u32_e32 v57, vcc, v97, v45, vcc
	global_load_dword v44, v[26:27], off
	global_load_dword v45, v[28:29], off
	;; [unrolled: 1-line block ×6, first 2 shown]
	s_nop 0
	global_load_dword v48, v[54:55], off
	global_load_dword v49, v[56:57], off
	v_add_u32_e32 v26, s77, v94
	v_ashrrev_i32_e32 v27, 31, v26
	v_lshlrev_b64 v[26:27], 2, v[26:27]
	v_add_u32_e32 v28, s78, v94
	v_add_co_u32_e32 v26, vcc, s0, v26
	v_ashrrev_i32_e32 v29, 31, v28
	v_addc_co_u32_e32 v27, vcc, v97, v27, vcc
	v_lshlrev_b64 v[28:29], 2, v[28:29]
	v_add_u32_e32 v30, s79, v94
	v_add_co_u32_e32 v28, vcc, s0, v28
	v_ashrrev_i32_e32 v31, 31, v30
	v_addc_co_u32_e32 v29, vcc, v97, v29, vcc
	;; [unrolled: 5-line block ×6, first 2 shown]
	v_lshlrev_b64 v[56:57], 2, v[56:57]
	v_add_co_u32_e32 v56, vcc, s0, v56
	v_addc_co_u32_e32 v57, vcc, v97, v57, vcc
	v_add_co_u32_e32 v58, vcc, s0, v58
	v_addc_co_u32_e32 v59, vcc, v97, v59, vcc
	global_load_dword v60, v[26:27], off
	global_load_dword v61, v[28:29], off
	;; [unrolled: 1-line block ×8, first 2 shown]
	v_add_u32_e32 v26, s85, v94
	v_ashrrev_i32_e32 v27, 31, v26
	v_lshlrev_b64 v[26:27], 2, v[26:27]
	v_add_u32_e32 v28, s86, v94
	v_add_co_u32_e32 v26, vcc, s0, v26
	v_ashrrev_i32_e32 v29, 31, v28
	v_addc_co_u32_e32 v27, vcc, v97, v27, vcc
	v_lshlrev_b64 v[28:29], 2, v[28:29]
	v_add_u32_e32 v30, s87, v94
	v_add_co_u32_e32 v28, vcc, s0, v28
	v_ashrrev_i32_e32 v31, 31, v30
	v_addc_co_u32_e32 v29, vcc, v97, v29, vcc
	;; [unrolled: 5-line block ×7, first 2 shown]
	v_lshlrev_b64 v[58:59], 2, v[58:59]
	v_add_co_u32_e32 v58, vcc, s0, v58
	v_addc_co_u32_e32 v59, vcc, v97, v59, vcc
	global_load_dword v68, v[26:27], off
	global_load_dword v69, v[28:29], off
	;; [unrolled: 1-line block ×8, first 2 shown]
	v_add_u32_e32 v26, s92, v94
	v_ashrrev_i32_e32 v27, 31, v26
	v_lshlrev_b64 v[26:27], 2, v[26:27]
	v_add_u32_e32 v28, s93, v94
	v_add_co_u32_e32 v26, vcc, s0, v26
	v_ashrrev_i32_e32 v29, 31, v28
	v_addc_co_u32_e32 v27, vcc, v97, v27, vcc
	v_lshlrev_b64 v[28:29], 2, v[28:29]
	v_add_u32_e32 v30, s94, v94
	v_add_co_u32_e32 v28, vcc, s0, v28
	v_ashrrev_i32_e32 v31, 31, v30
	v_addc_co_u32_e32 v29, vcc, v97, v29, vcc
	v_lshlrev_b64 v[30:31], 2, v[30:31]
	v_add_u32_e32 v34, s95, v94
	v_add_co_u32_e32 v30, vcc, s0, v30
	v_ashrrev_i32_e32 v35, 31, v34
	v_addc_co_u32_e32 v31, vcc, v97, v31, vcc
	v_lshlrev_b64 v[34:35], 2, v[34:35]
	v_add_u32_e32 v52, s24, v94
	v_add_co_u32_e32 v34, vcc, s0, v34
	v_ashrrev_i32_e32 v53, 31, v52
	v_addc_co_u32_e32 v35, vcc, v97, v35, vcc
	v_lshlrev_b64 v[52:53], 2, v[52:53]
	v_add_u32_e32 v54, s25, v94
	v_add_co_u32_e32 v52, vcc, s0, v52
	v_ashrrev_i32_e32 v55, 31, v54
	v_addc_co_u32_e32 v53, vcc, v97, v53, vcc
	v_lshlrev_b64 v[54:55], 2, v[54:55]
	v_add_u32_e32 v56, s22, v94
	v_add_co_u32_e32 v54, vcc, s0, v54
	v_ashrrev_i32_e32 v57, 31, v56
	v_addc_co_u32_e32 v55, vcc, v97, v55, vcc
	v_lshlrev_b64 v[56:57], 2, v[56:57]
	v_add_u32_e32 v58, s23, v94
	v_add_co_u32_e32 v56, vcc, s0, v56
	v_ashrrev_i32_e32 v59, 31, v58
	v_addc_co_u32_e32 v57, vcc, v97, v57, vcc
	v_lshlrev_b64 v[58:59], 2, v[58:59]
	v_add_co_u32_e32 v58, vcc, s0, v58
	v_addc_co_u32_e32 v59, vcc, v97, v59, vcc
	global_load_dword v76, v[26:27], off
	global_load_dword v77, v[28:29], off
	;; [unrolled: 1-line block ×8, first 2 shown]
	v_add_u32_e32 v26, s28, v94
	v_ashrrev_i32_e32 v27, 31, v26
	v_lshlrev_b64 v[26:27], 2, v[26:27]
	v_add_u32_e32 v28, s29, v94
	v_add_co_u32_e32 v26, vcc, s0, v26
	v_ashrrev_i32_e32 v29, 31, v28
	v_addc_co_u32_e32 v27, vcc, v97, v27, vcc
	v_lshlrev_b64 v[28:29], 2, v[28:29]
	v_add_u32_e32 v30, s3, v94
	v_add_co_u32_e32 v28, vcc, s0, v28
	v_ashrrev_i32_e32 v31, 31, v30
	v_addc_co_u32_e32 v29, vcc, v97, v29, vcc
	;; [unrolled: 5-line block ×5, first 2 shown]
	v_lshlrev_b64 v[54:55], 2, v[54:55]
	v_add_co_u32_e32 v54, vcc, s0, v54
	v_addc_co_u32_e32 v55, vcc, v97, v55, vcc
	global_load_dword v84, v[26:27], off
	global_load_dword v85, v[28:29], off
	;; [unrolled: 1-line block ×6, first 2 shown]
	s_waitcnt vmcnt(55)
	ds_write_b32 v95, v18 offset:2112
	s_waitcnt vmcnt(54)
	ds_write_b32 v95, v19 offset:2376
	s_waitcnt vmcnt(53)
	ds_write_b32 v95, v20 offset:2640
	s_waitcnt vmcnt(52)
	ds_write_b32 v95, v21 offset:2904
	s_waitcnt vmcnt(51)
	ds_write_b32 v95, v22 offset:3168
	s_waitcnt vmcnt(50)
	ds_write_b32 v95, v23 offset:3432
	s_waitcnt vmcnt(49)
	ds_write_b32 v95, v24 offset:3696
	s_waitcnt vmcnt(48)
	ds_write_b32 v95, v25 offset:3960
	ds_read_b64 v[34:35], v96
	ds_read_b64 v[30:31], v96 offset:32
	ds_read_b64 v[28:29], v96 offset:64
	ds_read_b64 v[26:27], v96 offset:96
	ds_read_b64 v[24:25], v96 offset:128
	ds_read_b64 v[22:23], v96 offset:160
	ds_read_b64 v[20:21], v96 offset:192
	ds_read_b64 v[18:19], v96 offset:224
	s_waitcnt vmcnt(47)
	ds_write_b32 v95, v32
	s_waitcnt vmcnt(46)
	ds_write_b32 v95, v33 offset:264
	s_waitcnt vmcnt(45)
	ds_write_b32 v95, v36 offset:528
	s_waitcnt vmcnt(44)
	ds_write_b32 v95, v37 offset:792
	s_waitcnt vmcnt(43)
	ds_write_b32 v95, v38 offset:1056
	s_waitcnt vmcnt(42)
	ds_write_b32 v95, v39 offset:1320
	s_waitcnt vmcnt(41)
	ds_write_b32 v95, v40 offset:1584
	s_waitcnt vmcnt(40)
	ds_write_b32 v95, v41 offset:1848
	s_waitcnt vmcnt(39)
	ds_write_b32 v95, v42 offset:2112
	s_waitcnt vmcnt(38)
	ds_write_b32 v95, v43 offset:2376
	s_waitcnt vmcnt(37)
	ds_write_b32 v95, v44 offset:2640
	s_waitcnt vmcnt(36)
	ds_write_b32 v95, v45 offset:2904
	s_waitcnt vmcnt(35)
	ds_write_b32 v95, v46 offset:3168
	s_waitcnt vmcnt(34)
	ds_write_b32 v95, v47 offset:3432
	s_waitcnt vmcnt(33)
	ds_write_b32 v95, v50 offset:3696
	s_waitcnt vmcnt(32)
	ds_write_b32 v95, v51 offset:3960
	ds_read_b64 v[50:51], v96
	ds_read_b64 v[46:47], v96 offset:32
	ds_read_b64 v[44:45], v96 offset:64
	ds_read_b64 v[42:43], v96 offset:96
	ds_read_b64 v[40:41], v96 offset:128
	ds_read_b64 v[38:39], v96 offset:160
	ds_read_b64 v[36:37], v96 offset:192
	ds_read_b64 v[32:33], v96 offset:224
	s_waitcnt vmcnt(31)
	ds_write_b32 v95, v48
	s_waitcnt vmcnt(30)
	ds_write_b32 v95, v49 offset:264
	s_waitcnt vmcnt(29)
	ds_write_b32 v95, v60 offset:528
	s_waitcnt vmcnt(28)
	ds_write_b32 v95, v61 offset:792
	s_waitcnt vmcnt(27)
	ds_write_b32 v95, v62 offset:1056
	s_waitcnt vmcnt(26)
	ds_write_b32 v95, v63 offset:1320
	s_waitcnt vmcnt(25)
	ds_write_b32 v95, v64 offset:1584
	s_waitcnt vmcnt(24)
	ds_write_b32 v95, v65 offset:1848
	;; [unrolled: 40-line block ×3, first 2 shown]
	s_waitcnt vmcnt(7)
	ds_write_b32 v95, v82 offset:2112
	s_waitcnt vmcnt(6)
	ds_write_b32 v95, v83 offset:2376
	;; [unrolled: 2-line block ×8, first 2 shown]
	ds_read_b64 v[80:81], v96
	ds_read_b64 v[78:79], v96 offset:32
	ds_read_b64 v[76:77], v96 offset:64
	;; [unrolled: 1-line block ×7, first 2 shown]
	s_andn2_b64 vcc, exec, s[4:5]
	v_mov_b32_e32 v88, 0
	v_mov_b32_e32 v89, 0
	s_cbranch_vccnz .LBB135_9
; %bb.7:                                ;   in Loop: Header=BB135_6 Depth=1
	s_load_dword s27, s[34:35], 0x0
	v_mov_b32_e32 v89, 0
	v_mov_b32_e32 v88, 0
	s_waitcnt lgkmcnt(0)
	s_mul_hi_u32 s44, s27, s16
	s_add_i32 s44, s27, s44
	s_lshr_b32 s44, s44, s17
	s_cmp_ge_i32 s44, s13
	s_cbranch_scc1 .LBB135_9
; %bb.8:                                ;   in Loop: Header=BB135_6 Depth=1
	s_mul_i32 s45, s44, s18
	s_sub_i32 s27, s27, s45
	s_mul_i32 s44, s44, s20
	s_mul_i32 s27, s27, s1
	v_add_u32_e32 v82, s44, v94
	v_lshl_add_u32 v82, v82, 1, s27
	v_ashrrev_i32_e32 v83, 31, v82
	v_lshlrev_b64 v[82:83], 2, v[82:83]
	v_mov_b32_e32 v84, s11
	v_add_co_u32_e32 v82, vcc, s10, v82
	v_addc_co_u32_e32 v83, vcc, v84, v83, vcc
	global_load_dwordx2 v[88:89], v[82:83], off
.LBB135_9:                              ;   in Loop: Header=BB135_6 Depth=1
	s_andn2_b64 vcc, exec, s[36:37]
	v_mov_b32_e32 v82, 0
	v_mov_b32_e32 v86, 0
	;; [unrolled: 1-line block ×3, first 2 shown]
	s_cbranch_vccnz .LBB135_12
; %bb.10:                               ;   in Loop: Header=BB135_6 Depth=1
	s_load_dword s27, s[34:35], 0x4
	v_mov_b32_e32 v87, 0
	v_mov_b32_e32 v86, 0
	s_waitcnt lgkmcnt(0)
	s_mul_hi_u32 s44, s27, s16
	s_add_i32 s44, s27, s44
	s_lshr_b32 s44, s44, s17
	s_cmp_ge_i32 s44, s13
	s_cbranch_scc1 .LBB135_12
; %bb.11:                               ;   in Loop: Header=BB135_6 Depth=1
	s_mul_i32 s45, s44, s18
	s_sub_i32 s27, s27, s45
	s_mul_i32 s44, s44, s20
	s_mul_i32 s27, s27, s1
	v_add_u32_e32 v83, s44, v94
	v_lshl_add_u32 v84, v83, 1, s27
	v_ashrrev_i32_e32 v85, 31, v84
	v_lshlrev_b64 v[84:85], 2, v[84:85]
	v_mov_b32_e32 v83, s11
	v_add_co_u32_e32 v84, vcc, s10, v84
	v_addc_co_u32_e32 v85, vcc, v83, v85, vcc
	global_load_dwordx2 v[86:87], v[84:85], off
.LBB135_12:                             ;   in Loop: Header=BB135_6 Depth=1
	s_andn2_b64 vcc, exec, s[38:39]
	v_mov_b32_e32 v83, 0
	s_cbranch_vccnz .LBB135_15
; %bb.13:                               ;   in Loop: Header=BB135_6 Depth=1
	s_load_dword s27, s[34:35], 0x8
	v_mov_b32_e32 v83, 0
	v_mov_b32_e32 v82, 0
	s_waitcnt lgkmcnt(0)
	s_mul_hi_u32 s44, s27, s16
	s_add_i32 s44, s27, s44
	s_lshr_b32 s44, s44, s17
	s_cmp_ge_i32 s44, s13
	s_cbranch_scc1 .LBB135_15
; %bb.14:                               ;   in Loop: Header=BB135_6 Depth=1
	s_mul_i32 s45, s44, s18
	s_sub_i32 s27, s27, s45
	s_mul_i32 s44, s44, s20
	s_mul_i32 s27, s27, s1
	v_add_u32_e32 v82, s44, v94
	v_lshl_add_u32 v82, v82, 1, s27
	v_ashrrev_i32_e32 v83, 31, v82
	v_lshlrev_b64 v[82:83], 2, v[82:83]
	v_mov_b32_e32 v84, s11
	v_add_co_u32_e32 v82, vcc, s10, v82
	v_addc_co_u32_e32 v83, vcc, v84, v83, vcc
	global_load_dwordx2 v[82:83], v[82:83], off
.LBB135_15:                             ;   in Loop: Header=BB135_6 Depth=1
	s_andn2_b64 vcc, exec, s[40:41]
	v_mov_b32_e32 v84, 0
	v_mov_b32_e32 v85, 0
	s_cbranch_vccnz .LBB135_18
; %bb.16:                               ;   in Loop: Header=BB135_6 Depth=1
	s_load_dword s27, s[34:35], 0xc
	v_mov_b32_e32 v85, 0
	v_mov_b32_e32 v84, 0
	s_waitcnt lgkmcnt(0)
	s_mul_hi_u32 s44, s27, s16
	s_add_i32 s44, s27, s44
	s_lshr_b32 s44, s44, s17
	s_cmp_ge_i32 s44, s13
	s_cbranch_scc1 .LBB135_18
; %bb.17:                               ;   in Loop: Header=BB135_6 Depth=1
	s_mul_i32 s45, s44, s18
	s_sub_i32 s27, s27, s45
	s_mul_i32 s44, s44, s20
	s_mul_i32 s27, s27, s1
	v_add_u32_e32 v84, s44, v94
	v_lshl_add_u32 v84, v84, 1, s27
	v_ashrrev_i32_e32 v85, 31, v84
	v_lshlrev_b64 v[84:85], 2, v[84:85]
	v_mov_b32_e32 v100, s11
	v_add_co_u32_e32 v84, vcc, s10, v84
	v_addc_co_u32_e32 v85, vcc, v100, v85, vcc
	global_load_dwordx2 v[84:85], v[84:85], off
.LBB135_18:                             ;   in Loop: Header=BB135_6 Depth=1
	s_waitcnt vmcnt(0)
	v_and_b32_e32 v100, 0x7f800000, v88
	v_cmp_ne_u32_e32 vcc, s6, v100
                                        ; implicit-def: $vgpr100
	s_and_saveexec_b64 s[44:45], vcc
	s_xor_b64 s[44:45], exec, s[44:45]
; %bb.19:                               ;   in Loop: Header=BB135_6 Depth=1
	v_bfe_u32 v100, v88, 16, 1
	v_add3_u32 v100, v88, v100, s33
; %bb.20:                               ;   in Loop: Header=BB135_6 Depth=1
	s_andn2_saveexec_b64 s[44:45], s[44:45]
; %bb.21:                               ;   in Loop: Header=BB135_6 Depth=1
	v_or_b32_e32 v100, 0x10000, v88
	v_cmp_eq_u32_sdwa vcc, v88, v98 src0_sel:WORD_0 src1_sel:DWORD
	v_cndmask_b32_e32 v100, v100, v88, vcc
; %bb.22:                               ;   in Loop: Header=BB135_6 Depth=1
	s_or_b64 exec, exec, s[44:45]
	v_and_b32_e32 v88, 0x7f800000, v89
	v_cmp_ne_u32_e32 vcc, s6, v88
                                        ; implicit-def: $vgpr88
	s_and_saveexec_b64 s[44:45], vcc
	s_xor_b64 s[44:45], exec, s[44:45]
; %bb.23:                               ;   in Loop: Header=BB135_6 Depth=1
	v_bfe_u32 v88, v89, 16, 1
	v_add3_u32 v88, v89, v88, s33
                                        ; implicit-def: $vgpr89
; %bb.24:                               ;   in Loop: Header=BB135_6 Depth=1
	s_andn2_saveexec_b64 s[44:45], s[44:45]
; %bb.25:                               ;   in Loop: Header=BB135_6 Depth=1
	v_or_b32_e32 v88, 0x10000, v89
	v_cmp_eq_u32_sdwa vcc, v89, v98 src0_sel:WORD_0 src1_sel:DWORD
	v_cndmask_b32_e32 v88, v88, v89, vcc
; %bb.26:                               ;   in Loop: Header=BB135_6 Depth=1
	s_or_b64 exec, exec, s[44:45]
	v_perm_b32 v88, v88, v100, s26
	ds_write_b32 v95, v88
	v_and_b32_e32 v88, 0x7f800000, v86
	v_cmp_ne_u32_e32 vcc, s6, v88
                                        ; implicit-def: $vgpr88
	s_and_saveexec_b64 s[44:45], vcc
	s_xor_b64 s[44:45], exec, s[44:45]
; %bb.27:                               ;   in Loop: Header=BB135_6 Depth=1
	v_bfe_u32 v88, v86, 16, 1
	v_add3_u32 v88, v86, v88, s33
; %bb.28:                               ;   in Loop: Header=BB135_6 Depth=1
	s_andn2_saveexec_b64 s[44:45], s[44:45]
; %bb.29:                               ;   in Loop: Header=BB135_6 Depth=1
	v_or_b32_e32 v88, 0x10000, v86
	v_cmp_eq_u32_sdwa vcc, v86, v98 src0_sel:WORD_0 src1_sel:DWORD
	v_cndmask_b32_e32 v88, v88, v86, vcc
; %bb.30:                               ;   in Loop: Header=BB135_6 Depth=1
	s_or_b64 exec, exec, s[44:45]
	v_and_b32_e32 v86, 0x7f800000, v87
	v_cmp_ne_u32_e32 vcc, s6, v86
                                        ; implicit-def: $vgpr86
	s_and_saveexec_b64 s[44:45], vcc
	s_xor_b64 s[44:45], exec, s[44:45]
; %bb.31:                               ;   in Loop: Header=BB135_6 Depth=1
	v_bfe_u32 v86, v87, 16, 1
	v_add3_u32 v86, v87, v86, s33
                                        ; implicit-def: $vgpr87
; %bb.32:                               ;   in Loop: Header=BB135_6 Depth=1
	s_andn2_saveexec_b64 s[44:45], s[44:45]
; %bb.33:                               ;   in Loop: Header=BB135_6 Depth=1
	v_or_b32_e32 v86, 0x10000, v87
	v_cmp_eq_u32_sdwa vcc, v87, v98 src0_sel:WORD_0 src1_sel:DWORD
	v_cndmask_b32_e32 v86, v86, v87, vcc
; %bb.34:                               ;   in Loop: Header=BB135_6 Depth=1
	s_or_b64 exec, exec, s[44:45]
	v_perm_b32 v86, v86, v88, s26
	ds_write_b32 v95, v86 offset:264
	v_and_b32_e32 v86, 0x7f800000, v82
	v_cmp_ne_u32_e32 vcc, s6, v86
                                        ; implicit-def: $vgpr86
	s_and_saveexec_b64 s[44:45], vcc
	s_xor_b64 s[44:45], exec, s[44:45]
; %bb.35:                               ;   in Loop: Header=BB135_6 Depth=1
	v_bfe_u32 v86, v82, 16, 1
	v_add3_u32 v86, v82, v86, s33
; %bb.36:                               ;   in Loop: Header=BB135_6 Depth=1
	s_andn2_saveexec_b64 s[44:45], s[44:45]
; %bb.37:                               ;   in Loop: Header=BB135_6 Depth=1
	v_or_b32_e32 v86, 0x10000, v82
	v_cmp_eq_u32_sdwa vcc, v82, v98 src0_sel:WORD_0 src1_sel:DWORD
	v_cndmask_b32_e32 v86, v86, v82, vcc
; %bb.38:                               ;   in Loop: Header=BB135_6 Depth=1
	s_or_b64 exec, exec, s[44:45]
	v_and_b32_e32 v82, 0x7f800000, v83
	v_cmp_ne_u32_e32 vcc, s6, v82
                                        ; implicit-def: $vgpr82
	s_and_saveexec_b64 s[44:45], vcc
	s_xor_b64 s[44:45], exec, s[44:45]
; %bb.39:                               ;   in Loop: Header=BB135_6 Depth=1
	v_bfe_u32 v82, v83, 16, 1
	v_add3_u32 v82, v83, v82, s33
                                        ; implicit-def: $vgpr83
; %bb.40:                               ;   in Loop: Header=BB135_6 Depth=1
	s_andn2_saveexec_b64 s[44:45], s[44:45]
; %bb.41:                               ;   in Loop: Header=BB135_6 Depth=1
	v_or_b32_e32 v82, 0x10000, v83
	v_cmp_eq_u32_sdwa vcc, v83, v98 src0_sel:WORD_0 src1_sel:DWORD
	v_cndmask_b32_e32 v82, v82, v83, vcc
; %bb.42:                               ;   in Loop: Header=BB135_6 Depth=1
	s_or_b64 exec, exec, s[44:45]
	v_perm_b32 v82, v82, v86, s26
	ds_write_b32 v95, v82 offset:528
	v_and_b32_e32 v82, 0x7f800000, v84
	v_cmp_ne_u32_e32 vcc, s6, v82
                                        ; implicit-def: $vgpr82
	s_and_saveexec_b64 s[44:45], vcc
	s_xor_b64 s[44:45], exec, s[44:45]
; %bb.43:                               ;   in Loop: Header=BB135_6 Depth=1
	v_bfe_u32 v82, v84, 16, 1
	v_add3_u32 v82, v84, v82, s33
; %bb.44:                               ;   in Loop: Header=BB135_6 Depth=1
	s_andn2_saveexec_b64 s[44:45], s[44:45]
; %bb.45:                               ;   in Loop: Header=BB135_6 Depth=1
	v_or_b32_e32 v82, 0x10000, v84
	v_cmp_eq_u32_sdwa vcc, v84, v98 src0_sel:WORD_0 src1_sel:DWORD
	v_cndmask_b32_e32 v82, v82, v84, vcc
; %bb.46:                               ;   in Loop: Header=BB135_6 Depth=1
	s_or_b64 exec, exec, s[44:45]
	v_and_b32_e32 v83, 0x7f800000, v85
	v_cmp_ne_u32_e32 vcc, s6, v83
                                        ; implicit-def: $vgpr83
	s_and_saveexec_b64 s[44:45], vcc
	s_xor_b64 s[44:45], exec, s[44:45]
; %bb.47:                               ;   in Loop: Header=BB135_6 Depth=1
	v_bfe_u32 v83, v85, 16, 1
	v_add3_u32 v83, v85, v83, s33
                                        ; implicit-def: $vgpr85
; %bb.48:                               ;   in Loop: Header=BB135_6 Depth=1
	s_andn2_saveexec_b64 s[44:45], s[44:45]
	s_cbranch_execz .LBB135_5
; %bb.49:                               ;   in Loop: Header=BB135_6 Depth=1
	v_or_b32_e32 v83, 0x10000, v85
	v_cmp_eq_u32_sdwa vcc, v85, v98 src0_sel:WORD_0 src1_sel:DWORD
	v_cndmask_b32_e32 v83, v83, v85, vcc
	s_branch .LBB135_5
.LBB135_50:
	s_or_b64 exec, exec, s[8:9]
	v_readlane_b32 s24, v101, 6
	v_readlane_b32 s26, v101, 9
	;; [unrolled: 1-line block ×8, first 2 shown]
.LBB135_51:
	v_readlane_b32 s0, v101, 4
	v_readlane_b32 s1, v101, 5
	s_or_b64 exec, exec, s[0:1]
	v_mul_u32_u24_e32 v16, 0x508, v93
	v_lshlrev_b32_e32 v17, 2, v92
	v_add3_u32 v16, 0, v16, v17
	v_and_b32_e32 v17, 0x3f0, v90
	v_add_u32_e32 v17, v16, v17
	s_barrier
	ds_write2_b32 v17, v8, v9 offset1:1
	ds_write_b32 v17, v10 offset:8
	v_or_b32_e32 v8, 12, v90
	v_and_b32_e32 v8, 0x3fc, v8
	v_add_u32_e32 v8, v16, v8
	v_cmp_gt_u32_e32 vcc, 4, v91
	ds_write_b32 v8, v11
	ds_write2_b32 v17, v4, v5 offset0:16 offset1:17
	ds_write_b32 v17, v6 offset:72
	ds_write_b32 v8, v7 offset:64
	ds_write2_b32 v17, v0, v1 offset0:32 offset1:33
	ds_write_b32 v17, v2 offset:136
	ds_write_b32 v8, v3 offset:128
	;; [unrolled: 3-line block ×3, first 2 shown]
	s_waitcnt lgkmcnt(0)
	s_barrier
	s_and_saveexec_b64 s[0:1], vcc
	s_cbranch_execz .LBB135_55
; %bb.52:
	s_cmp_gt_i32 s14, 0
	v_or_b32_e32 v0, s30, v91
	s_cselect_b64 s[0:1], -1, 0
	v_cmp_gt_i32_e32 vcc, s28, v0
	s_and_b64 s[0:1], s[0:1], vcc
	s_and_b64 exec, exec, s[0:1]
	s_cbranch_execz .LBB135_55
; %bb.53:
	s_lshl_b64 s[0:1], s[26:27], 2
	v_readlane_b32 s4, v101, 0
	v_readlane_b32 s5, v101, 1
	s_add_u32 s0, s4, s0
	v_ashrrev_i32_e32 v1, 31, v0
	s_addc_u32 s1, s5, s1
	v_lshlrev_b64 v[0:1], 2, v[0:1]
	v_mov_b32_e32 v2, s1
	v_add_co_u32_e32 v0, vcc, s0, v0
	v_addc_co_u32_e32 v1, vcc, v2, v1, vcc
	global_load_dword v0, v[0:1], off
	s_waitcnt vmcnt(0)
	v_mul_hi_u32 v1, v0, s19
	v_add_u32_e32 v1, v0, v1
	v_lshrrev_b32_e32 v1, s24, v1
	v_cmp_gt_i32_e32 vcc, s13, v1
	s_and_b64 exec, exec, vcc
	s_cbranch_execz .LBB135_55
; %bb.54:
	v_lshlrev_b32_e32 v2, 2, v90
	v_mul_u32_u24_e32 v3, 0x508, v91
	v_add3_u32 v6, 0, v2, v3
	ds_read2st64_b32 v[2:3], v6 offset1:1
	ds_read2st64_b32 v[4:5], v6 offset0:2 offset1:3
	ds_read_b32 v6, v6 offset:1024
	v_add_u32_e32 v7, s22, v90
	v_readlane_b32 s0, v101, 2
	s_waitcnt lgkmcnt(2)
	v_add_f32_e32 v2, 0, v2
	v_add_f32_e32 v2, v2, v3
	v_mul_lo_u32 v3, v1, s25
	v_sub_u32_e32 v0, v0, v3
	v_mul_lo_u32 v0, v0, s2
	v_mul_lo_u32 v1, v1, s21
	v_add3_u32 v0, v7, v1, v0
	v_mov_b32_e32 v1, 0
	s_waitcnt lgkmcnt(1)
	v_add_f32_e32 v2, v2, v4
	v_lshlrev_b64 v[0:1], 2, v[0:1]
	v_readlane_b32 s1, v101, 3
	v_add_f32_e32 v2, v2, v5
	v_mov_b32_e32 v3, s1
	v_add_co_u32_e32 v0, vcc, s0, v0
	s_waitcnt lgkmcnt(0)
	v_add_f32_e32 v2, v2, v6
	v_addc_co_u32_e32 v1, vcc, v3, v1, vcc
	global_store_dword v[0:1], v2, off
.LBB135_55:
	s_endpgm
	.section	.rodata,"a",@progbits
	.p2align	6, 0x0
	.amdhsa_kernel _ZL13mul_mat_f_idsI15__hip_bfloat162Li64ELi4ELi5EEvPKT_PKfPKiS7_S7_Pfiiiiiiiiiiiiii15HIP_vector_typeIjLj3EESA_
		.amdhsa_group_segment_fixed_size 0
		.amdhsa_private_segment_fixed_size 0
		.amdhsa_kernarg_size 128
		.amdhsa_user_sgpr_count 6
		.amdhsa_user_sgpr_private_segment_buffer 1
		.amdhsa_user_sgpr_dispatch_ptr 0
		.amdhsa_user_sgpr_queue_ptr 0
		.amdhsa_user_sgpr_kernarg_segment_ptr 1
		.amdhsa_user_sgpr_dispatch_id 0
		.amdhsa_user_sgpr_flat_scratch_init 0
		.amdhsa_user_sgpr_kernarg_preload_length 0
		.amdhsa_user_sgpr_kernarg_preload_offset 0
		.amdhsa_user_sgpr_private_segment_size 0
		.amdhsa_uses_dynamic_stack 0
		.amdhsa_system_sgpr_private_segment_wavefront_offset 0
		.amdhsa_system_sgpr_workgroup_id_x 1
		.amdhsa_system_sgpr_workgroup_id_y 1
		.amdhsa_system_sgpr_workgroup_id_z 1
		.amdhsa_system_sgpr_workgroup_info 0
		.amdhsa_system_vgpr_workitem_id 1
		.amdhsa_next_free_vgpr 102
		.amdhsa_next_free_sgpr 96
		.amdhsa_accum_offset 104
		.amdhsa_reserve_vcc 1
		.amdhsa_reserve_flat_scratch 0
		.amdhsa_float_round_mode_32 0
		.amdhsa_float_round_mode_16_64 0
		.amdhsa_float_denorm_mode_32 3
		.amdhsa_float_denorm_mode_16_64 3
		.amdhsa_dx10_clamp 1
		.amdhsa_ieee_mode 1
		.amdhsa_fp16_overflow 0
		.amdhsa_tg_split 0
		.amdhsa_exception_fp_ieee_invalid_op 0
		.amdhsa_exception_fp_denorm_src 0
		.amdhsa_exception_fp_ieee_div_zero 0
		.amdhsa_exception_fp_ieee_overflow 0
		.amdhsa_exception_fp_ieee_underflow 0
		.amdhsa_exception_fp_ieee_inexact 0
		.amdhsa_exception_int_div_zero 0
	.end_amdhsa_kernel
	.section	.text._ZL13mul_mat_f_idsI15__hip_bfloat162Li64ELi4ELi5EEvPKT_PKfPKiS7_S7_Pfiiiiiiiiiiiiii15HIP_vector_typeIjLj3EESA_,"axG",@progbits,_ZL13mul_mat_f_idsI15__hip_bfloat162Li64ELi4ELi5EEvPKT_PKfPKiS7_S7_Pfiiiiiiiiiiiiii15HIP_vector_typeIjLj3EESA_,comdat
.Lfunc_end135:
	.size	_ZL13mul_mat_f_idsI15__hip_bfloat162Li64ELi4ELi5EEvPKT_PKfPKiS7_S7_Pfiiiiiiiiiiiiii15HIP_vector_typeIjLj3EESA_, .Lfunc_end135-_ZL13mul_mat_f_idsI15__hip_bfloat162Li64ELi4ELi5EEvPKT_PKfPKiS7_S7_Pfiiiiiiiiiiiiii15HIP_vector_typeIjLj3EESA_
                                        ; -- End function
	.section	.AMDGPU.csdata,"",@progbits
; Kernel info:
; codeLenInByte = 6080
; NumSgprs: 100
; NumVgprs: 102
; NumAgprs: 0
; TotalNumVgprs: 102
; ScratchSize: 0
; MemoryBound: 0
; FloatMode: 240
; IeeeMode: 1
; LDSByteSize: 0 bytes/workgroup (compile time only)
; SGPRBlocks: 12
; VGPRBlocks: 12
; NumSGPRsForWavesPerEU: 100
; NumVGPRsForWavesPerEU: 102
; AccumOffset: 104
; Occupancy: 4
; WaveLimiterHint : 1
; COMPUTE_PGM_RSRC2:SCRATCH_EN: 0
; COMPUTE_PGM_RSRC2:USER_SGPR: 6
; COMPUTE_PGM_RSRC2:TRAP_HANDLER: 0
; COMPUTE_PGM_RSRC2:TGID_X_EN: 1
; COMPUTE_PGM_RSRC2:TGID_Y_EN: 1
; COMPUTE_PGM_RSRC2:TGID_Z_EN: 1
; COMPUTE_PGM_RSRC2:TIDIG_COMP_CNT: 1
; COMPUTE_PGM_RSRC3_GFX90A:ACCUM_OFFSET: 25
; COMPUTE_PGM_RSRC3_GFX90A:TG_SPLIT: 0
	.section	.text._ZL9mul_mat_fI15__hip_bfloat162Li64ELi4ELi5ELb1EEvPKT_PKfPKiPfiiiiiiiiiiiiiiii,"axG",@progbits,_ZL9mul_mat_fI15__hip_bfloat162Li64ELi4ELi5ELb1EEvPKT_PKfPKiPfiiiiiiiiiiiiiiii,comdat
	.globl	_ZL9mul_mat_fI15__hip_bfloat162Li64ELi4ELi5ELb1EEvPKT_PKfPKiPfiiiiiiiiiiiiiiii ; -- Begin function _ZL9mul_mat_fI15__hip_bfloat162Li64ELi4ELi5ELb1EEvPKT_PKfPKiPfiiiiiiiiiiiiiiii
	.p2align	8
	.type	_ZL9mul_mat_fI15__hip_bfloat162Li64ELi4ELi5ELb1EEvPKT_PKfPKiPfiiiiiiiiiiiiiiii,@function
_ZL9mul_mat_fI15__hip_bfloat162Li64ELi4ELi5ELb1EEvPKT_PKfPKiPfiiiiiiiiiiiiiiii: ; @_ZL9mul_mat_fI15__hip_bfloat162Li64ELi4ELi5ELb1EEvPKT_PKfPKiPfiiiiiiiiiiiiiiii
; %bb.0:
	s_load_dwordx8 s[12:19], s[4:5], 0x20
	v_and_b32_e32 v16, 0x3ff, v0
	v_bfe_u32 v17, v0, 10, 10
	v_cmp_eq_u32_e32 vcc, 0, v16
	s_waitcnt lgkmcnt(0)
	s_add_i32 s0, s13, 3
	s_ashr_i32 s1, s0, 31
	s_lshr_b32 s1, s1, 30
	s_add_i32 s0, s0, s1
	s_ashr_i32 s0, s0, 2
	v_cvt_f32_u32_e32 v1, s0
	s_load_dwordx4 s[20:23], s[4:5], 0x44
	s_load_dword s1, s[4:5], 0x64
	s_sub_i32 s2, 0, s0
	s_add_u32 s10, s4, 0x60
	v_rcp_iflag_f32_e32 v1, v1
	s_addc_u32 s11, s5, 0
	v_mul_f32_e32 v1, 0x4f7ffffe, v1
	v_cvt_u32_f32_e32 v1, v1
	v_readfirstlane_b32 s3, v1
	s_mul_i32 s2, s2, s3
	s_mul_hi_u32 s2, s3, s2
	s_add_i32 s3, s3, s2
	s_waitcnt lgkmcnt(0)
	s_mul_hi_u32 s2, s1, s3
	s_mul_i32 s3, s2, s0
	s_sub_i32 s1, s1, s3
	s_add_i32 s9, s2, 1
	s_sub_i32 s3, s1, s0
	s_cmp_ge_u32 s1, s0
	s_cselect_b32 s2, s9, s2
	s_cselect_b32 s1, s3, s1
	s_add_i32 s3, s2, 1
	s_cmp_ge_u32 s1, s0
	s_cselect_b32 s2, s3, s2
	v_cvt_f32_u32_e32 v1, s2
	s_abs_i32 s33, s23
	v_cvt_f32_u32_e32 v2, s33
	s_sub_i32 s0, 0, s2
	v_rcp_iflag_f32_e32 v1, v1
	s_sub_i32 s1, 0, s33
	v_rcp_iflag_f32_e32 v2, v2
	v_mul_f32_e32 v1, 0x4f7ffffe, v1
	v_cvt_u32_f32_e32 v1, v1
	v_mul_f32_e32 v2, 0x4f7ffffe, v2
	v_cvt_u32_f32_e32 v2, v2
	v_readfirstlane_b32 s3, v1
	s_mul_i32 s0, s0, s3
	v_readfirstlane_b32 s34, v2
	s_mul_hi_u32 s0, s3, s0
	s_mul_i32 s1, s1, s34
	s_add_i32 s3, s3, s0
	s_mul_hi_u32 s9, s34, s1
	s_mul_hi_u32 s3, s7, s3
	s_and_saveexec_b64 s[0:1], vcc
	s_cbranch_execz .LBB136_2
; %bb.1:
	v_mov_b32_e32 v1, 0x100
	v_lshl_add_u32 v1, v17, 2, v1
	v_mov_b32_e32 v2, -1
	ds_write_b32 v1, v2
.LBB136_2:
	s_or_b64 exec, exec, s[0:1]
	s_mul_i32 s0, s3, s2
	s_load_dwordx4 s[24:27], s[4:5], 0x54
	s_sub_i32 s0, s7, s0
	s_waitcnt lgkmcnt(0)
	s_abs_i32 s27, s8
	s_add_i32 s34, s34, s9
	s_add_i32 s1, s3, 1
	s_sub_i32 s9, s0, s2
	s_cmp_ge_u32 s0, s2
	s_cselect_b32 s1, s1, s3
	s_cselect_b32 s0, s9, s0
	s_add_i32 s3, s1, 1
	s_cmp_ge_u32 s0, s2
	s_cselect_b32 s0, s3, s1
	s_lshl_b32 s9, s0, 2
	s_mul_i32 s1, s0, s2
	v_add_u32_e32 v1, s9, v17
	s_sub_i32 s7, s7, s1
	v_cmp_gt_i32_e32 vcc, s13, v1
	v_mov_b32_e32 v1, 0
	s_and_saveexec_b64 s[2:3], vcc
	s_cbranch_execz .LBB136_10
; %bb.3:
	v_cmp_gt_i32_e32 vcc, s14, v16
	v_mov_b32_e32 v1, 0
	s_and_saveexec_b64 s[28:29], vcc
	s_cbranch_execz .LBB136_9
; %bb.4:
	s_load_dwordx2 s[0:1], s[4:5], 0x10
	s_mul_hi_i32 s31, s9, s19
	s_mul_i32 s30, s9, s19
	v_mul_lo_u32 v2, v17, s19
	s_lshl_b64 s[30:31], s[30:31], 2
	s_waitcnt lgkmcnt(0)
	s_add_u32 s0, s0, s30
	v_ashrrev_i32_e32 v3, 31, v2
	s_addc_u32 s1, s1, s31
	v_lshlrev_b64 v[2:3], 2, v[2:3]
	v_mov_b32_e32 v4, s1
	v_add_co_u32_e32 v1, vcc, s0, v2
	v_mov_b32_e32 v2, 0x100
	v_addc_co_u32_e32 v4, vcc, v4, v3, vcc
	v_lshl_add_u32 v5, v17, 2, v2
	v_mul_lo_u32 v2, v16, s18
	s_lshl_b32 s35, s18, 6
	s_mov_b64 s[18:19], 0
	v_mov_b32_e32 v6, 0
	v_mov_b32_e32 v7, v16
	s_branch .LBB136_6
.LBB136_5:                              ;   in Loop: Header=BB136_6 Depth=1
	s_or_b64 exec, exec, s[30:31]
	v_add_u32_e32 v7, 64, v7
	v_cmp_le_i32_e64 s[0:1], s14, v7
	s_xor_b64 s[30:31], vcc, -1
	s_or_b64 s[0:1], s[30:31], s[0:1]
	s_and_b64 s[0:1], exec, s[0:1]
	s_or_b64 s[18:19], s[0:1], s[18:19]
	v_add_u32_e32 v2, s35, v2
	s_andn2_b64 exec, exec, s[18:19]
	s_cbranch_execz .LBB136_8
.LBB136_6:                              ; =>This Inner Loop Header: Depth=1
	v_ashrrev_i32_e32 v3, 31, v2
	v_lshlrev_b64 v[8:9], 2, v[2:3]
	v_add_co_u32_e32 v8, vcc, v1, v8
	v_addc_co_u32_e32 v9, vcc, v4, v9, vcc
	global_load_dword v3, v[8:9], off
	s_waitcnt vmcnt(0)
	v_cmp_ne_u32_e32 vcc, s7, v3
	v_cmp_eq_u32_e64 s[0:1], s7, v3
	s_and_saveexec_b64 s[30:31], s[0:1]
	s_cbranch_execz .LBB136_5
; %bb.7:                                ;   in Loop: Header=BB136_6 Depth=1
	v_mov_b32_e32 v6, 1
	ds_write_b32 v5, v7
	s_branch .LBB136_5
.LBB136_8:
	s_or_b64 exec, exec, s[18:19]
	v_cmp_ne_u32_e32 vcc, 0, v6
	v_cndmask_b32_e64 v1, 0, 1, vcc
.LBB136_9:
	s_or_b64 exec, exec, s[28:29]
.LBB136_10:
	s_or_b64 exec, exec, s[2:3]
	s_load_dwordx2 s[0:1], s[10:11], 0xc
	s_load_dwordx4 s[28:31], s[4:5], 0x0
	s_load_dwordx2 s[18:19], s[4:5], 0x18
	v_or_b32_dpp v1, v1, v1 row_shl:1 row_mask:0xf bank_mask:0xf bound_ctrl:1
	s_mul_hi_u32 s2, s27, s34
	s_waitcnt lgkmcnt(0)
	s_and_b32 s3, s1, 0xffff
	s_lshr_b32 s1, s0, 16
	s_and_b32 s0, s0, 0xffff
	v_or_b32_dpp v1, v1, v1 row_shl:2 row_mask:0xf bank_mask:0xf bound_ctrl:1
	s_mul_i32 s4, s1, s0
	s_bfe_i32 s4, s4, 0x180000
	v_or_b32_dpp v1, v1, v1 row_shl:4 row_mask:0xf bank_mask:0xf bound_ctrl:1
	s_mul_i32 s3, s4, s3
	s_add_i32 s4, s3, 63
	v_or_b32_dpp v1, v1, v1 row_shl:8 row_mask:0xf bank_mask:0xf bound_ctrl:1
	s_bitcmp1_b32 exec_hi, 0
	s_nop 0
	v_mov_b32_dpp v2, v1 wave_shl:1 row_mask:0xf bank_mask:0xf bound_ctrl:1
	s_nop 1
	v_or_b32_dpp v1, v2, v1 row_mirror row_mask:0xf bank_mask:0xf bound_ctrl:1
	v_readlane_b32 s3, v1, 32
	s_cselect_b32 s3, s3, 0
	v_readlane_b32 s5, v1, 0
	s_or_b32 s3, s3, s5
	s_andn2_b32 s4, s4, 63
	s_cmp_lg_u32 s4, 64
	v_mov_b32_e32 v1, s3
	s_cbranch_scc0 .LBB136_17
; %bb.11:
	v_bfe_u32 v0, v0, 20, 10
	v_mbcnt_lo_u32_b32 v1, -1, 0
	v_mad_u32_u24 v0, v0, s1, v17
	v_mbcnt_hi_u32_b32 v2, -1, v1
	v_mad_u64_u32 v[0:1], s[0:1], v0, s0, v[16:17]
	v_lshrrev_b32_e32 v1, 6, v0
	v_or_b32_e32 v1, v2, v1
	v_cmp_eq_u32_e32 vcc, 0, v1
	s_and_saveexec_b64 s[0:1], vcc
	s_cbranch_execz .LBB136_13
; %bb.12:
	v_mov_b32_e32 v1, 0
	v_mov_b32_e32 v3, s3
	ds_write_b32 v1, v3
.LBB136_13:
	s_or_b64 exec, exec, s[0:1]
	v_cmp_eq_u32_e32 vcc, 0, v2
	v_cmp_lt_u32_e64 s[0:1], 63, v0
	s_and_b64 s[4:5], s[0:1], vcc
	s_waitcnt lgkmcnt(0)
	s_barrier
	s_and_saveexec_b64 s[0:1], s[4:5]
	s_cbranch_execz .LBB136_16
; %bb.14:
	v_mbcnt_lo_u32_b32 v0, exec_lo, 0
	v_mbcnt_hi_u32_b32 v0, exec_hi, v0
	v_cmp_eq_u32_e32 vcc, 0, v0
	s_and_b64 exec, exec, vcc
	s_cbranch_execz .LBB136_16
; %bb.15:
	v_mov_b32_e32 v0, 0
	v_mov_b32_e32 v1, s3
	ds_or_b32 v0, v1
.LBB136_16:
	s_or_b64 exec, exec, s[0:1]
	v_mov_b32_e32 v0, 0
	s_waitcnt lgkmcnt(0)
	s_barrier
	ds_read_b32 v1, v0
	s_waitcnt lgkmcnt(0)
	s_barrier
.LBB136_17:
	v_cmp_ne_u32_e32 vcc, 0, v1
	s_ashr_i32 s3, s8, 31
	s_ashr_i32 s4, s23, 31
	s_cbranch_vccz .LBB136_71
; %bb.18:
	v_lshlrev_b32_e32 v86, 6, v17
	v_add_u32_e32 v88, v86, v16
	v_cmp_le_i32_e32 vcc, s12, v88
	v_and_b32_e32 v87, 15, v16
                                        ; implicit-def: $sgpr5
	s_and_saveexec_b64 s[0:1], vcc
	s_xor_b64 s[0:1], exec, s[0:1]
; %bb.19:
	v_and_b32_e32 v87, 15, v16
	s_mov_b32 s5, 0
                                        ; implicit-def: $vgpr88
; %bb.20:
	s_or_saveexec_b64 s[0:1], s[0:1]
	s_lshl_b32 s23, s6, 6
	v_mov_b32_e32 v11, s5
	v_mov_b32_e32 v10, s5
	;; [unrolled: 1-line block ×16, first 2 shown]
	s_xor_b64 exec, exec, s[0:1]
	s_cbranch_execz .LBB136_68
; %bb.21:
	s_xor_b32 s3, s3, s4
	s_mul_i32 s4, s2, s33
	s_sub_i32 s4, s27, s4
	s_add_i32 s5, s2, 1
	s_sub_i32 s6, s4, s33
	s_cmp_ge_u32 s4, s33
	s_cselect_b32 s2, s5, s2
	s_cselect_b32 s4, s6, s4
	s_add_i32 s5, s2, 1
	s_cmp_ge_u32 s4, s33
	s_cselect_b32 s2, s5, s2
	s_xor_b32 s2, s2, s3
	s_sub_i32 s2, s2, s3
	s_mul_hi_i32 s3, s2, s24
	s_mul_i32 s2, s2, s24
	s_mul_i32 s4, s7, s20
	s_ashr_i32 s5, s4, 31
	s_lshl_b64 s[2:3], s[2:3], 2
	s_add_u32 s7, s28, s2
	s_addc_u32 s10, s29, s3
	s_lshl_b64 s[34:35], s[4:5], 2
	s_mul_i32 s6, s23, s15
	s_add_u32 s4, s7, s34
	s_addc_u32 s5, s10, s35
	s_ashr_i32 s7, s6, 31
	s_lshl_b64 s[36:37], s[6:7], 2
	s_add_u32 s20, s4, s36
	s_movk_i32 s4, 0x1080
	v_mov_b32_e32 v89, 0x100
	s_addc_u32 s14, s5, s37
	v_mad_u32_u24 v0, v17, s4, v89
	s_mul_hi_i32 s5, s25, s8
	s_mul_i32 s4, s25, s8
	s_mul_hi_i32 s7, s16, s9
	s_mul_i32 s6, s16, s9
	s_lshl_b64 s[6:7], s[6:7], 3
	s_lshl_b64 s[4:5], s[4:5], 2
	s_add_u32 s4, s30, s4
	s_addc_u32 s5, s31, s5
	s_add_u32 s27, s4, s6
	s_addc_u32 s30, s5, s7
	s_cmp_lt_i32 s9, s13
	s_cselect_b64 s[4:5], -1, 0
	s_or_b32 s6, s9, 1
	s_cmp_lt_i32 s6, s13
                                        ; implicit-def: $vgpr102 : SGPR spill to VGPR lane
	s_cselect_b64 s[6:7], -1, 0
	s_or_b32 s10, s9, 2
	v_writelane_b32 v102, s18, 0
	s_cmp_lt_i32 s10, s13
	v_writelane_b32 v102, s19, 1
	s_cselect_b64 s[10:11], -1, 0
	s_lshl_b32 s31, s16, 2
	s_or_b32 s18, s9, 3
	s_cmp_lt_i32 s18, s13
	s_cselect_b64 s[18:19], -1, 0
	s_ashr_i32 s25, s15, 31
	s_mov_b32 s24, s15
	s_lshl_b64 s[24:25], s[24:25], 2
	s_add_u32 s2, s2, s36
	s_addc_u32 s3, s3, s37
	v_lshrrev_b32_e32 v2, 1, v16
	s_add_u32 s2, s2, s34
	v_mul_u32_u24_e32 v1, 0x108, v87
	v_and_b32_e32 v2, 0x1f8, v2
	s_addc_u32 s3, s3, s35
	v_lshl_add_u32 v90, v16, 2, v0
	v_add3_u32 v91, v0, v1, v2
	v_lshlrev_b32_e32 v0, 1, v16
	s_add_u32 s2, s28, s2
	v_lshl_add_u32 v92, v17, 7, v0
	v_lshlrev_b32_e32 v0, 2, v88
	s_addc_u32 s3, s29, s3
	v_mov_b32_e32 v1, s3
	v_add_co_u32_e32 v18, vcc, s2, v0
	v_mov_b32_e32 v94, 0
	v_addc_co_u32_e32 v19, vcc, 0, v1, vcc
	s_mul_i32 s33, s16, 6
	s_lshl_b32 s16, s16, 1
	s_lshl_b32 s34, s15, 1
	s_mul_i32 s35, s15, 3
	s_lshl_b32 s36, s15, 2
	s_mul_i32 s37, s15, 5
	s_mul_i32 s38, s15, 6
	s_mul_i32 s39, s15, 7
	s_lshl_b32 s40, s15, 3
	s_mul_i32 s41, s15, 9
	s_mul_i32 s42, s15, 10
	s_mul_i32 s43, s15, 11
	s_mul_i32 s44, s15, 12
	s_mul_i32 s45, s15, 13
	s_mul_i32 s46, s15, 14
	s_mul_i32 s47, s15, 15
	s_lshl_b32 s48, s15, 4
	s_mul_i32 s49, s15, 17
	s_mul_i32 s50, s15, 18
	;; [unrolled: 1-line block ×15, first 2 shown]
	s_lshl_b32 s64, s15, 5
	s_mul_i32 s65, s15, 33
	s_mul_i32 s66, s15, 34
	;; [unrolled: 1-line block ×11, first 2 shown]
	v_mov_b32_e32 v93, s14
	s_mul_i32 s76, s15, 44
	v_mov_b32_e32 v95, s25
	v_mov_b32_e32 v12, 0
	;; [unrolled: 1-line block ×17, first 2 shown]
	s_mul_i32 s25, s15, 45
	s_mul_i32 s77, s15, 46
	;; [unrolled: 1-line block ×19, first 2 shown]
	s_mov_b32 s95, 0x7f800000
	s_movk_i32 s2, 0x7fff
	s_mov_b32 s3, 0x7060302
	s_mov_b64 s[14:15], 0
	s_branch .LBB136_23
.LBB136_22:                             ;   in Loop: Header=BB136_23 Depth=1
	s_or_b64 exec, exec, s[28:29]
	v_perm_b32 v84, v84, v96, s3
	v_add_u32_e32 v85, 0x200, v90
	ds_write2_b32 v85, v84, v94 offset0:86 offset1:152
	v_add_u32_e32 v84, 0x400, v90
	ds_write2_b32 v84, v94, v94 offset0:90 offset1:156
	;; [unrolled: 2-line block ×6, first 2 shown]
	ds_write_b32 v90, v94 offset:4024
	ds_read2_b64 v[96:99], v91 offset0:8 offset1:12
	s_waitcnt lgkmcnt(0)
	v_mfma_f32_16x16x16bf16_1k v[8:11], v[36:37], v[96:97], v[8:11]
	v_add_co_u32_e32 v18, vcc, 0x500, v18
	v_add_u32_e32 v88, 0x140, v88
	v_addc_co_u32_e32 v19, vcc, 0, v19, vcc
	v_cmp_le_i32_e32 vcc, s12, v88
	v_add_u32_e32 v92, 0x280, v92
	v_mfma_f32_16x16x16bf16_1k v[4:7], v[52:53], v[96:97], v[4:7]
	s_or_b64 s[14:15], vcc, s[14:15]
	v_mfma_f32_16x16x16bf16_1k v[0:3], v[66:67], v[96:97], v[0:3]
	v_mfma_f32_16x16x16bf16_1k v[12:15], v[82:83], v[96:97], v[12:15]
	;; [unrolled: 1-line block ×4, first 2 shown]
	ds_read2_b64 v[50:53], v91 offset0:16 offset1:20
	v_mfma_f32_16x16x16bf16_1k v[0:3], v[64:65], v[98:99], v[0:3]
	v_mfma_f32_16x16x16bf16_1k v[12:15], v[80:81], v[98:99], v[12:15]
	s_waitcnt lgkmcnt(0)
	v_mfma_f32_16x16x16bf16_1k v[8:11], v[30:31], v[50:51], v[8:11]
	v_mfma_f32_16x16x16bf16_1k v[4:7], v[46:47], v[50:51], v[4:7]
	;; [unrolled: 1-line block ×5, first 2 shown]
	ds_read2_b64 v[28:31], v91 offset0:24 offset1:28
	v_mfma_f32_16x16x16bf16_1k v[4:7], v[44:45], v[52:53], v[4:7]
	v_mfma_f32_16x16x16bf16_1k v[0:3], v[60:61], v[52:53], v[0:3]
	;; [unrolled: 1-line block ×3, first 2 shown]
	s_waitcnt lgkmcnt(0)
	v_mfma_f32_16x16x16bf16_1k v[8:11], v[26:27], v[28:29], v[8:11]
	v_mfma_f32_16x16x16bf16_1k v[4:7], v[42:43], v[28:29], v[4:7]
	;; [unrolled: 1-line block ×5, first 2 shown]
	ds_read2_b64 v[24:27], v91 offset0:32 offset1:36
	v_mfma_f32_16x16x16bf16_1k v[4:7], v[40:41], v[30:31], v[4:7]
	v_mfma_f32_16x16x16bf16_1k v[0:3], v[56:57], v[30:31], v[0:3]
	;; [unrolled: 1-line block ×3, first 2 shown]
	s_waitcnt lgkmcnt(0)
	v_mfma_f32_16x16x16bf16_1k v[8:11], v[22:23], v[24:25], v[8:11]
	v_mfma_f32_16x16x16bf16_1k v[4:7], v[38:39], v[24:25], v[4:7]
	;; [unrolled: 1-line block ×8, first 2 shown]
	s_andn2_b64 exec, exec, s[14:15]
	s_cbranch_execz .LBB136_67
.LBB136_23:                             ; =>This Inner Loop Header: Depth=1
	v_add_co_u32_e32 v20, vcc, s24, v18
	v_addc_co_u32_e32 v21, vcc, v19, v95, vcc
	global_load_dword v32, v[18:19], off
	global_load_dword v33, v[20:21], off
	v_add_u32_e32 v20, s34, v88
	v_ashrrev_i32_e32 v21, 31, v20
	v_lshlrev_b64 v[20:21], 2, v[20:21]
	v_add_u32_e32 v22, s35, v88
	v_add_co_u32_e32 v20, vcc, s20, v20
	v_ashrrev_i32_e32 v23, 31, v22
	v_addc_co_u32_e32 v21, vcc, v93, v21, vcc
	v_lshlrev_b64 v[22:23], 2, v[22:23]
	v_add_u32_e32 v24, s36, v88
	v_add_co_u32_e32 v22, vcc, s20, v22
	v_ashrrev_i32_e32 v25, 31, v24
	v_addc_co_u32_e32 v23, vcc, v93, v23, vcc
	;; [unrolled: 5-line block ×5, first 2 shown]
	v_lshlrev_b64 v[30:31], 2, v[30:31]
	v_add_co_u32_e32 v30, vcc, s20, v30
	v_addc_co_u32_e32 v31, vcc, v93, v31, vcc
	global_load_dword v34, v[20:21], off
	global_load_dword v35, v[22:23], off
	;; [unrolled: 1-line block ×3, first 2 shown]
	s_nop 0
	global_load_dword v26, v[26:27], off
	s_nop 0
	global_load_dword v27, v[28:29], off
	;; [unrolled: 2-line block ×3, first 2 shown]
	v_add_u32_e32 v20, s40, v88
	v_ashrrev_i32_e32 v21, 31, v20
	v_add_u32_e32 v22, s41, v88
	v_lshlrev_b64 v[20:21], 2, v[20:21]
	v_ashrrev_i32_e32 v23, 31, v22
	v_add_co_u32_e32 v20, vcc, s20, v20
	v_add_u32_e32 v24, s42, v88
	v_lshlrev_b64 v[22:23], 2, v[22:23]
	v_addc_co_u32_e32 v21, vcc, v93, v21, vcc
	v_ashrrev_i32_e32 v25, 31, v24
	v_add_co_u32_e32 v22, vcc, s20, v22
	v_lshlrev_b64 v[24:25], 2, v[24:25]
	v_addc_co_u32_e32 v23, vcc, v93, v23, vcc
	global_load_dword v20, v[20:21], off
	s_nop 0
	global_load_dword v21, v[22:23], off
	v_add_u32_e32 v22, s43, v88
	v_add_co_u32_e32 v24, vcc, s20, v24
	v_ashrrev_i32_e32 v23, 31, v22
	v_addc_co_u32_e32 v25, vcc, v93, v25, vcc
	v_lshlrev_b64 v[22:23], 2, v[22:23]
	v_add_u32_e32 v60, s73, v88
	v_ashrrev_i32_e32 v61, 31, v60
	v_lshlrev_b64 v[60:61], 2, v[60:61]
	s_waitcnt vmcnt(9)
	ds_write_b32 v90, v32 offset:64
	s_waitcnt vmcnt(8)
	ds_write_b32 v90, v33 offset:328
	;; [unrolled: 2-line block ×8, first 2 shown]
	v_add_co_u32_e32 v26, vcc, s20, v22
	v_add_u32_e32 v22, s44, v88
	v_addc_co_u32_e32 v27, vcc, v93, v23, vcc
	v_ashrrev_i32_e32 v23, 31, v22
	v_lshlrev_b64 v[22:23], 2, v[22:23]
	v_add_co_u32_e32 v28, vcc, s20, v22
	v_add_u32_e32 v22, s45, v88
	v_addc_co_u32_e32 v29, vcc, v93, v23, vcc
	v_ashrrev_i32_e32 v23, 31, v22
	v_lshlrev_b64 v[22:23], 2, v[22:23]
	;; [unrolled: 5-line block ×6, first 2 shown]
	v_add_co_u32_e32 v38, vcc, s20, v22
	v_addc_co_u32_e32 v39, vcc, v93, v23, vcc
	global_load_dword v22, v[24:25], off
	global_load_dword v23, v[26:27], off
	s_nop 0
	global_load_dword v24, v[28:29], off
	global_load_dword v25, v[30:31], off
	;; [unrolled: 1-line block ×4, first 2 shown]
	s_nop 0
	global_load_dword v34, v[36:37], off
	global_load_dword v35, v[38:39], off
	v_add_u32_e32 v28, s50, v88
	v_ashrrev_i32_e32 v29, 31, v28
	v_lshlrev_b64 v[28:29], 2, v[28:29]
	v_add_u32_e32 v30, s51, v88
	v_add_co_u32_e32 v28, vcc, s20, v28
	v_ashrrev_i32_e32 v31, 31, v30
	v_addc_co_u32_e32 v29, vcc, v93, v29, vcc
	v_lshlrev_b64 v[30:31], 2, v[30:31]
	v_add_u32_e32 v32, s52, v88
	v_add_co_u32_e32 v30, vcc, s20, v30
	v_ashrrev_i32_e32 v33, 31, v32
	v_addc_co_u32_e32 v31, vcc, v93, v31, vcc
	;; [unrolled: 5-line block ×4, first 2 shown]
	v_lshlrev_b64 v[38:39], 2, v[38:39]
	v_add_co_u32_e32 v42, vcc, s20, v38
	v_add_u32_e32 v38, s55, v88
	v_addc_co_u32_e32 v43, vcc, v93, v39, vcc
	v_ashrrev_i32_e32 v39, 31, v38
	v_lshlrev_b64 v[38:39], 2, v[38:39]
	v_add_co_u32_e32 v44, vcc, s20, v38
	v_add_u32_e32 v38, s56, v88
	v_addc_co_u32_e32 v45, vcc, v93, v39, vcc
	v_ashrrev_i32_e32 v39, 31, v38
	v_lshlrev_b64 v[38:39], 2, v[38:39]
	v_add_co_u32_e32 v46, vcc, s20, v38
	v_add_u32_e32 v38, s57, v88
	v_addc_co_u32_e32 v47, vcc, v93, v39, vcc
	v_ashrrev_i32_e32 v39, 31, v38
	v_lshlrev_b64 v[38:39], 2, v[38:39]
	v_add_co_u32_e32 v48, vcc, s20, v38
	v_addc_co_u32_e32 v49, vcc, v93, v39, vcc
	global_load_dword v38, v[28:29], off
	global_load_dword v39, v[30:31], off
	;; [unrolled: 1-line block ×4, first 2 shown]
	s_nop 0
	global_load_dword v42, v[42:43], off
	s_nop 0
	global_load_dword v43, v[44:45], off
	s_nop 0
	global_load_dword v44, v[46:47], off
	global_load_dword v45, v[48:49], off
	v_add_u32_e32 v28, s58, v88
	v_ashrrev_i32_e32 v29, 31, v28
	v_lshlrev_b64 v[28:29], 2, v[28:29]
	v_add_u32_e32 v30, s59, v88
	v_add_co_u32_e32 v28, vcc, s20, v28
	v_ashrrev_i32_e32 v31, 31, v30
	v_addc_co_u32_e32 v29, vcc, v93, v29, vcc
	v_lshlrev_b64 v[30:31], 2, v[30:31]
	v_add_u32_e32 v32, s60, v88
	v_add_co_u32_e32 v30, vcc, s20, v30
	v_ashrrev_i32_e32 v33, 31, v32
	v_addc_co_u32_e32 v31, vcc, v93, v31, vcc
	v_lshlrev_b64 v[32:33], 2, v[32:33]
	v_add_u32_e32 v36, s61, v88
	v_add_co_u32_e32 v32, vcc, s20, v32
	v_ashrrev_i32_e32 v37, 31, v36
	v_addc_co_u32_e32 v33, vcc, v93, v33, vcc
	v_lshlrev_b64 v[36:37], 2, v[36:37]
	v_add_u32_e32 v46, s62, v88
	v_add_co_u32_e32 v36, vcc, s20, v36
	v_ashrrev_i32_e32 v47, 31, v46
	v_addc_co_u32_e32 v37, vcc, v93, v37, vcc
	v_lshlrev_b64 v[46:47], 2, v[46:47]
	v_add_co_u32_e32 v48, vcc, s20, v46
	v_add_u32_e32 v46, s63, v88
	v_addc_co_u32_e32 v49, vcc, v93, v47, vcc
	v_ashrrev_i32_e32 v47, 31, v46
	v_lshlrev_b64 v[46:47], 2, v[46:47]
	v_add_co_u32_e32 v54, vcc, s20, v46
	v_add_u32_e32 v46, s64, v88
	v_addc_co_u32_e32 v55, vcc, v93, v47, vcc
	v_ashrrev_i32_e32 v47, 31, v46
	;; [unrolled: 5-line block ×3, first 2 shown]
	v_lshlrev_b64 v[46:47], 2, v[46:47]
	v_add_co_u32_e32 v58, vcc, s20, v46
	v_addc_co_u32_e32 v59, vcc, v93, v47, vcc
	global_load_dword v46, v[28:29], off
	global_load_dword v47, v[30:31], off
	;; [unrolled: 1-line block ×6, first 2 shown]
	s_nop 0
	global_load_dword v48, v[56:57], off
	global_load_dword v49, v[58:59], off
	v_add_u32_e32 v28, s66, v88
	v_ashrrev_i32_e32 v29, 31, v28
	v_lshlrev_b64 v[28:29], 2, v[28:29]
	v_add_u32_e32 v30, s67, v88
	v_add_co_u32_e32 v28, vcc, s20, v28
	v_ashrrev_i32_e32 v31, 31, v30
	v_addc_co_u32_e32 v29, vcc, v93, v29, vcc
	v_lshlrev_b64 v[30:31], 2, v[30:31]
	v_add_u32_e32 v32, s68, v88
	v_add_co_u32_e32 v30, vcc, s20, v30
	v_ashrrev_i32_e32 v33, 31, v32
	v_addc_co_u32_e32 v31, vcc, v93, v31, vcc
	v_lshlrev_b64 v[32:33], 2, v[32:33]
	v_add_u32_e32 v36, s69, v88
	v_add_co_u32_e32 v32, vcc, s20, v32
	v_ashrrev_i32_e32 v37, 31, v36
	v_addc_co_u32_e32 v33, vcc, v93, v33, vcc
	v_lshlrev_b64 v[36:37], 2, v[36:37]
	v_add_u32_e32 v54, s70, v88
	v_add_co_u32_e32 v36, vcc, s20, v36
	v_ashrrev_i32_e32 v55, 31, v54
	v_addc_co_u32_e32 v37, vcc, v93, v37, vcc
	v_lshlrev_b64 v[54:55], 2, v[54:55]
	v_add_u32_e32 v56, s71, v88
	v_add_co_u32_e32 v54, vcc, s20, v54
	v_ashrrev_i32_e32 v57, 31, v56
	v_addc_co_u32_e32 v55, vcc, v93, v55, vcc
	v_lshlrev_b64 v[56:57], 2, v[56:57]
	v_add_u32_e32 v58, s72, v88
	v_add_co_u32_e32 v56, vcc, s20, v56
	v_ashrrev_i32_e32 v59, 31, v58
	v_addc_co_u32_e32 v57, vcc, v93, v57, vcc
	v_lshlrev_b64 v[58:59], 2, v[58:59]
	v_add_co_u32_e32 v58, vcc, s20, v58
	v_addc_co_u32_e32 v59, vcc, v93, v59, vcc
	v_add_co_u32_e32 v60, vcc, s20, v60
	v_addc_co_u32_e32 v61, vcc, v93, v61, vcc
	global_load_dword v62, v[28:29], off
	global_load_dword v63, v[30:31], off
	;; [unrolled: 1-line block ×8, first 2 shown]
	v_add_u32_e32 v28, s74, v88
	v_ashrrev_i32_e32 v29, 31, v28
	v_lshlrev_b64 v[28:29], 2, v[28:29]
	v_add_u32_e32 v30, s75, v88
	v_add_co_u32_e32 v28, vcc, s20, v28
	v_ashrrev_i32_e32 v31, 31, v30
	v_addc_co_u32_e32 v29, vcc, v93, v29, vcc
	v_lshlrev_b64 v[30:31], 2, v[30:31]
	v_add_u32_e32 v32, s76, v88
	v_add_co_u32_e32 v30, vcc, s20, v30
	v_ashrrev_i32_e32 v33, 31, v32
	v_addc_co_u32_e32 v31, vcc, v93, v31, vcc
	;; [unrolled: 5-line block ×7, first 2 shown]
	v_lshlrev_b64 v[60:61], 2, v[60:61]
	v_add_co_u32_e32 v60, vcc, s20, v60
	v_addc_co_u32_e32 v61, vcc, v93, v61, vcc
	global_load_dword v70, v[28:29], off
	global_load_dword v71, v[30:31], off
	;; [unrolled: 1-line block ×8, first 2 shown]
	v_add_u32_e32 v28, s81, v88
	v_ashrrev_i32_e32 v29, 31, v28
	v_lshlrev_b64 v[28:29], 2, v[28:29]
	v_add_u32_e32 v30, s82, v88
	v_add_co_u32_e32 v28, vcc, s20, v28
	v_ashrrev_i32_e32 v31, 31, v30
	v_addc_co_u32_e32 v29, vcc, v93, v29, vcc
	v_lshlrev_b64 v[30:31], 2, v[30:31]
	v_add_u32_e32 v32, s83, v88
	v_add_co_u32_e32 v30, vcc, s20, v30
	v_ashrrev_i32_e32 v33, 31, v32
	v_addc_co_u32_e32 v31, vcc, v93, v31, vcc
	;; [unrolled: 5-line block ×7, first 2 shown]
	v_lshlrev_b64 v[60:61], 2, v[60:61]
	v_add_co_u32_e32 v60, vcc, s20, v60
	v_addc_co_u32_e32 v61, vcc, v93, v61, vcc
	global_load_dword v78, v[28:29], off
	global_load_dword v79, v[30:31], off
	;; [unrolled: 1-line block ×8, first 2 shown]
	v_add_u32_e32 v28, s89, v88
	v_ashrrev_i32_e32 v29, 31, v28
	v_lshlrev_b64 v[28:29], 2, v[28:29]
	v_add_u32_e32 v30, s90, v88
	v_add_co_u32_e32 v28, vcc, s20, v28
	v_ashrrev_i32_e32 v31, 31, v30
	v_addc_co_u32_e32 v29, vcc, v93, v29, vcc
	v_lshlrev_b64 v[30:31], 2, v[30:31]
	v_add_u32_e32 v32, s91, v88
	v_add_co_u32_e32 v30, vcc, s20, v30
	v_ashrrev_i32_e32 v33, 31, v32
	v_addc_co_u32_e32 v31, vcc, v93, v31, vcc
	;; [unrolled: 5-line block ×5, first 2 shown]
	v_lshlrev_b64 v[56:57], 2, v[56:57]
	v_add_co_u32_e32 v56, vcc, s20, v56
	v_addc_co_u32_e32 v57, vcc, v93, v57, vcc
	global_load_dword v96, v[28:29], off
	global_load_dword v97, v[30:31], off
	;; [unrolled: 1-line block ×6, first 2 shown]
	s_waitcnt vmcnt(55)
	ds_write_b32 v90, v20 offset:2176
	s_waitcnt vmcnt(54)
	ds_write_b32 v90, v21 offset:2440
	s_waitcnt vmcnt(53)
	ds_write_b32 v90, v22 offset:2704
	s_waitcnt vmcnt(52)
	ds_write_b32 v90, v23 offset:2968
	s_waitcnt vmcnt(51)
	ds_write_b32 v90, v24 offset:3232
	s_waitcnt vmcnt(50)
	ds_write_b32 v90, v25 offset:3496
	s_waitcnt vmcnt(49)
	ds_write_b32 v90, v26 offset:3760
	s_waitcnt vmcnt(48)
	ds_write_b32 v90, v27 offset:4024
	ds_read_b64 v[36:37], v91 offset:64
	ds_read_b64 v[32:33], v91 offset:96
	ds_read_b64 v[30:31], v91 offset:128
	ds_read_b64 v[28:29], v91 offset:160
	ds_read_b64 v[26:27], v91 offset:192
	ds_read_b64 v[24:25], v91 offset:224
	ds_read_b64 v[22:23], v91 offset:256
	ds_read_b64 v[20:21], v91 offset:288
	s_waitcnt vmcnt(47)
	ds_write_b32 v90, v34 offset:64
	s_waitcnt vmcnt(46)
	ds_write_b32 v90, v35 offset:328
	s_waitcnt vmcnt(45)
	ds_write_b32 v90, v38 offset:592
	s_waitcnt vmcnt(44)
	ds_write_b32 v90, v39 offset:856
	s_waitcnt vmcnt(43)
	ds_write_b32 v90, v40 offset:1120
	s_waitcnt vmcnt(42)
	ds_write_b32 v90, v41 offset:1384
	s_waitcnt vmcnt(41)
	ds_write_b32 v90, v42 offset:1648
	s_waitcnt vmcnt(40)
	ds_write_b32 v90, v43 offset:1912
	s_waitcnt vmcnt(39)
	ds_write_b32 v90, v44 offset:2176
	s_waitcnt vmcnt(38)
	ds_write_b32 v90, v45 offset:2440
	s_waitcnt vmcnt(37)
	ds_write_b32 v90, v46 offset:2704
	s_waitcnt vmcnt(36)
	ds_write_b32 v90, v47 offset:2968
	s_waitcnt vmcnt(35)
	ds_write_b32 v90, v50 offset:3232
	s_waitcnt vmcnt(34)
	ds_write_b32 v90, v51 offset:3496
	s_waitcnt vmcnt(33)
	ds_write_b32 v90, v52 offset:3760
	s_waitcnt vmcnt(32)
	ds_write_b32 v90, v53 offset:4024
	ds_read_b64 v[52:53], v91 offset:64
	ds_read_b64 v[50:51], v91 offset:96
	ds_read_b64 v[46:47], v91 offset:128
	ds_read_b64 v[44:45], v91 offset:160
	ds_read_b64 v[42:43], v91 offset:192
	ds_read_b64 v[40:41], v91 offset:224
	ds_read_b64 v[38:39], v91 offset:256
	ds_read_b64 v[34:35], v91 offset:288
	s_waitcnt vmcnt(31)
	ds_write_b32 v90, v48 offset:64
	s_waitcnt vmcnt(30)
	ds_write_b32 v90, v49 offset:328
	s_waitcnt vmcnt(29)
	ds_write_b32 v90, v62 offset:592
	s_waitcnt vmcnt(28)
	ds_write_b32 v90, v63 offset:856
	s_waitcnt vmcnt(27)
	ds_write_b32 v90, v64 offset:1120
	s_waitcnt vmcnt(26)
	ds_write_b32 v90, v65 offset:1384
	s_waitcnt vmcnt(25)
	ds_write_b32 v90, v66 offset:1648
	s_waitcnt vmcnt(24)
	ds_write_b32 v90, v67 offset:1912
	;; [unrolled: 40-line block ×3, first 2 shown]
	s_waitcnt vmcnt(7)
	ds_write_b32 v90, v84 offset:2176
	s_waitcnt vmcnt(6)
	ds_write_b32 v90, v85 offset:2440
	;; [unrolled: 2-line block ×8, first 2 shown]
	ds_read_b64 v[82:83], v91 offset:64
	ds_read_b64 v[80:81], v91 offset:96
	;; [unrolled: 1-line block ×8, first 2 shown]
	s_andn2_b64 vcc, exec, s[4:5]
	v_mov_b32_e32 v84, 0
	v_mov_b32_e32 v85, 0
	s_cbranch_vccnz .LBB136_26
; %bb.24:                               ;   in Loop: Header=BB136_23 Depth=1
	ds_read_b32 v96, v89
	v_mov_b32_e32 v85, 0
	v_mov_b32_e32 v84, 0
	s_waitcnt lgkmcnt(0)
	v_cmp_gt_i32_e32 vcc, 0, v96
	s_cbranch_vccnz .LBB136_26
; %bb.25:                               ;   in Loop: Header=BB136_23 Depth=1
	v_mul_lo_u32 v84, v96, s21
	v_add_u32_e32 v84, v92, v84
	v_ashrrev_i32_e32 v85, 31, v84
	v_lshlrev_b64 v[84:85], 2, v[84:85]
	v_mov_b32_e32 v96, s30
	v_add_co_u32_e32 v84, vcc, s27, v84
	v_addc_co_u32_e32 v85, vcc, v96, v85, vcc
	global_load_dwordx2 v[84:85], v[84:85], off
.LBB136_26:                             ;   in Loop: Header=BB136_23 Depth=1
	s_waitcnt vmcnt(0)
	v_and_b32_e32 v96, 0x7f800000, v84
	v_cmp_ne_u32_e32 vcc, s95, v96
                                        ; implicit-def: $vgpr96
	s_and_saveexec_b64 s[28:29], vcc
	s_xor_b64 s[28:29], exec, s[28:29]
; %bb.27:                               ;   in Loop: Header=BB136_23 Depth=1
	v_bfe_u32 v96, v84, 16, 1
	v_add3_u32 v96, v84, v96, s2
; %bb.28:                               ;   in Loop: Header=BB136_23 Depth=1
	s_andn2_saveexec_b64 s[28:29], s[28:29]
; %bb.29:                               ;   in Loop: Header=BB136_23 Depth=1
	v_or_b32_e32 v96, 0x10000, v84
	v_cmp_eq_u32_sdwa vcc, v84, v94 src0_sel:WORD_0 src1_sel:DWORD
	v_cndmask_b32_e32 v96, v96, v84, vcc
; %bb.30:                               ;   in Loop: Header=BB136_23 Depth=1
	s_or_b64 exec, exec, s[28:29]
	v_and_b32_e32 v84, 0x7f800000, v85
	v_cmp_ne_u32_e32 vcc, s95, v84
                                        ; implicit-def: $vgpr84
	s_and_saveexec_b64 s[28:29], vcc
	s_xor_b64 s[28:29], exec, s[28:29]
; %bb.31:                               ;   in Loop: Header=BB136_23 Depth=1
	v_bfe_u32 v84, v85, 16, 1
	v_add3_u32 v84, v85, v84, s2
                                        ; implicit-def: $vgpr85
; %bb.32:                               ;   in Loop: Header=BB136_23 Depth=1
	s_andn2_saveexec_b64 s[28:29], s[28:29]
; %bb.33:                               ;   in Loop: Header=BB136_23 Depth=1
	v_or_b32_e32 v84, 0x10000, v85
	v_cmp_eq_u32_sdwa vcc, v85, v94 src0_sel:WORD_0 src1_sel:DWORD
	v_cndmask_b32_e32 v84, v84, v85, vcc
; %bb.34:                               ;   in Loop: Header=BB136_23 Depth=1
	s_or_b64 exec, exec, s[28:29]
	v_perm_b32 v84, v84, v96, s3
	ds_write_b32 v90, v84 offset:64
	s_andn2_b64 vcc, exec, s[6:7]
	v_mov_b32_e32 v84, 0
	v_mov_b32_e32 v85, 0
	s_cbranch_vccnz .LBB136_37
; %bb.35:                               ;   in Loop: Header=BB136_23 Depth=1
	ds_read_b32 v96, v89 offset:4
	v_mov_b32_e32 v85, 0
	v_mov_b32_e32 v84, 0
	s_waitcnt lgkmcnt(0)
	v_cmp_gt_i32_e32 vcc, 0, v96
	s_cbranch_vccnz .LBB136_37
; %bb.36:                               ;   in Loop: Header=BB136_23 Depth=1
	v_mul_lo_u32 v84, v96, s21
	v_add_u32_e32 v84, s16, v84
	v_add_u32_e32 v84, v84, v92
	v_ashrrev_i32_e32 v85, 31, v84
	v_lshlrev_b64 v[84:85], 2, v[84:85]
	v_mov_b32_e32 v96, s30
	v_add_co_u32_e32 v84, vcc, s27, v84
	v_addc_co_u32_e32 v85, vcc, v96, v85, vcc
	global_load_dwordx2 v[84:85], v[84:85], off
.LBB136_37:                             ;   in Loop: Header=BB136_23 Depth=1
	s_waitcnt vmcnt(0)
	v_and_b32_e32 v96, 0x7f800000, v84
	v_cmp_ne_u32_e32 vcc, s95, v96
                                        ; implicit-def: $vgpr96
	s_and_saveexec_b64 s[28:29], vcc
	s_xor_b64 s[28:29], exec, s[28:29]
; %bb.38:                               ;   in Loop: Header=BB136_23 Depth=1
	v_bfe_u32 v96, v84, 16, 1
	v_add3_u32 v96, v84, v96, s2
; %bb.39:                               ;   in Loop: Header=BB136_23 Depth=1
	s_andn2_saveexec_b64 s[28:29], s[28:29]
; %bb.40:                               ;   in Loop: Header=BB136_23 Depth=1
	v_or_b32_e32 v96, 0x10000, v84
	v_cmp_eq_u32_sdwa vcc, v84, v94 src0_sel:WORD_0 src1_sel:DWORD
	v_cndmask_b32_e32 v96, v96, v84, vcc
; %bb.41:                               ;   in Loop: Header=BB136_23 Depth=1
	s_or_b64 exec, exec, s[28:29]
	v_and_b32_e32 v84, 0x7f800000, v85
	v_cmp_ne_u32_e32 vcc, s95, v84
                                        ; implicit-def: $vgpr84
	s_and_saveexec_b64 s[28:29], vcc
	s_xor_b64 s[28:29], exec, s[28:29]
; %bb.42:                               ;   in Loop: Header=BB136_23 Depth=1
	v_bfe_u32 v84, v85, 16, 1
	v_add3_u32 v84, v85, v84, s2
                                        ; implicit-def: $vgpr85
; %bb.43:                               ;   in Loop: Header=BB136_23 Depth=1
	s_andn2_saveexec_b64 s[28:29], s[28:29]
; %bb.44:                               ;   in Loop: Header=BB136_23 Depth=1
	v_or_b32_e32 v84, 0x10000, v85
	v_cmp_eq_u32_sdwa vcc, v85, v94 src0_sel:WORD_0 src1_sel:DWORD
	v_cndmask_b32_e32 v84, v84, v85, vcc
; %bb.45:                               ;   in Loop: Header=BB136_23 Depth=1
	s_or_b64 exec, exec, s[28:29]
	v_perm_b32 v84, v84, v96, s3
	ds_write_b32 v90, v84 offset:328
	s_andn2_b64 vcc, exec, s[10:11]
	v_mov_b32_e32 v84, 0
	v_mov_b32_e32 v85, 0
	s_cbranch_vccnz .LBB136_48
; %bb.46:                               ;   in Loop: Header=BB136_23 Depth=1
	ds_read_b32 v96, v89 offset:8
	v_mov_b32_e32 v85, 0
	v_mov_b32_e32 v84, 0
	s_waitcnt lgkmcnt(0)
	v_cmp_gt_i32_e32 vcc, 0, v96
	s_cbranch_vccnz .LBB136_48
; %bb.47:                               ;   in Loop: Header=BB136_23 Depth=1
	v_mul_lo_u32 v84, v96, s21
	v_add_u32_e32 v84, s31, v84
	v_add_u32_e32 v84, v84, v92
	v_ashrrev_i32_e32 v85, 31, v84
	v_lshlrev_b64 v[84:85], 2, v[84:85]
	v_mov_b32_e32 v96, s30
	v_add_co_u32_e32 v84, vcc, s27, v84
	v_addc_co_u32_e32 v85, vcc, v96, v85, vcc
	global_load_dwordx2 v[84:85], v[84:85], off
.LBB136_48:                             ;   in Loop: Header=BB136_23 Depth=1
	;; [unrolled: 58-line block ×3, first 2 shown]
	s_waitcnt vmcnt(0)
	v_and_b32_e32 v96, 0x7f800000, v84
	v_cmp_ne_u32_e32 vcc, s95, v96
                                        ; implicit-def: $vgpr96
	s_and_saveexec_b64 s[28:29], vcc
	s_xor_b64 s[28:29], exec, s[28:29]
; %bb.60:                               ;   in Loop: Header=BB136_23 Depth=1
	v_bfe_u32 v96, v84, 16, 1
	v_add3_u32 v96, v84, v96, s2
; %bb.61:                               ;   in Loop: Header=BB136_23 Depth=1
	s_andn2_saveexec_b64 s[28:29], s[28:29]
; %bb.62:                               ;   in Loop: Header=BB136_23 Depth=1
	v_or_b32_e32 v96, 0x10000, v84
	v_cmp_eq_u32_sdwa vcc, v84, v94 src0_sel:WORD_0 src1_sel:DWORD
	v_cndmask_b32_e32 v96, v96, v84, vcc
; %bb.63:                               ;   in Loop: Header=BB136_23 Depth=1
	s_or_b64 exec, exec, s[28:29]
	v_and_b32_e32 v84, 0x7f800000, v85
	v_cmp_ne_u32_e32 vcc, s95, v84
                                        ; implicit-def: $vgpr84
	s_and_saveexec_b64 s[28:29], vcc
	s_xor_b64 s[28:29], exec, s[28:29]
; %bb.64:                               ;   in Loop: Header=BB136_23 Depth=1
	v_bfe_u32 v84, v85, 16, 1
	v_add3_u32 v84, v85, v84, s2
                                        ; implicit-def: $vgpr85
; %bb.65:                               ;   in Loop: Header=BB136_23 Depth=1
	s_andn2_saveexec_b64 s[28:29], s[28:29]
	s_cbranch_execz .LBB136_22
; %bb.66:                               ;   in Loop: Header=BB136_23 Depth=1
	v_or_b32_e32 v84, 0x10000, v85
	v_cmp_eq_u32_sdwa vcc, v85, v94 src0_sel:WORD_0 src1_sel:DWORD
	v_cndmask_b32_e32 v84, v84, v85, vcc
	s_branch .LBB136_22
.LBB136_67:
	s_or_b64 exec, exec, s[14:15]
	v_readlane_b32 s18, v102, 0
	v_readlane_b32 s19, v102, 1
.LBB136_68:
	s_or_b64 exec, exec, s[0:1]
	v_mul_u32_u24_e32 v18, 0x508, v87
	s_movk_i32 s2, 0x100
	v_lshlrev_b32_e32 v19, 2, v86
	v_add3_u32 v18, s2, v18, v19
	v_and_b32_e32 v20, 0x3f0, v16
	v_add_u32_e32 v21, v18, v20
	s_barrier
	v_add_u32_e32 v19, 64, v18
	ds_write2_b32 v21, v8, v9 offset0:16 offset1:17
	v_or_b32_e32 v9, 12, v16
	v_add_u32_e32 v8, v19, v20
	v_and_b32_e32 v9, 0x3fc, v9
	ds_write_b32 v8, v10 offset:8
	v_add_u32_e32 v10, v18, v9
	ds_write_b32 v10, v11 offset:64
	ds_write2_b32 v8, v4, v5 offset0:16 offset1:17
	ds_write_b32 v8, v6 offset:72
	v_add_u32_e32 v4, v19, v9
	v_cmp_gt_u32_e32 vcc, 4, v17
	ds_write_b32 v4, v7 offset:64
	ds_write2_b32 v8, v0, v1 offset0:32 offset1:33
	ds_write_b32 v8, v2 offset:136
	ds_write_b32 v4, v3 offset:128
	ds_write2_b32 v8, v12, v13 offset0:48 offset1:49
	ds_write_b32 v8, v14 offset:200
	ds_write_b32 v4, v15 offset:192
	s_waitcnt lgkmcnt(0)
	s_barrier
	s_and_saveexec_b64 s[0:1], vcc
	s_cbranch_execz .LBB136_71
; %bb.69:
	v_mov_b32_e32 v0, 0x100
	v_lshl_add_u32 v0, v17, 2, v0
	ds_read_b32 v0, v0
	v_or_b32_e32 v1, s9, v17
	v_cmp_gt_i32_e64 s[0:1], s13, v1
	s_waitcnt lgkmcnt(0)
	v_cmp_lt_i32_e32 vcc, -1, v0
	s_and_b64 s[0:1], vcc, s[0:1]
	s_and_b64 exec, exec, s[0:1]
	s_cbranch_execz .LBB136_71
; %bb.70:
	v_lshlrev_b32_e32 v2, 2, v16
	v_mul_u32_u24_e32 v3, 0x508, v17
	v_add3_u32 v6, s2, v2, v3
	ds_read2_b32 v[2:3], v6 offset0:16 offset1:80
	s_mul_hi_i32 s1, s26, s8
	s_mul_i32 s0, s26, s8
	ds_read2_b32 v[4:5], v6 offset0:144 offset1:208
	s_lshl_b64 s[0:1], s[0:1], 2
	s_mul_hi_i32 s5, s9, s17
	s_mul_i32 s4, s9, s17
	s_add_u32 s3, s18, s0
	ds_read_b32 v6, v6 offset:1088
	s_waitcnt lgkmcnt(2)
	v_add_f32_e32 v2, 0, v2
	v_add_u32_e32 v1, s23, v16
	s_addc_u32 s6, s19, s1
	s_lshl_b64 s[0:1], s[4:5], 2
	v_add_f32_e32 v2, v2, v3
	v_mul_lo_u32 v0, v0, s22
	v_mul_lo_u32 v3, v17, s17
	s_add_u32 s0, s3, s0
	v_add3_u32 v0, v1, v3, v0
	v_mov_b32_e32 v1, 0
	s_addc_u32 s1, s6, s1
	s_waitcnt lgkmcnt(1)
	v_add_f32_e32 v2, v2, v4
	v_lshlrev_b64 v[0:1], 2, v[0:1]
	v_add_f32_e32 v2, v2, v5
	v_mov_b32_e32 v3, s1
	v_add_co_u32_e32 v0, vcc, s0, v0
	s_waitcnt lgkmcnt(0)
	v_add_f32_e32 v2, v2, v6
	v_addc_co_u32_e32 v1, vcc, v3, v1, vcc
	global_store_dword v[0:1], v2, off
.LBB136_71:
	s_endpgm
	.section	.rodata,"a",@progbits
	.p2align	6, 0x0
	.amdhsa_kernel _ZL9mul_mat_fI15__hip_bfloat162Li64ELi4ELi5ELb1EEvPKT_PKfPKiPfiiiiiiiiiiiiiiii
		.amdhsa_group_segment_fixed_size 256
		.amdhsa_private_segment_fixed_size 0
		.amdhsa_kernarg_size 352
		.amdhsa_user_sgpr_count 6
		.amdhsa_user_sgpr_private_segment_buffer 1
		.amdhsa_user_sgpr_dispatch_ptr 0
		.amdhsa_user_sgpr_queue_ptr 0
		.amdhsa_user_sgpr_kernarg_segment_ptr 1
		.amdhsa_user_sgpr_dispatch_id 0
		.amdhsa_user_sgpr_flat_scratch_init 0
		.amdhsa_user_sgpr_kernarg_preload_length 0
		.amdhsa_user_sgpr_kernarg_preload_offset 0
		.amdhsa_user_sgpr_private_segment_size 0
		.amdhsa_uses_dynamic_stack 0
		.amdhsa_system_sgpr_private_segment_wavefront_offset 0
		.amdhsa_system_sgpr_workgroup_id_x 1
		.amdhsa_system_sgpr_workgroup_id_y 1
		.amdhsa_system_sgpr_workgroup_id_z 1
		.amdhsa_system_sgpr_workgroup_info 0
		.amdhsa_system_vgpr_workitem_id 2
		.amdhsa_next_free_vgpr 103
		.amdhsa_next_free_sgpr 96
		.amdhsa_accum_offset 104
		.amdhsa_reserve_vcc 1
		.amdhsa_reserve_flat_scratch 0
		.amdhsa_float_round_mode_32 0
		.amdhsa_float_round_mode_16_64 0
		.amdhsa_float_denorm_mode_32 3
		.amdhsa_float_denorm_mode_16_64 3
		.amdhsa_dx10_clamp 1
		.amdhsa_ieee_mode 1
		.amdhsa_fp16_overflow 0
		.amdhsa_tg_split 0
		.amdhsa_exception_fp_ieee_invalid_op 0
		.amdhsa_exception_fp_denorm_src 0
		.amdhsa_exception_fp_ieee_div_zero 0
		.amdhsa_exception_fp_ieee_overflow 0
		.amdhsa_exception_fp_ieee_underflow 0
		.amdhsa_exception_fp_ieee_inexact 0
		.amdhsa_exception_int_div_zero 0
	.end_amdhsa_kernel
	.section	.text._ZL9mul_mat_fI15__hip_bfloat162Li64ELi4ELi5ELb1EEvPKT_PKfPKiPfiiiiiiiiiiiiiiii,"axG",@progbits,_ZL9mul_mat_fI15__hip_bfloat162Li64ELi4ELi5ELb1EEvPKT_PKfPKiPfiiiiiiiiiiiiiiii,comdat
.Lfunc_end136:
	.size	_ZL9mul_mat_fI15__hip_bfloat162Li64ELi4ELi5ELb1EEvPKT_PKfPKiPfiiiiiiiiiiiiiiii, .Lfunc_end136-_ZL9mul_mat_fI15__hip_bfloat162Li64ELi4ELi5ELb1EEvPKT_PKfPKiPfiiiiiiiiiiiiiiii
                                        ; -- End function
	.section	.AMDGPU.csdata,"",@progbits
; Kernel info:
; codeLenInByte = 6752
; NumSgprs: 100
; NumVgprs: 103
; NumAgprs: 0
; TotalNumVgprs: 103
; ScratchSize: 0
; MemoryBound: 0
; FloatMode: 240
; IeeeMode: 1
; LDSByteSize: 256 bytes/workgroup (compile time only)
; SGPRBlocks: 12
; VGPRBlocks: 12
; NumSGPRsForWavesPerEU: 100
; NumVGPRsForWavesPerEU: 103
; AccumOffset: 104
; Occupancy: 4
; WaveLimiterHint : 0
; COMPUTE_PGM_RSRC2:SCRATCH_EN: 0
; COMPUTE_PGM_RSRC2:USER_SGPR: 6
; COMPUTE_PGM_RSRC2:TRAP_HANDLER: 0
; COMPUTE_PGM_RSRC2:TGID_X_EN: 1
; COMPUTE_PGM_RSRC2:TGID_Y_EN: 1
; COMPUTE_PGM_RSRC2:TGID_Z_EN: 1
; COMPUTE_PGM_RSRC2:TIDIG_COMP_CNT: 2
; COMPUTE_PGM_RSRC3_GFX90A:ACCUM_OFFSET: 25
; COMPUTE_PGM_RSRC3_GFX90A:TG_SPLIT: 0
	.section	.text._ZL9mul_mat_fI15__hip_bfloat162Li64ELi4ELi5ELb0EEvPKT_PKfPKiPfiiiiiiiiiiiiiiii,"axG",@progbits,_ZL9mul_mat_fI15__hip_bfloat162Li64ELi4ELi5ELb0EEvPKT_PKfPKiPfiiiiiiiiiiiiiiii,comdat
	.globl	_ZL9mul_mat_fI15__hip_bfloat162Li64ELi4ELi5ELb0EEvPKT_PKfPKiPfiiiiiiiiiiiiiiii ; -- Begin function _ZL9mul_mat_fI15__hip_bfloat162Li64ELi4ELi5ELb0EEvPKT_PKfPKiPfiiiiiiiiiiiiiiii
	.p2align	8
	.type	_ZL9mul_mat_fI15__hip_bfloat162Li64ELi4ELi5ELb0EEvPKT_PKfPKiPfiiiiiiiiiiiiiiii,@function
_ZL9mul_mat_fI15__hip_bfloat162Li64ELi4ELi5ELb0EEvPKT_PKfPKiPfiiiiiiiiiiiiiiii: ; @_ZL9mul_mat_fI15__hip_bfloat162Li64ELi4ELi5ELb0EEvPKT_PKfPKiPfiiiiiiiiiiiiiiii
; %bb.0:
	s_load_dwordx8 s[12:19], s[4:5], 0x40
	s_load_dword s9, s[4:5], 0x20
	s_load_dwordx4 s[0:3], s[4:5], 0x2c
	v_bfe_u32 v86, v0, 10, 10
	v_lshlrev_b32_e32 v89, 6, v86
	v_and_b32_e32 v87, 0x3ff, v0
	s_waitcnt lgkmcnt(0)
	s_abs_i32 s27, s12
	s_abs_i32 s26, s16
	v_cvt_f32_u32_e32 v1, s27
	v_cvt_f32_u32_e32 v2, s26
	v_add_u32_e32 v91, v89, v87
	s_mov_b32 s22, 0
	v_rcp_iflag_f32_e32 v1, v1
	v_rcp_iflag_f32_e32 v2, v2
	s_ashr_i32 s28, s8, 31
	v_cmp_le_i32_e32 vcc, s9, v91
	v_mul_f32_e32 v1, 0x4f7ffffe, v1
	v_mul_f32_e32 v2, 0x4f7ffffe, v2
	v_cvt_u32_f32_e32 v1, v1
	v_cvt_u32_f32_e32 v2, v2
	v_and_b32_e32 v90, 15, v87
	v_readfirstlane_b32 s21, v1
	v_readfirstlane_b32 s20, v2
	s_and_saveexec_b64 s[10:11], vcc
	s_xor_b64 s[10:11], exec, s[10:11]
; %bb.1:
	v_and_b32_e32 v90, 15, v87
                                        ; implicit-def: $vgpr91
; %bb.2:
	s_or_saveexec_b64 s[24:25], s[10:11]
	s_load_dwordx2 s[10:11], s[4:5], 0x18
	s_lshl_b32 s3, s6, 6
	v_mov_b32_e32 v7, s22
	v_lshlrev_b32_e32 v88, 2, v87
	v_mov_b32_e32 v6, s22
	v_mov_b32_e32 v5, s22
	v_mov_b32_e32 v4, s22
	v_mov_b32_e32 v3, s22
	v_mov_b32_e32 v2, s22
	v_mov_b32_e32 v1, s22
	v_mov_b32_e32 v0, s22
	v_mov_b32_e32 v11, s22
	v_mov_b32_e32 v10, s22
	v_mov_b32_e32 v9, s22
	v_mov_b32_e32 v8, s22
	v_mov_b32_e32 v15, s22
	v_mov_b32_e32 v14, s22
	v_mov_b32_e32 v13, s22
	v_mov_b32_e32 v12, s22
	s_xor_b64 exec, exec, s[24:25]
	s_cbranch_execz .LBB137_38
; %bb.3:
	s_sub_i32 s6, 0, s27
	s_sub_i32 s22, 0, s26
	s_mul_i32 s6, s6, s21
	s_mul_i32 s22, s22, s20
	s_mul_hi_u32 s6, s21, s6
	s_mul_hi_u32 s22, s20, s22
	s_abs_i32 s29, s7
	s_add_i32 s6, s21, s6
	s_add_i32 s31, s20, s22
	s_load_dwordx4 s[20:23], s[4:5], 0x0
	s_mul_hi_u32 s4, s29, s6
	s_ashr_i32 s6, s7, 31
	s_ashr_i32 s12, s12, 31
	s_xor_b32 s6, s6, s12
	s_mul_i32 s12, s4, s27
	s_abs_i32 s30, s8
	s_sub_i32 s12, s29, s12
	s_mul_hi_u32 s5, s30, s31
	s_ashr_i32 s16, s16, 31
	s_add_i32 s29, s4, 1
	s_sub_i32 s31, s12, s27
	s_cmp_ge_u32 s12, s27
	s_cselect_b32 s4, s29, s4
	s_cselect_b32 s12, s31, s12
	s_add_i32 s29, s4, 1
	s_cmp_ge_u32 s12, s27
	s_cselect_b32 s4, s29, s4
	s_mul_i32 s12, s5, s26
	s_xor_b32 s4, s4, s6
	s_sub_i32 s12, s30, s12
	s_sub_i32 s6, s4, s6
	s_xor_b32 s4, s28, s16
	s_add_i32 s16, s5, 1
	s_sub_i32 s27, s12, s26
	s_cmp_ge_u32 s12, s26
	s_cselect_b32 s5, s16, s5
	s_cselect_b32 s12, s27, s12
	s_add_i32 s16, s5, 1
	s_cmp_ge_u32 s12, s26
	s_cselect_b32 s5, s16, s5
	s_xor_b32 s5, s5, s4
	s_sub_i32 s4, s5, s4
	s_mul_hi_i32 s5, s4, s17
	s_mul_i32 s4, s4, s17
	s_mul_i32 s12, s6, s13
	s_ashr_i32 s13, s12, 31
	s_lshl_b64 s[26:27], s[4:5], 2
	s_mul_i32 s16, s3, s0
	s_waitcnt lgkmcnt(0)
	s_add_u32 s6, s20, s26
	s_addc_u32 s29, s21, s27
	s_ashr_i32 s17, s16, 31
	s_lshl_b64 s[16:17], s[16:17], 2
	s_lshl_b64 s[12:13], s[12:13], 2
	s_add_u32 s30, s12, s16
	s_addc_u32 s31, s13, s17
	s_mul_i32 s28, s7, s14
	s_add_u32 s6, s30, s6
	s_mul_hi_i32 s5, s18, s8
	s_mul_i32 s4, s18, s8
	s_addc_u32 s76, s31, s29
	s_ashr_i32 s29, s28, 31
	s_lshl_b64 s[16:17], s[4:5], 2
	s_lshl_b64 s[4:5], s[28:29], 2
	s_add_u32 s22, s22, s4
	s_addc_u32 s23, s23, s5
	s_add_u32 s14, s22, s16
	s_movk_i32 s4, 0x1080
	s_addc_u32 s18, s23, s17
	v_mad_u32_u24 v0, v86, s4, 0
	s_ashr_i32 s5, s0, 31
	s_mov_b32 s4, s0
	v_lshrrev_b32_e32 v2, 1, v87
	s_ashr_i32 s13, s1, 31
	s_lshl_b64 s[4:5], s[4:5], 2
	v_mul_u32_u24_e32 v1, 0x108, v90
	v_and_b32_e32 v2, 0x1f8, v2
	s_add_u32 s26, s30, s26
	v_add_u32_e32 v92, v0, v88
	v_add3_u32 v93, v0, v1, v2
	v_lshlrev_b32_e32 v0, 8, v86
	s_addc_u32 s27, s31, s27
	v_mov_b32_e32 v1, s27
	v_add_co_u32_e32 v0, vcc, s26, v0
	v_addc_co_u32_e32 v1, vcc, 0, v1, vcc
	v_add_co_u32_e32 v0, vcc, v0, v88
	v_addc_co_u32_e32 v1, vcc, 0, v1, vcc
	v_mov_b32_e32 v2, s21
	v_add_co_u32_e32 v16, vcc, s20, v0
	v_addc_co_u32_e32 v17, vcc, v2, v1, vcc
	v_lshlrev_b32_e32 v0, 9, v86
	v_mov_b32_e32 v1, s17
	v_add_co_u32_e32 v0, vcc, s16, v0
	v_addc_co_u32_e32 v1, vcc, 0, v1, vcc
	v_lshlrev_b32_e32 v2, 3, v87
	v_add_co_u32_e32 v0, vcc, v0, v2
	v_addc_co_u32_e32 v1, vcc, 0, v1, vcc
	s_mov_b32 s12, s1
	v_mov_b32_e32 v2, s23
	v_add_co_u32_e32 v18, vcc, s22, v0
	v_mov_b32_e32 v95, 0
	s_lshl_b64 s[12:13], s[12:13], 3
	v_addc_co_u32_e32 v19, vcc, v2, v1, vcc
	s_mul_i32 s20, s0, 63
	s_lshl_b32 s21, s1, 1
	s_mul_i32 s22, s1, 3
	s_lshl_b32 s23, s0, 1
	;; [unrolled: 2-line block ×3, first 2 shown]
	s_mul_i32 s28, s0, 5
	s_mul_i32 s29, s0, 6
	;; [unrolled: 1-line block ×3, first 2 shown]
	s_lshl_b32 s31, s0, 3
	s_mul_i32 s33, s0, 9
	s_mul_i32 s34, s0, 10
	;; [unrolled: 1-line block ×7, first 2 shown]
	s_lshl_b32 s40, s0, 4
	s_mul_i32 s41, s0, 17
	s_mul_i32 s42, s0, 18
	;; [unrolled: 1-line block ×15, first 2 shown]
	s_lshl_b32 s56, s0, 5
	s_mul_i32 s57, s0, 33
	s_mul_i32 s58, s0, 34
	;; [unrolled: 1-line block ×19, first 2 shown]
	v_mov_b32_e32 v94, s76
	s_mul_i32 s76, s0, 52
	v_mov_b32_e32 v96, s5
	v_mov_b32_e32 v12, 0
	;; [unrolled: 1-line block ×17, first 2 shown]
	s_mul_i32 s5, s0, 53
	s_mul_i32 s77, s0, 54
	;; [unrolled: 1-line block ×10, first 2 shown]
	s_mov_b32 s86, 0x7f800000
	s_movk_i32 s87, 0x7fff
	s_mov_b32 s88, 0x7060302
	s_mov_b64 s[0:1], 0
	s_branch .LBB137_5
.LBB137_4:                              ;   in Loop: Header=BB137_5 Depth=1
	s_or_b64 exec, exec, s[16:17]
	v_perm_b32 v84, v98, v97, s88
	v_add_u32_e32 v85, 0x200, v92
	ds_write2_b32 v85, v84, v95 offset0:70 offset1:136
	v_add_u32_e32 v84, 0x400, v92
	ds_write2_b32 v84, v95, v95 offset0:74 offset1:140
	;; [unrolled: 2-line block ×6, first 2 shown]
	ds_write_b32 v92, v95 offset:3960
	ds_read2_b64 v[98:101], v93 offset1:4
	s_waitcnt lgkmcnt(0)
	v_mfma_f32_16x16x16bf16_1k v[4:7], v[36:37], v[98:99], v[4:7]
	v_add_co_u32_e32 v16, vcc, 0x500, v16
	v_addc_co_u32_e32 v17, vcc, 0, v17, vcc
	v_add_co_u32_e32 v18, vcc, 0xa00, v18
	v_add_u32_e32 v91, 0x140, v91
	v_mfma_f32_16x16x16bf16_1k v[0:3], v[54:55], v[98:99], v[0:3]
	v_addc_co_u32_e32 v19, vcc, 0, v19, vcc
	v_cmp_le_i32_e32 vcc, s9, v91
	s_or_b64 s[0:1], vcc, s[0:1]
	v_mfma_f32_16x16x16bf16_1k v[8:11], v[68:69], v[98:99], v[8:11]
	v_mfma_f32_16x16x16bf16_1k v[12:15], v[82:83], v[98:99], v[12:15]
	;; [unrolled: 1-line block ×4, first 2 shown]
	ds_read2_b64 v[52:55], v93 offset0:8 offset1:12
	v_mfma_f32_16x16x16bf16_1k v[8:11], v[66:67], v[100:101], v[8:11]
	v_mfma_f32_16x16x16bf16_1k v[12:15], v[80:81], v[100:101], v[12:15]
	s_waitcnt lgkmcnt(0)
	v_mfma_f32_16x16x16bf16_1k v[4:7], v[30:31], v[52:53], v[4:7]
	v_mfma_f32_16x16x16bf16_1k v[0:3], v[50:51], v[52:53], v[0:3]
	;; [unrolled: 1-line block ×5, first 2 shown]
	ds_read2_b64 v[28:31], v93 offset0:16 offset1:20
	v_mfma_f32_16x16x16bf16_1k v[0:3], v[48:49], v[54:55], v[0:3]
	v_mfma_f32_16x16x16bf16_1k v[8:11], v[62:63], v[54:55], v[8:11]
	;; [unrolled: 1-line block ×3, first 2 shown]
	s_waitcnt lgkmcnt(0)
	v_mfma_f32_16x16x16bf16_1k v[4:7], v[26:27], v[28:29], v[4:7]
	v_mfma_f32_16x16x16bf16_1k v[0:3], v[44:45], v[28:29], v[0:3]
	;; [unrolled: 1-line block ×5, first 2 shown]
	ds_read2_b64 v[24:27], v93 offset0:24 offset1:28
	v_mfma_f32_16x16x16bf16_1k v[0:3], v[42:43], v[30:31], v[0:3]
	v_mfma_f32_16x16x16bf16_1k v[8:11], v[58:59], v[30:31], v[8:11]
	;; [unrolled: 1-line block ×3, first 2 shown]
	s_waitcnt lgkmcnt(0)
	v_mfma_f32_16x16x16bf16_1k v[4:7], v[22:23], v[24:25], v[4:7]
	v_mfma_f32_16x16x16bf16_1k v[0:3], v[40:41], v[24:25], v[0:3]
	;; [unrolled: 1-line block ×8, first 2 shown]
	s_andn2_b64 exec, exec, s[0:1]
	s_cbranch_execz .LBB137_37
.LBB137_5:                              ; =>This Inner Loop Header: Depth=1
	v_add_co_u32_e32 v20, vcc, s4, v16
	v_addc_co_u32_e32 v21, vcc, v17, v96, vcc
	global_load_dword v34, v[16:17], off
	global_load_dword v35, v[20:21], off
	v_add_u32_e32 v20, s23, v91
	v_ashrrev_i32_e32 v21, 31, v20
	v_lshlrev_b64 v[20:21], 2, v[20:21]
	v_add_u32_e32 v22, s26, v91
	v_add_co_u32_e32 v20, vcc, s6, v20
	v_ashrrev_i32_e32 v23, 31, v22
	v_addc_co_u32_e32 v21, vcc, v94, v21, vcc
	v_lshlrev_b64 v[22:23], 2, v[22:23]
	v_add_u32_e32 v24, s27, v91
	v_add_co_u32_e32 v22, vcc, s6, v22
	v_ashrrev_i32_e32 v25, 31, v24
	v_addc_co_u32_e32 v23, vcc, v94, v23, vcc
	v_lshlrev_b64 v[24:25], 2, v[24:25]
	v_add_u32_e32 v26, s28, v91
	v_add_co_u32_e32 v24, vcc, s6, v24
	v_ashrrev_i32_e32 v27, 31, v26
	v_addc_co_u32_e32 v25, vcc, v94, v25, vcc
	v_lshlrev_b64 v[26:27], 2, v[26:27]
	v_add_u32_e32 v28, s29, v91
	v_add_co_u32_e32 v26, vcc, s6, v26
	v_ashrrev_i32_e32 v29, 31, v28
	v_addc_co_u32_e32 v27, vcc, v94, v27, vcc
	v_lshlrev_b64 v[28:29], 2, v[28:29]
	v_add_u32_e32 v30, s30, v91
	v_add_co_u32_e32 v28, vcc, s6, v28
	v_ashrrev_i32_e32 v31, 31, v30
	v_addc_co_u32_e32 v29, vcc, v94, v29, vcc
	v_lshlrev_b64 v[30:31], 2, v[30:31]
	v_add_u32_e32 v32, s31, v91
	v_add_co_u32_e32 v30, vcc, s6, v30
	v_ashrrev_i32_e32 v33, 31, v32
	v_addc_co_u32_e32 v31, vcc, v94, v31, vcc
	v_lshlrev_b64 v[32:33], 2, v[32:33]
	v_add_co_u32_e32 v32, vcc, s6, v32
	v_addc_co_u32_e32 v33, vcc, v94, v33, vcc
	global_load_dword v36, v[20:21], off
	global_load_dword v37, v[22:23], off
	s_nop 0
	global_load_dword v24, v[24:25], off
	s_nop 0
	;; [unrolled: 2-line block ×3, first 2 shown]
	global_load_dword v26, v[28:29], off
	global_load_dword v27, v[30:31], off
	s_nop 0
	global_load_dword v28, v[32:33], off
	v_add_u32_e32 v20, s33, v91
	v_ashrrev_i32_e32 v21, 31, v20
	v_lshlrev_b64 v[20:21], 2, v[20:21]
	v_add_u32_e32 v22, s34, v91
	v_add_co_u32_e32 v20, vcc, s6, v20
	v_ashrrev_i32_e32 v23, 31, v22
	v_addc_co_u32_e32 v21, vcc, v94, v21, vcc
	v_lshlrev_b64 v[22:23], 2, v[22:23]
	global_load_dword v20, v[20:21], off
	v_add_co_u32_e32 v22, vcc, s6, v22
	v_addc_co_u32_e32 v23, vcc, v94, v23, vcc
	v_add_u32_e32 v30, s38, v91
	v_ashrrev_i32_e32 v31, 31, v30
	v_lshlrev_b64 v[30:31], 2, v[30:31]
	v_add_u32_e32 v32, s39, v91
	v_ashrrev_i32_e32 v33, 31, v32
	v_lshlrev_b64 v[32:33], 2, v[32:33]
	;; [unrolled: 3-line block ×6, first 2 shown]
	s_waitcnt vmcnt(9)
	ds_write_b32 v92, v34
	s_waitcnt vmcnt(8)
	ds_write_b32 v92, v35 offset:264
	s_waitcnt vmcnt(7)
	ds_write_b32 v92, v36 offset:528
	;; [unrolled: 2-line block ×8, first 2 shown]
	v_add_u32_e32 v24, s35, v91
	v_ashrrev_i32_e32 v25, 31, v24
	v_lshlrev_b64 v[24:25], 2, v[24:25]
	v_add_u32_e32 v26, s36, v91
	v_add_co_u32_e32 v24, vcc, s6, v24
	v_ashrrev_i32_e32 v27, 31, v26
	v_addc_co_u32_e32 v25, vcc, v94, v25, vcc
	v_lshlrev_b64 v[26:27], 2, v[26:27]
	v_add_u32_e32 v28, s37, v91
	v_add_co_u32_e32 v26, vcc, s6, v26
	v_ashrrev_i32_e32 v29, 31, v28
	v_addc_co_u32_e32 v27, vcc, v94, v27, vcc
	v_lshlrev_b64 v[28:29], 2, v[28:29]
	v_add_co_u32_e32 v28, vcc, s6, v28
	v_addc_co_u32_e32 v29, vcc, v94, v29, vcc
	v_add_co_u32_e32 v30, vcc, s6, v30
	v_addc_co_u32_e32 v31, vcc, v94, v31, vcc
	v_add_u32_e32 v34, s40, v91
	v_add_co_u32_e32 v32, vcc, s6, v32
	v_ashrrev_i32_e32 v35, 31, v34
	v_addc_co_u32_e32 v33, vcc, v94, v33, vcc
	v_lshlrev_b64 v[34:35], 2, v[34:35]
	v_add_u32_e32 v36, s41, v91
	v_add_co_u32_e32 v34, vcc, s6, v34
	v_ashrrev_i32_e32 v37, 31, v36
	v_addc_co_u32_e32 v35, vcc, v94, v35, vcc
	v_lshlrev_b64 v[36:37], 2, v[36:37]
	v_add_co_u32_e32 v36, vcc, s6, v36
	v_addc_co_u32_e32 v37, vcc, v94, v37, vcc
	global_load_dword v21, v[22:23], off
	s_nop 0
	global_load_dword v22, v[24:25], off
	global_load_dword v23, v[26:27], off
	s_nop 0
	global_load_dword v24, v[28:29], off
	global_load_dword v25, v[30:31], off
	;; [unrolled: 1-line block ×3, first 2 shown]
	s_nop 0
	global_load_dword v34, v[34:35], off
	s_nop 0
	global_load_dword v35, v[36:37], off
	v_add_u32_e32 v28, s42, v91
	v_ashrrev_i32_e32 v29, 31, v28
	v_lshlrev_b64 v[28:29], 2, v[28:29]
	v_add_u32_e32 v30, s43, v91
	v_add_co_u32_e32 v28, vcc, s6, v28
	v_ashrrev_i32_e32 v31, 31, v30
	v_addc_co_u32_e32 v29, vcc, v94, v29, vcc
	v_lshlrev_b64 v[30:31], 2, v[30:31]
	v_add_u32_e32 v32, s44, v91
	v_add_co_u32_e32 v30, vcc, s6, v30
	v_ashrrev_i32_e32 v33, 31, v32
	v_addc_co_u32_e32 v31, vcc, v94, v31, vcc
	;; [unrolled: 5-line block ×3, first 2 shown]
	v_lshlrev_b64 v[36:37], 2, v[36:37]
	v_add_co_u32_e32 v36, vcc, s6, v36
	v_addc_co_u32_e32 v37, vcc, v94, v37, vcc
	v_add_co_u32_e32 v38, vcc, s6, v38
	v_addc_co_u32_e32 v39, vcc, v94, v39, vcc
	;; [unrolled: 2-line block ×5, first 2 shown]
	global_load_dword v46, v[28:29], off
	global_load_dword v47, v[30:31], off
	global_load_dword v48, v[32:33], off
	global_load_dword v49, v[36:37], off
	global_load_dword v50, v[38:39], off
	global_load_dword v51, v[40:41], off
	global_load_dword v52, v[42:43], off
	global_load_dword v53, v[44:45], off
	v_add_u32_e32 v28, s50, v91
	v_ashrrev_i32_e32 v29, 31, v28
	v_lshlrev_b64 v[28:29], 2, v[28:29]
	v_add_u32_e32 v30, s51, v91
	v_add_co_u32_e32 v28, vcc, s6, v28
	v_ashrrev_i32_e32 v31, 31, v30
	v_addc_co_u32_e32 v29, vcc, v94, v29, vcc
	v_lshlrev_b64 v[30:31], 2, v[30:31]
	v_add_u32_e32 v32, s52, v91
	v_add_co_u32_e32 v30, vcc, s6, v30
	v_ashrrev_i32_e32 v33, 31, v32
	v_addc_co_u32_e32 v31, vcc, v94, v31, vcc
	v_lshlrev_b64 v[32:33], 2, v[32:33]
	v_add_u32_e32 v36, s53, v91
	v_add_co_u32_e32 v32, vcc, s6, v32
	v_ashrrev_i32_e32 v37, 31, v36
	v_addc_co_u32_e32 v33, vcc, v94, v33, vcc
	v_lshlrev_b64 v[36:37], 2, v[36:37]
	v_add_u32_e32 v38, s54, v91
	v_add_co_u32_e32 v36, vcc, s6, v36
	v_ashrrev_i32_e32 v39, 31, v38
	v_addc_co_u32_e32 v37, vcc, v94, v37, vcc
	v_lshlrev_b64 v[38:39], 2, v[38:39]
	v_add_u32_e32 v40, s55, v91
	v_add_co_u32_e32 v38, vcc, s6, v38
	v_ashrrev_i32_e32 v41, 31, v40
	v_addc_co_u32_e32 v39, vcc, v94, v39, vcc
	v_lshlrev_b64 v[40:41], 2, v[40:41]
	v_add_u32_e32 v42, s56, v91
	v_add_co_u32_e32 v40, vcc, s6, v40
	v_ashrrev_i32_e32 v43, 31, v42
	v_addc_co_u32_e32 v41, vcc, v94, v41, vcc
	v_lshlrev_b64 v[42:43], 2, v[42:43]
	v_add_u32_e32 v44, s57, v91
	v_add_co_u32_e32 v42, vcc, s6, v42
	v_ashrrev_i32_e32 v45, 31, v44
	v_addc_co_u32_e32 v43, vcc, v94, v43, vcc
	v_lshlrev_b64 v[44:45], 2, v[44:45]
	v_add_co_u32_e32 v44, vcc, s6, v44
	v_addc_co_u32_e32 v45, vcc, v94, v45, vcc
	global_load_dword v54, v[28:29], off
	global_load_dword v55, v[30:31], off
	global_load_dword v56, v[32:33], off
	global_load_dword v57, v[36:37], off
	global_load_dword v58, v[38:39], off
	global_load_dword v59, v[40:41], off
	global_load_dword v60, v[42:43], off
	global_load_dword v61, v[44:45], off
	v_add_u32_e32 v28, s58, v91
	v_ashrrev_i32_e32 v29, 31, v28
	v_lshlrev_b64 v[28:29], 2, v[28:29]
	v_add_u32_e32 v30, s59, v91
	v_add_co_u32_e32 v28, vcc, s6, v28
	v_ashrrev_i32_e32 v31, 31, v30
	v_addc_co_u32_e32 v29, vcc, v94, v29, vcc
	v_lshlrev_b64 v[30:31], 2, v[30:31]
	v_add_u32_e32 v32, s60, v91
	v_add_co_u32_e32 v30, vcc, s6, v30
	v_ashrrev_i32_e32 v33, 31, v32
	v_addc_co_u32_e32 v31, vcc, v94, v31, vcc
	v_lshlrev_b64 v[32:33], 2, v[32:33]
	v_add_u32_e32 v36, s61, v91
	v_add_co_u32_e32 v32, vcc, s6, v32
	v_ashrrev_i32_e32 v37, 31, v36
	v_addc_co_u32_e32 v33, vcc, v94, v33, vcc
	v_lshlrev_b64 v[36:37], 2, v[36:37]
	v_add_u32_e32 v38, s62, v91
	v_add_co_u32_e32 v36, vcc, s6, v36
	v_ashrrev_i32_e32 v39, 31, v38
	v_addc_co_u32_e32 v37, vcc, v94, v37, vcc
	v_lshlrev_b64 v[38:39], 2, v[38:39]
	v_add_u32_e32 v40, s63, v91
	v_add_co_u32_e32 v38, vcc, s6, v38
	v_ashrrev_i32_e32 v41, 31, v40
	v_addc_co_u32_e32 v39, vcc, v94, v39, vcc
	v_lshlrev_b64 v[40:41], 2, v[40:41]
	v_add_u32_e32 v42, s64, v91
	v_add_co_u32_e32 v40, vcc, s6, v40
	v_ashrrev_i32_e32 v43, 31, v42
	v_addc_co_u32_e32 v41, vcc, v94, v41, vcc
	v_lshlrev_b64 v[42:43], 2, v[42:43]
	v_add_u32_e32 v44, s65, v91
	v_add_co_u32_e32 v42, vcc, s6, v42
	v_ashrrev_i32_e32 v45, 31, v44
	v_addc_co_u32_e32 v43, vcc, v94, v43, vcc
	v_lshlrev_b64 v[44:45], 2, v[44:45]
	v_add_co_u32_e32 v44, vcc, s6, v44
	v_addc_co_u32_e32 v45, vcc, v94, v45, vcc
	;; [unrolled: 48-line block ×4, first 2 shown]
	global_load_dword v78, v[28:29], off
	global_load_dword v79, v[30:31], off
	;; [unrolled: 1-line block ×8, first 2 shown]
	v_add_u32_e32 v28, s81, v91
	v_ashrrev_i32_e32 v29, 31, v28
	v_lshlrev_b64 v[28:29], 2, v[28:29]
	v_add_u32_e32 v30, s82, v91
	v_add_co_u32_e32 v28, vcc, s6, v28
	v_ashrrev_i32_e32 v31, 31, v30
	v_addc_co_u32_e32 v29, vcc, v94, v29, vcc
	v_lshlrev_b64 v[30:31], 2, v[30:31]
	v_add_u32_e32 v32, s83, v91
	v_add_co_u32_e32 v30, vcc, s6, v30
	v_ashrrev_i32_e32 v33, 31, v32
	v_addc_co_u32_e32 v31, vcc, v94, v31, vcc
	;; [unrolled: 5-line block ×5, first 2 shown]
	v_lshlrev_b64 v[40:41], 2, v[40:41]
	v_add_co_u32_e32 v40, vcc, s6, v40
	v_addc_co_u32_e32 v41, vcc, v94, v41, vcc
	global_load_dword v99, v[28:29], off
	global_load_dword v100, v[30:31], off
	;; [unrolled: 1-line block ×6, first 2 shown]
	s_waitcnt vmcnt(54)
	ds_write_b32 v92, v20 offset:2376
	s_waitcnt vmcnt(53)
	ds_write_b32 v92, v21 offset:2640
	;; [unrolled: 2-line block ×7, first 2 shown]
	global_load_dwordx2 v[84:85], v[18:19], off
	ds_read_b64 v[36:37], v93
	ds_read_b64 v[32:33], v93 offset:32
	ds_read_b64 v[30:31], v93 offset:64
	ds_read_b64 v[28:29], v93 offset:96
	ds_read_b64 v[26:27], v93 offset:128
	ds_read_b64 v[24:25], v93 offset:160
	ds_read_b64 v[22:23], v93 offset:192
	ds_read_b64 v[20:21], v93 offset:224
	s_waitcnt vmcnt(48)
	ds_write_b32 v92, v34
	s_waitcnt vmcnt(47)
	ds_write_b32 v92, v35 offset:264
	s_waitcnt vmcnt(46)
	ds_write_b32 v92, v46 offset:528
	s_waitcnt vmcnt(45)
	ds_write_b32 v92, v47 offset:792
	s_waitcnt vmcnt(44)
	ds_write_b32 v92, v48 offset:1056
	s_waitcnt vmcnt(43)
	ds_write_b32 v92, v49 offset:1320
	s_waitcnt vmcnt(42)
	ds_write_b32 v92, v50 offset:1584
	s_waitcnt vmcnt(41)
	ds_write_b32 v92, v51 offset:1848
	s_waitcnt vmcnt(40)
	ds_write_b32 v92, v52 offset:2112
	s_waitcnt vmcnt(39)
	ds_write_b32 v92, v53 offset:2376
	s_waitcnt vmcnt(38)
	ds_write_b32 v92, v54 offset:2640
	s_waitcnt vmcnt(37)
	ds_write_b32 v92, v55 offset:2904
	s_waitcnt vmcnt(36)
	ds_write_b32 v92, v56 offset:3168
	s_waitcnt vmcnt(35)
	ds_write_b32 v92, v57 offset:3432
	s_waitcnt vmcnt(34)
	ds_write_b32 v92, v58 offset:3696
	s_waitcnt vmcnt(33)
	ds_write_b32 v92, v59 offset:3960
	ds_read_b64 v[54:55], v93
	ds_read_b64 v[52:53], v93 offset:32
	ds_read_b64 v[50:51], v93 offset:64
	ds_read_b64 v[48:49], v93 offset:96
	ds_read_b64 v[44:45], v93 offset:128
	ds_read_b64 v[42:43], v93 offset:160
	ds_read_b64 v[40:41], v93 offset:192
	ds_read_b64 v[34:35], v93 offset:224
	s_waitcnt vmcnt(32)
	ds_write_b32 v92, v60
	s_waitcnt vmcnt(31)
	ds_write_b32 v92, v61 offset:264
	s_waitcnt vmcnt(30)
	ds_write_b32 v92, v62 offset:528
	s_waitcnt vmcnt(29)
	ds_write_b32 v92, v63 offset:792
	s_waitcnt vmcnt(28)
	ds_write_b32 v92, v64 offset:1056
	s_waitcnt vmcnt(27)
	ds_write_b32 v92, v65 offset:1320
	s_waitcnt vmcnt(26)
	ds_write_b32 v92, v66 offset:1584
	s_waitcnt vmcnt(25)
	ds_write_b32 v92, v67 offset:1848
	s_waitcnt vmcnt(24)
	ds_write_b32 v92, v68 offset:2112
	s_waitcnt vmcnt(23)
	ds_write_b32 v92, v69 offset:2376
	s_waitcnt vmcnt(22)
	ds_write_b32 v92, v70 offset:2640
	s_waitcnt vmcnt(21)
	ds_write_b32 v92, v71 offset:2904
	s_waitcnt vmcnt(20)
	ds_write_b32 v92, v72 offset:3168
	s_waitcnt vmcnt(19)
	ds_write_b32 v92, v73 offset:3432
	s_waitcnt vmcnt(18)
	ds_write_b32 v92, v74 offset:3696
	s_waitcnt vmcnt(17)
	ds_write_b32 v92, v75 offset:3960
	;; [unrolled: 40-line block ×3, first 2 shown]
	ds_read_b64 v[82:83], v93
	ds_read_b64 v[80:81], v93 offset:32
	ds_read_b64 v[78:79], v93 offset:64
	;; [unrolled: 1-line block ×7, first 2 shown]
	s_waitcnt vmcnt(0)
	v_and_b32_e32 v97, 0x7f800000, v84
	v_cmp_ne_u32_e32 vcc, s86, v97
                                        ; implicit-def: $vgpr97
	s_and_saveexec_b64 s[16:17], vcc
	s_xor_b64 s[16:17], exec, s[16:17]
; %bb.6:                                ;   in Loop: Header=BB137_5 Depth=1
	v_bfe_u32 v97, v84, 16, 1
	v_add3_u32 v97, v84, v97, s87
; %bb.7:                                ;   in Loop: Header=BB137_5 Depth=1
	s_andn2_saveexec_b64 s[16:17], s[16:17]
; %bb.8:                                ;   in Loop: Header=BB137_5 Depth=1
	v_or_b32_e32 v97, 0x10000, v84
	v_cmp_eq_u32_sdwa vcc, v84, v95 src0_sel:WORD_0 src1_sel:DWORD
	v_cndmask_b32_e32 v97, v97, v84, vcc
; %bb.9:                                ;   in Loop: Header=BB137_5 Depth=1
	s_or_b64 exec, exec, s[16:17]
	v_and_b32_e32 v84, 0x7f800000, v85
	v_cmp_ne_u32_e32 vcc, s86, v84
                                        ; implicit-def: $vgpr98
	s_and_saveexec_b64 s[16:17], vcc
	s_xor_b64 s[16:17], exec, s[16:17]
; %bb.10:                               ;   in Loop: Header=BB137_5 Depth=1
	v_bfe_u32 v84, v85, 16, 1
	v_add3_u32 v98, v85, v84, s87
                                        ; implicit-def: $vgpr84_vgpr85
; %bb.11:                               ;   in Loop: Header=BB137_5 Depth=1
	s_andn2_saveexec_b64 s[16:17], s[16:17]
; %bb.12:                               ;   in Loop: Header=BB137_5 Depth=1
	v_or_b32_e32 v84, 0x10000, v85
	v_cmp_eq_u32_sdwa vcc, v85, v95 src0_sel:WORD_0 src1_sel:DWORD
	v_cndmask_b32_e32 v98, v84, v85, vcc
; %bb.13:                               ;   in Loop: Header=BB137_5 Depth=1
	s_or_b64 exec, exec, s[16:17]
	v_mov_b32_e32 v85, s13
	v_add_co_u32_e32 v84, vcc, s12, v18
	v_addc_co_u32_e32 v85, vcc, v19, v85, vcc
	global_load_dwordx2 v[84:85], v[84:85], off
	v_perm_b32 v97, v98, v97, s88
	ds_write_b32 v92, v97
	s_waitcnt vmcnt(0)
	v_and_b32_e32 v97, 0x7f800000, v84
	v_cmp_ne_u32_e32 vcc, s86, v97
                                        ; implicit-def: $vgpr97
	s_and_saveexec_b64 s[16:17], vcc
	s_xor_b64 s[16:17], exec, s[16:17]
; %bb.14:                               ;   in Loop: Header=BB137_5 Depth=1
	v_bfe_u32 v97, v84, 16, 1
	v_add3_u32 v97, v84, v97, s87
; %bb.15:                               ;   in Loop: Header=BB137_5 Depth=1
	s_andn2_saveexec_b64 s[16:17], s[16:17]
; %bb.16:                               ;   in Loop: Header=BB137_5 Depth=1
	v_or_b32_e32 v97, 0x10000, v84
	v_cmp_eq_u32_sdwa vcc, v84, v95 src0_sel:WORD_0 src1_sel:DWORD
	v_cndmask_b32_e32 v97, v97, v84, vcc
; %bb.17:                               ;   in Loop: Header=BB137_5 Depth=1
	s_or_b64 exec, exec, s[16:17]
	v_and_b32_e32 v84, 0x7f800000, v85
	v_cmp_ne_u32_e32 vcc, s86, v84
                                        ; implicit-def: $vgpr98
	s_and_saveexec_b64 s[16:17], vcc
	s_xor_b64 s[16:17], exec, s[16:17]
; %bb.18:                               ;   in Loop: Header=BB137_5 Depth=1
	v_bfe_u32 v84, v85, 16, 1
	v_add3_u32 v98, v85, v84, s87
                                        ; implicit-def: $vgpr84_vgpr85
; %bb.19:                               ;   in Loop: Header=BB137_5 Depth=1
	s_andn2_saveexec_b64 s[16:17], s[16:17]
; %bb.20:                               ;   in Loop: Header=BB137_5 Depth=1
	v_or_b32_e32 v84, 0x10000, v85
	v_cmp_eq_u32_sdwa vcc, v85, v95 src0_sel:WORD_0 src1_sel:DWORD
	v_cndmask_b32_e32 v98, v84, v85, vcc
; %bb.21:                               ;   in Loop: Header=BB137_5 Depth=1
	s_or_b64 exec, exec, s[16:17]
	v_add_u32_e32 v84, s21, v91
	v_ashrrev_i32_e32 v85, 31, v84
	v_lshlrev_b64 v[84:85], 3, v[84:85]
	v_mov_b32_e32 v99, s18
	v_add_co_u32_e32 v84, vcc, s14, v84
	v_addc_co_u32_e32 v85, vcc, v99, v85, vcc
	global_load_dwordx2 v[84:85], v[84:85], off
	v_perm_b32 v97, v98, v97, s88
	ds_write_b32 v92, v97 offset:264
	s_waitcnt vmcnt(0)
	v_and_b32_e32 v97, 0x7f800000, v84
	v_cmp_ne_u32_e32 vcc, s86, v97
                                        ; implicit-def: $vgpr97
	s_and_saveexec_b64 s[16:17], vcc
	s_xor_b64 s[16:17], exec, s[16:17]
; %bb.22:                               ;   in Loop: Header=BB137_5 Depth=1
	v_bfe_u32 v97, v84, 16, 1
	v_add3_u32 v97, v84, v97, s87
; %bb.23:                               ;   in Loop: Header=BB137_5 Depth=1
	s_andn2_saveexec_b64 s[16:17], s[16:17]
; %bb.24:                               ;   in Loop: Header=BB137_5 Depth=1
	v_or_b32_e32 v97, 0x10000, v84
	v_cmp_eq_u32_sdwa vcc, v84, v95 src0_sel:WORD_0 src1_sel:DWORD
	v_cndmask_b32_e32 v97, v97, v84, vcc
; %bb.25:                               ;   in Loop: Header=BB137_5 Depth=1
	s_or_b64 exec, exec, s[16:17]
	v_and_b32_e32 v84, 0x7f800000, v85
	v_cmp_ne_u32_e32 vcc, s86, v84
                                        ; implicit-def: $vgpr98
	s_and_saveexec_b64 s[16:17], vcc
	s_xor_b64 s[16:17], exec, s[16:17]
; %bb.26:                               ;   in Loop: Header=BB137_5 Depth=1
	v_bfe_u32 v84, v85, 16, 1
	v_add3_u32 v98, v85, v84, s87
                                        ; implicit-def: $vgpr84_vgpr85
; %bb.27:                               ;   in Loop: Header=BB137_5 Depth=1
	s_andn2_saveexec_b64 s[16:17], s[16:17]
; %bb.28:                               ;   in Loop: Header=BB137_5 Depth=1
	v_or_b32_e32 v84, 0x10000, v85
	v_cmp_eq_u32_sdwa vcc, v85, v95 src0_sel:WORD_0 src1_sel:DWORD
	v_cndmask_b32_e32 v98, v84, v85, vcc
; %bb.29:                               ;   in Loop: Header=BB137_5 Depth=1
	s_or_b64 exec, exec, s[16:17]
	v_add_u32_e32 v84, s22, v91
	v_ashrrev_i32_e32 v85, 31, v84
	v_lshlrev_b64 v[84:85], 3, v[84:85]
	v_mov_b32_e32 v99, s18
	v_add_co_u32_e32 v84, vcc, s14, v84
	v_addc_co_u32_e32 v85, vcc, v99, v85, vcc
	global_load_dwordx2 v[84:85], v[84:85], off
	v_perm_b32 v97, v98, v97, s88
	ds_write_b32 v92, v97 offset:528
	s_waitcnt vmcnt(0)
	v_and_b32_e32 v97, 0x7f800000, v84
	v_cmp_ne_u32_e32 vcc, s86, v97
                                        ; implicit-def: $vgpr97
	s_and_saveexec_b64 s[16:17], vcc
	s_xor_b64 s[16:17], exec, s[16:17]
; %bb.30:                               ;   in Loop: Header=BB137_5 Depth=1
	v_bfe_u32 v97, v84, 16, 1
	v_add3_u32 v97, v84, v97, s87
; %bb.31:                               ;   in Loop: Header=BB137_5 Depth=1
	s_andn2_saveexec_b64 s[16:17], s[16:17]
; %bb.32:                               ;   in Loop: Header=BB137_5 Depth=1
	v_or_b32_e32 v97, 0x10000, v84
	v_cmp_eq_u32_sdwa vcc, v84, v95 src0_sel:WORD_0 src1_sel:DWORD
	v_cndmask_b32_e32 v97, v97, v84, vcc
; %bb.33:                               ;   in Loop: Header=BB137_5 Depth=1
	s_or_b64 exec, exec, s[16:17]
	v_and_b32_e32 v84, 0x7f800000, v85
	v_cmp_ne_u32_e32 vcc, s86, v84
                                        ; implicit-def: $vgpr98
	s_and_saveexec_b64 s[16:17], vcc
	s_xor_b64 s[16:17], exec, s[16:17]
; %bb.34:                               ;   in Loop: Header=BB137_5 Depth=1
	v_bfe_u32 v84, v85, 16, 1
	v_add3_u32 v98, v85, v84, s87
                                        ; implicit-def: $vgpr84_vgpr85
; %bb.35:                               ;   in Loop: Header=BB137_5 Depth=1
	s_andn2_saveexec_b64 s[16:17], s[16:17]
	s_cbranch_execz .LBB137_4
; %bb.36:                               ;   in Loop: Header=BB137_5 Depth=1
	v_or_b32_e32 v84, 0x10000, v85
	v_cmp_eq_u32_sdwa vcc, v85, v95 src0_sel:WORD_0 src1_sel:DWORD
	v_cndmask_b32_e32 v98, v84, v85, vcc
	s_branch .LBB137_4
.LBB137_37:
	s_or_b64 exec, exec, s[0:1]
.LBB137_38:
	s_or_b64 exec, exec, s[24:25]
	v_mul_u32_u24_e32 v16, 0x508, v90
	v_lshlrev_b32_e32 v17, 2, v89
	v_add3_u32 v16, 0, v16, v17
	v_and_b32_e32 v17, 0x3f0, v87
	v_add_u32_e32 v17, v16, v17
	s_waitcnt lgkmcnt(0)
	s_barrier
	ds_write2_b32 v17, v4, v5 offset1:1
	ds_write_b32 v17, v6 offset:8
	v_or_b32_e32 v4, 12, v87
	v_and_b32_e32 v4, 0x3fc, v4
	v_add_u32_e32 v4, v16, v4
	v_cmp_gt_u32_e32 vcc, 4, v86
	ds_write_b32 v4, v7
	ds_write2_b32 v17, v0, v1 offset0:16 offset1:17
	ds_write_b32 v17, v2 offset:72
	ds_write_b32 v4, v3 offset:64
	ds_write2_b32 v17, v8, v9 offset0:32 offset1:33
	ds_write_b32 v17, v10 offset:136
	ds_write_b32 v4, v11 offset:128
	;; [unrolled: 3-line block ×3, first 2 shown]
	s_waitcnt lgkmcnt(0)
	s_barrier
	s_and_saveexec_b64 s[0:1], vcc
	s_cbranch_execz .LBB137_40
; %bb.39:
	v_mul_u32_u24_e32 v0, 0x508, v86
	v_add3_u32 v4, 0, v88, v0
	ds_read2st64_b32 v[0:1], v4 offset1:1
	ds_read2st64_b32 v[2:3], v4 offset0:2 offset1:3
	ds_read_b32 v4, v4 offset:1024
	s_mul_hi_i32 s1, s19, s8
	s_mul_i32 s0, s19, s8
	s_waitcnt lgkmcnt(2)
	v_add_f32_e32 v0, 0, v0
	s_lshl_b64 s[0:1], s[0:1], 2
	v_add_f32_e32 v0, v0, v1
	s_mul_i32 s4, s7, s15
	s_add_u32 s6, s10, s0
	s_waitcnt lgkmcnt(1)
	v_add_f32_e32 v0, v0, v2
	s_addc_u32 s7, s11, s1
	s_ashr_i32 s5, s4, 31
	v_add_f32_e32 v0, v0, v3
	s_lshl_b64 s[0:1], s[4:5], 2
	s_waitcnt lgkmcnt(0)
	v_add_f32_e32 v2, v0, v4
	v_mul_lo_u32 v0, v86, s2
	s_add_u32 s0, s6, s0
	v_add3_u32 v0, s3, v87, v0
	v_mov_b32_e32 v1, 0
	s_addc_u32 s1, s7, s1
	v_lshlrev_b64 v[0:1], 2, v[0:1]
	v_mov_b32_e32 v3, s1
	v_add_co_u32_e32 v0, vcc, s0, v0
	v_addc_co_u32_e32 v1, vcc, v3, v1, vcc
	global_store_dword v[0:1], v2, off
.LBB137_40:
	s_endpgm
	.section	.rodata,"a",@progbits
	.p2align	6, 0x0
	.amdhsa_kernel _ZL9mul_mat_fI15__hip_bfloat162Li64ELi4ELi5ELb0EEvPKT_PKfPKiPfiiiiiiiiiiiiiiii
		.amdhsa_group_segment_fixed_size 0
		.amdhsa_private_segment_fixed_size 0
		.amdhsa_kernarg_size 96
		.amdhsa_user_sgpr_count 6
		.amdhsa_user_sgpr_private_segment_buffer 1
		.amdhsa_user_sgpr_dispatch_ptr 0
		.amdhsa_user_sgpr_queue_ptr 0
		.amdhsa_user_sgpr_kernarg_segment_ptr 1
		.amdhsa_user_sgpr_dispatch_id 0
		.amdhsa_user_sgpr_flat_scratch_init 0
		.amdhsa_user_sgpr_kernarg_preload_length 0
		.amdhsa_user_sgpr_kernarg_preload_offset 0
		.amdhsa_user_sgpr_private_segment_size 0
		.amdhsa_uses_dynamic_stack 0
		.amdhsa_system_sgpr_private_segment_wavefront_offset 0
		.amdhsa_system_sgpr_workgroup_id_x 1
		.amdhsa_system_sgpr_workgroup_id_y 1
		.amdhsa_system_sgpr_workgroup_id_z 1
		.amdhsa_system_sgpr_workgroup_info 0
		.amdhsa_system_vgpr_workitem_id 1
		.amdhsa_next_free_vgpr 105
		.amdhsa_next_free_sgpr 89
		.amdhsa_accum_offset 108
		.amdhsa_reserve_vcc 1
		.amdhsa_reserve_flat_scratch 0
		.amdhsa_float_round_mode_32 0
		.amdhsa_float_round_mode_16_64 0
		.amdhsa_float_denorm_mode_32 3
		.amdhsa_float_denorm_mode_16_64 3
		.amdhsa_dx10_clamp 1
		.amdhsa_ieee_mode 1
		.amdhsa_fp16_overflow 0
		.amdhsa_tg_split 0
		.amdhsa_exception_fp_ieee_invalid_op 0
		.amdhsa_exception_fp_denorm_src 0
		.amdhsa_exception_fp_ieee_div_zero 0
		.amdhsa_exception_fp_ieee_overflow 0
		.amdhsa_exception_fp_ieee_underflow 0
		.amdhsa_exception_fp_ieee_inexact 0
		.amdhsa_exception_int_div_zero 0
	.end_amdhsa_kernel
	.section	.text._ZL9mul_mat_fI15__hip_bfloat162Li64ELi4ELi5ELb0EEvPKT_PKfPKiPfiiiiiiiiiiiiiiii,"axG",@progbits,_ZL9mul_mat_fI15__hip_bfloat162Li64ELi4ELi5ELb0EEvPKT_PKfPKiPfiiiiiiiiiiiiiiii,comdat
.Lfunc_end137:
	.size	_ZL9mul_mat_fI15__hip_bfloat162Li64ELi4ELi5ELb0EEvPKT_PKfPKiPfiiiiiiiiiiiiiiii, .Lfunc_end137-_ZL9mul_mat_fI15__hip_bfloat162Li64ELi4ELi5ELb0EEvPKT_PKfPKiPfiiiiiiiiiiiiiiii
                                        ; -- End function
	.section	.AMDGPU.csdata,"",@progbits
; Kernel info:
; codeLenInByte = 5572
; NumSgprs: 93
; NumVgprs: 105
; NumAgprs: 0
; TotalNumVgprs: 105
; ScratchSize: 0
; MemoryBound: 0
; FloatMode: 240
; IeeeMode: 1
; LDSByteSize: 0 bytes/workgroup (compile time only)
; SGPRBlocks: 11
; VGPRBlocks: 13
; NumSGPRsForWavesPerEU: 93
; NumVGPRsForWavesPerEU: 105
; AccumOffset: 108
; Occupancy: 4
; WaveLimiterHint : 0
; COMPUTE_PGM_RSRC2:SCRATCH_EN: 0
; COMPUTE_PGM_RSRC2:USER_SGPR: 6
; COMPUTE_PGM_RSRC2:TRAP_HANDLER: 0
; COMPUTE_PGM_RSRC2:TGID_X_EN: 1
; COMPUTE_PGM_RSRC2:TGID_Y_EN: 1
; COMPUTE_PGM_RSRC2:TGID_Z_EN: 1
; COMPUTE_PGM_RSRC2:TIDIG_COMP_CNT: 1
; COMPUTE_PGM_RSRC3_GFX90A:ACCUM_OFFSET: 26
; COMPUTE_PGM_RSRC3_GFX90A:TG_SPLIT: 0
	.section	.text._ZL13mul_mat_f_idsI15__hip_bfloat162Li64ELi4ELi6EEvPKT_PKfPKiS7_S7_Pfiiiiiiiiiiiiii15HIP_vector_typeIjLj3EESA_,"axG",@progbits,_ZL13mul_mat_f_idsI15__hip_bfloat162Li64ELi4ELi6EEvPKT_PKfPKiS7_S7_Pfiiiiiiiiiiiiii15HIP_vector_typeIjLj3EESA_,comdat
	.globl	_ZL13mul_mat_f_idsI15__hip_bfloat162Li64ELi4ELi6EEvPKT_PKfPKiS7_S7_Pfiiiiiiiiiiiiii15HIP_vector_typeIjLj3EESA_ ; -- Begin function _ZL13mul_mat_f_idsI15__hip_bfloat162Li64ELi4ELi6EEvPKT_PKfPKiS7_S7_Pfiiiiiiiiiiiiii15HIP_vector_typeIjLj3EESA_
	.p2align	8
	.type	_ZL13mul_mat_f_idsI15__hip_bfloat162Li64ELi4ELi6EEvPKT_PKfPKiS7_S7_Pfiiiiiiiiiiiiii15HIP_vector_typeIjLj3EESA_,@function
_ZL13mul_mat_f_idsI15__hip_bfloat162Li64ELi4ELi6EEvPKT_PKfPKiS7_S7_Pfiiiiiiiiiiiiii15HIP_vector_typeIjLj3EESA_: ; @_ZL13mul_mat_f_idsI15__hip_bfloat162Li64ELi4ELi6EEvPKT_PKfPKiS7_S7_Pfiiiiiiiiiiiiii15HIP_vector_typeIjLj3EESA_
; %bb.0:
	s_load_dwordx2 s[0:1], s[4:5], 0x20
	s_mov_b32 s34, s7
	s_ashr_i32 s35, s7, 31
	s_lshl_b64 s[2:3], s[34:35], 2
	s_waitcnt lgkmcnt(0)
	s_add_u32 s0, s0, s2
	s_addc_u32 s1, s1, s3
	s_load_dwordx2 s[26:27], s[0:1], 0x0
	s_waitcnt lgkmcnt(0)
	s_sub_i32 s28, s27, s26
	s_add_i32 s0, s28, 3
	s_ashr_i32 s1, s0, 31
	s_lshr_b32 s1, s1, 30
	s_add_i32 s0, s0, s1
	s_ashr_i32 s0, s0, 2
	s_cmp_ge_i32 s8, s0
	s_cbranch_scc1 .LBB138_55
; %bb.1:
	v_bfe_u32 v91, v0, 10, 10
	v_lshlrev_b32_e32 v92, 6, v91
	v_and_b32_e32 v90, 0x3ff, v0
	s_load_dwordx4 s[12:15], s[4:5], 0x30
	s_load_dwordx2 s[20:21], s[4:5], 0x40
	s_load_dwordx4 s[0:3], s[4:5], 0x4c
	s_load_dwordx4 s[16:19], s[4:5], 0x68
	s_load_dwordx2 s[24:25], s[4:5], 0x78
	v_add_u32_e32 v94, v92, v90
	s_ashr_i32 s27, s26, 31
	s_waitcnt lgkmcnt(0)
	v_cmp_le_i32_e32 vcc, s12, v94
	v_and_b32_e32 v93, 15, v90
                                        ; implicit-def: $sgpr3
	s_and_saveexec_b64 s[10:11], vcc
	s_xor_b64 s[10:11], exec, s[10:11]
; %bb.2:
	v_and_b32_e32 v93, 15, v90
	s_mov_b32 s3, 0
                                        ; implicit-def: $vgpr94
; %bb.3:
	s_or_saveexec_b64 s[36:37], s[10:11]
	s_load_dwordx2 s[10:11], s[4:5], 0x18
                                        ; implicit-def: $vgpr101 : SGPR spill to VGPR lane
	s_lshl_b32 s22, s6, 6
	s_lshl_b32 s30, s8, 2
	v_mov_b32_e32 v15, s3
	v_mov_b32_e32 v14, s3
	s_waitcnt lgkmcnt(0)
	v_writelane_b32 v101, s10, 0
	v_writelane_b32 v101, s11, 1
	s_load_dwordx2 s[10:11], s[4:5], 0x28
	v_mov_b32_e32 v13, s3
	v_mov_b32_e32 v12, s3
	;; [unrolled: 1-line block ×4, first 2 shown]
	s_waitcnt lgkmcnt(0)
	v_writelane_b32 v101, s10, 2
	v_writelane_b32 v101, s11, 3
	v_mov_b32_e32 v1, s3
	v_mov_b32_e32 v0, s3
	;; [unrolled: 1-line block ×10, first 2 shown]
	v_writelane_b32 v101, s36, 4
	v_writelane_b32 v101, s37, 5
	s_xor_b64 exec, exec, s[36:37]
	s_cbranch_execz .LBB138_51
; %bb.4:
	v_writelane_b32 v101, s24, 6
	v_writelane_b32 v101, s25, 7
	s_load_dwordx4 s[8:11], s[4:5], 0x0
	s_load_dwordx2 s[6:7], s[4:5], 0x10
	s_mul_i32 s4, s34, s0
	v_writelane_b32 v101, s22, 8
	s_mul_i32 s22, s22, s15
	s_ashr_i32 s5, s4, 31
	s_ashr_i32 s23, s22, 31
	s_lshl_b64 s[22:23], s[22:23], 2
	s_lshl_b64 s[4:5], s[4:5], 2
	s_add_u32 s3, s4, s22
	s_addc_u32 s22, s5, s23
	s_waitcnt lgkmcnt(0)
	s_add_u32 s0, s3, s8
	s_addc_u32 s23, s22, s9
	v_writelane_b32 v101, s26, 9
	s_lshl_b64 s[4:5], s[26:27], 2
	s_add_u32 s24, s6, s4
	s_addc_u32 s25, s7, s5
	s_movk_i32 s4, 0x1080
	s_cmp_lt_i32 s30, s28
	v_mad_u32_u24 v0, v91, s4, 0
	s_cselect_b64 s[4:5], -1, 0
	s_ashr_i32 s31, s30, 31
	s_lshl_b64 s[6:7], s[30:31], 2
	s_add_u32 s34, s24, s6
	s_addc_u32 s35, s25, s7
	s_or_b32 s6, s30, 1
	v_lshrrev_b32_e32 v3, 1, v90
	s_cmp_lt_i32 s6, s28
	v_lshlrev_b32_e32 v1, 2, v90
	v_mul_u32_u24_e32 v2, 0x108, v93
	v_and_b32_e32 v3, 0x1f8, v3
	s_cselect_b64 s[36:37], -1, 0
	s_or_b32 s6, s30, 2
	v_writelane_b32 v101, s27, 10
	v_add_u32_e32 v95, v0, v1
	v_add3_u32 v96, v0, v2, v3
	s_cmp_lt_i32 s6, s28
	s_mov_b32 s6, s30
	v_lshlrev_b32_e32 v0, 8, v91
	v_writelane_b32 v101, s6, 11
	v_mov_b32_e32 v2, s22
	v_add_co_u32_e32 v0, vcc, s3, v0
	s_cselect_b64 s[38:39], -1, 0
	v_writelane_b32 v101, s7, 12
	s_or_b32 s6, s30, 3
	v_addc_co_u32_e32 v2, vcc, 0, v2, vcc
	s_cmp_lt_i32 s6, s28
	v_add_co_u32_e32 v0, vcc, v0, v1
	s_cselect_b64 s[40:41], -1, 0
	s_ashr_i32 s7, s15, 31
	s_mov_b32 s6, s15
	v_addc_co_u32_e32 v1, vcc, 0, v2, vcc
	s_lshl_b64 s[42:43], s[6:7], 2
	v_mov_b32_e32 v2, s9
	v_add_co_u32_e32 v16, vcc, s8, v0
	v_mov_b32_e32 v98, 0
	v_writelane_b32 v101, s28, 13
	v_addc_co_u32_e32 v17, vcc, v2, v1, vcc
	s_lshl_b32 s7, s15, 1
	s_mul_i32 s46, s15, 3
	s_lshl_b32 s47, s15, 2
	s_mul_i32 s48, s15, 5
	s_mul_i32 s49, s15, 6
	;; [unrolled: 1-line block ×3, first 2 shown]
	s_lshl_b32 s51, s15, 3
	s_mul_i32 s52, s15, 9
	s_mul_i32 s53, s15, 10
	;; [unrolled: 1-line block ×7, first 2 shown]
	s_lshl_b32 s59, s15, 4
	s_mul_i32 s60, s15, 17
	s_mul_i32 s61, s15, 18
	;; [unrolled: 1-line block ×15, first 2 shown]
	s_lshl_b32 s75, s15, 5
	s_mul_i32 s76, s15, 33
	s_mul_i32 s77, s15, 34
	;; [unrolled: 1-line block ×15, first 2 shown]
	v_mov_b32_e32 v97, s23
	s_mul_i32 s91, s15, 48
	v_mov_b32_e32 v99, s43
	v_mov_b32_e32 v8, 0
	;; [unrolled: 1-line block ×17, first 2 shown]
	s_mul_i32 s43, s15, 49
	s_mul_i32 s92, s15, 50
	;; [unrolled: 1-line block ×15, first 2 shown]
	s_mov_b32 s6, 0x7f800000
	s_movk_i32 s33, 0x7fff
	s_mov_b32 s26, 0x7060302
	s_mov_b64 s[8:9], 0
	s_branch .LBB138_6
.LBB138_5:                              ;   in Loop: Header=BB138_6 Depth=1
	s_or_b64 exec, exec, s[44:45]
	v_perm_b32 v82, v83, v82, s26
	v_add_u32_e32 v83, 0x200, v95
	ds_write2_b32 v83, v82, v98 offset0:70 offset1:136
	v_add_u32_e32 v82, 0x400, v95
	ds_write2_b32 v82, v98, v98 offset0:74 offset1:140
	;; [unrolled: 2-line block ×6, first 2 shown]
	ds_write_b32 v95, v98 offset:3960
	ds_read2_b64 v[82:85], v96 offset1:4
	s_waitcnt lgkmcnt(0)
	v_mfma_f32_16x16x16bf16_1k v[8:11], v[34:35], v[82:83], v[8:11]
	v_add_co_u32_e32 v16, vcc, 0x600, v16
	v_add_u32_e32 v94, 0x180, v94
	v_addc_co_u32_e32 v17, vcc, 0, v17, vcc
	v_cmp_le_i32_e32 vcc, s12, v94
	s_or_b64 s[8:9], vcc, s[8:9]
	v_mfma_f32_16x16x16bf16_1k v[4:7], v[50:51], v[82:83], v[4:7]
	v_mfma_f32_16x16x16bf16_1k v[0:3], v[64:65], v[82:83], v[0:3]
	;; [unrolled: 1-line block ×6, first 2 shown]
	ds_read2_b64 v[62:65], v96 offset0:8 offset1:12
	v_mfma_f32_16x16x16bf16_1k v[12:15], v[78:79], v[84:85], v[12:15]
	s_waitcnt lgkmcnt(0)
	v_mfma_f32_16x16x16bf16_1k v[8:11], v[28:29], v[62:63], v[8:11]
	v_mfma_f32_16x16x16bf16_1k v[4:7], v[44:45], v[62:63], v[4:7]
	;; [unrolled: 1-line block ×5, first 2 shown]
	ds_read2_b64 v[26:29], v96 offset0:16 offset1:20
	v_mfma_f32_16x16x16bf16_1k v[4:7], v[42:43], v[64:65], v[4:7]
	v_mfma_f32_16x16x16bf16_1k v[0:3], v[58:59], v[64:65], v[0:3]
	v_mfma_f32_16x16x16bf16_1k v[12:15], v[74:75], v[64:65], v[12:15]
	s_waitcnt lgkmcnt(0)
	v_mfma_f32_16x16x16bf16_1k v[8:11], v[24:25], v[26:27], v[8:11]
	v_mfma_f32_16x16x16bf16_1k v[4:7], v[40:41], v[26:27], v[4:7]
	;; [unrolled: 1-line block ×5, first 2 shown]
	ds_read2_b64 v[22:25], v96 offset0:24 offset1:28
	v_mfma_f32_16x16x16bf16_1k v[4:7], v[38:39], v[28:29], v[4:7]
	v_mfma_f32_16x16x16bf16_1k v[0:3], v[54:55], v[28:29], v[0:3]
	;; [unrolled: 1-line block ×3, first 2 shown]
	s_waitcnt lgkmcnt(0)
	v_mfma_f32_16x16x16bf16_1k v[8:11], v[20:21], v[22:23], v[8:11]
	v_mfma_f32_16x16x16bf16_1k v[4:7], v[36:37], v[22:23], v[4:7]
	;; [unrolled: 1-line block ×8, first 2 shown]
	s_andn2_b64 exec, exec, s[8:9]
	s_cbranch_execz .LBB138_50
.LBB138_6:                              ; =>This Inner Loop Header: Depth=1
	v_add_co_u32_e32 v18, vcc, s42, v16
	v_addc_co_u32_e32 v19, vcc, v17, v99, vcc
	global_load_dword v30, v[16:17], off
	global_load_dword v31, v[18:19], off
	v_add_u32_e32 v18, s7, v94
	v_ashrrev_i32_e32 v19, 31, v18
	v_lshlrev_b64 v[18:19], 2, v[18:19]
	v_add_u32_e32 v20, s46, v94
	v_add_co_u32_e32 v18, vcc, s0, v18
	v_ashrrev_i32_e32 v21, 31, v20
	v_addc_co_u32_e32 v19, vcc, v97, v19, vcc
	v_lshlrev_b64 v[20:21], 2, v[20:21]
	v_add_u32_e32 v22, s47, v94
	v_add_co_u32_e32 v20, vcc, s0, v20
	v_ashrrev_i32_e32 v23, 31, v22
	v_addc_co_u32_e32 v21, vcc, v97, v21, vcc
	;; [unrolled: 5-line block ×5, first 2 shown]
	v_lshlrev_b64 v[28:29], 2, v[28:29]
	v_add_co_u32_e32 v28, vcc, s0, v28
	v_addc_co_u32_e32 v29, vcc, v97, v29, vcc
	global_load_dword v32, v[18:19], off
	global_load_dword v33, v[20:21], off
	;; [unrolled: 1-line block ×3, first 2 shown]
	s_nop 0
	global_load_dword v24, v[24:25], off
	s_nop 0
	global_load_dword v25, v[26:27], off
	s_nop 0
	global_load_dword v26, v[28:29], off
	v_add_u32_e32 v18, s51, v94
	v_ashrrev_i32_e32 v19, 31, v18
	v_add_u32_e32 v20, s52, v94
	v_lshlrev_b64 v[18:19], 2, v[18:19]
	v_ashrrev_i32_e32 v21, 31, v20
	v_add_co_u32_e32 v18, vcc, s0, v18
	v_add_u32_e32 v22, s53, v94
	v_lshlrev_b64 v[20:21], 2, v[20:21]
	v_addc_co_u32_e32 v19, vcc, v97, v19, vcc
	v_ashrrev_i32_e32 v23, 31, v22
	v_add_co_u32_e32 v20, vcc, s0, v20
	v_lshlrev_b64 v[22:23], 2, v[22:23]
	v_addc_co_u32_e32 v21, vcc, v97, v21, vcc
	global_load_dword v18, v[18:19], off
	s_nop 0
	global_load_dword v19, v[20:21], off
	v_add_u32_e32 v20, s54, v94
	v_add_co_u32_e32 v22, vcc, s0, v22
	v_ashrrev_i32_e32 v21, 31, v20
	v_addc_co_u32_e32 v23, vcc, v97, v23, vcc
	v_lshlrev_b64 v[20:21], 2, v[20:21]
	v_add_u32_e32 v58, s84, v94
	v_ashrrev_i32_e32 v59, 31, v58
	v_lshlrev_b64 v[58:59], 2, v[58:59]
	s_waitcnt vmcnt(9)
	ds_write_b32 v95, v30
	s_waitcnt vmcnt(8)
	ds_write_b32 v95, v31 offset:264
	s_waitcnt vmcnt(7)
	ds_write_b32 v95, v32 offset:528
	s_waitcnt vmcnt(6)
	ds_write_b32 v95, v33 offset:792
	s_waitcnt vmcnt(5)
	ds_write_b32 v95, v34 offset:1056
	s_waitcnt vmcnt(4)
	ds_write_b32 v95, v24 offset:1320
	s_waitcnt vmcnt(3)
	ds_write_b32 v95, v25 offset:1584
	s_waitcnt vmcnt(2)
	ds_write_b32 v95, v26 offset:1848
	v_add_co_u32_e32 v24, vcc, s0, v20
	v_add_u32_e32 v20, s55, v94
	v_addc_co_u32_e32 v25, vcc, v97, v21, vcc
	v_ashrrev_i32_e32 v21, 31, v20
	v_lshlrev_b64 v[20:21], 2, v[20:21]
	v_add_co_u32_e32 v26, vcc, s0, v20
	v_add_u32_e32 v20, s56, v94
	v_addc_co_u32_e32 v27, vcc, v97, v21, vcc
	v_ashrrev_i32_e32 v21, 31, v20
	v_lshlrev_b64 v[20:21], 2, v[20:21]
	;; [unrolled: 5-line block ×6, first 2 shown]
	v_add_co_u32_e32 v36, vcc, s0, v20
	v_addc_co_u32_e32 v37, vcc, v97, v21, vcc
	global_load_dword v20, v[22:23], off
	global_load_dword v21, v[24:25], off
	s_nop 0
	global_load_dword v22, v[26:27], off
	global_load_dword v23, v[28:29], off
	;; [unrolled: 1-line block ×4, first 2 shown]
	s_nop 0
	global_load_dword v32, v[34:35], off
	global_load_dword v33, v[36:37], off
	v_add_u32_e32 v26, s61, v94
	v_ashrrev_i32_e32 v27, 31, v26
	v_lshlrev_b64 v[26:27], 2, v[26:27]
	v_add_u32_e32 v28, s62, v94
	v_add_co_u32_e32 v26, vcc, s0, v26
	v_ashrrev_i32_e32 v29, 31, v28
	v_addc_co_u32_e32 v27, vcc, v97, v27, vcc
	v_lshlrev_b64 v[28:29], 2, v[28:29]
	v_add_u32_e32 v30, s63, v94
	v_add_co_u32_e32 v28, vcc, s0, v28
	v_ashrrev_i32_e32 v31, 31, v30
	v_addc_co_u32_e32 v29, vcc, v97, v29, vcc
	;; [unrolled: 5-line block ×4, first 2 shown]
	v_lshlrev_b64 v[36:37], 2, v[36:37]
	v_add_co_u32_e32 v40, vcc, s0, v36
	v_add_u32_e32 v36, s66, v94
	v_addc_co_u32_e32 v41, vcc, v97, v37, vcc
	v_ashrrev_i32_e32 v37, 31, v36
	v_lshlrev_b64 v[36:37], 2, v[36:37]
	v_add_co_u32_e32 v42, vcc, s0, v36
	v_add_u32_e32 v36, s67, v94
	v_addc_co_u32_e32 v43, vcc, v97, v37, vcc
	v_ashrrev_i32_e32 v37, 31, v36
	;; [unrolled: 5-line block ×3, first 2 shown]
	v_lshlrev_b64 v[36:37], 2, v[36:37]
	v_add_co_u32_e32 v46, vcc, s0, v36
	v_addc_co_u32_e32 v47, vcc, v97, v37, vcc
	global_load_dword v36, v[26:27], off
	global_load_dword v37, v[28:29], off
	global_load_dword v38, v[30:31], off
	global_load_dword v39, v[34:35], off
	s_nop 0
	global_load_dword v40, v[40:41], off
	s_nop 0
	global_load_dword v41, v[42:43], off
	;; [unrolled: 2-line block ×3, first 2 shown]
	global_load_dword v43, v[46:47], off
	v_add_u32_e32 v26, s69, v94
	v_ashrrev_i32_e32 v27, 31, v26
	v_lshlrev_b64 v[26:27], 2, v[26:27]
	v_add_u32_e32 v28, s70, v94
	v_add_co_u32_e32 v26, vcc, s0, v26
	v_ashrrev_i32_e32 v29, 31, v28
	v_addc_co_u32_e32 v27, vcc, v97, v27, vcc
	v_lshlrev_b64 v[28:29], 2, v[28:29]
	v_add_u32_e32 v30, s71, v94
	v_add_co_u32_e32 v28, vcc, s0, v28
	v_ashrrev_i32_e32 v31, 31, v30
	v_addc_co_u32_e32 v29, vcc, v97, v29, vcc
	;; [unrolled: 5-line block ×4, first 2 shown]
	v_lshlrev_b64 v[44:45], 2, v[44:45]
	v_add_co_u32_e32 v48, vcc, s0, v44
	v_add_u32_e32 v44, s74, v94
	v_addc_co_u32_e32 v49, vcc, v97, v45, vcc
	v_ashrrev_i32_e32 v45, 31, v44
	v_lshlrev_b64 v[44:45], 2, v[44:45]
	v_add_co_u32_e32 v52, vcc, s0, v44
	v_add_u32_e32 v44, s75, v94
	v_addc_co_u32_e32 v53, vcc, v97, v45, vcc
	v_ashrrev_i32_e32 v45, 31, v44
	;; [unrolled: 5-line block ×3, first 2 shown]
	v_lshlrev_b64 v[44:45], 2, v[44:45]
	v_add_co_u32_e32 v56, vcc, s0, v44
	v_addc_co_u32_e32 v57, vcc, v97, v45, vcc
	global_load_dword v44, v[26:27], off
	global_load_dword v45, v[28:29], off
	;; [unrolled: 1-line block ×6, first 2 shown]
	s_nop 0
	global_load_dword v48, v[54:55], off
	global_load_dword v49, v[56:57], off
	v_add_u32_e32 v26, s77, v94
	v_ashrrev_i32_e32 v27, 31, v26
	v_lshlrev_b64 v[26:27], 2, v[26:27]
	v_add_u32_e32 v28, s78, v94
	v_add_co_u32_e32 v26, vcc, s0, v26
	v_ashrrev_i32_e32 v29, 31, v28
	v_addc_co_u32_e32 v27, vcc, v97, v27, vcc
	v_lshlrev_b64 v[28:29], 2, v[28:29]
	v_add_u32_e32 v30, s79, v94
	v_add_co_u32_e32 v28, vcc, s0, v28
	v_ashrrev_i32_e32 v31, 31, v30
	v_addc_co_u32_e32 v29, vcc, v97, v29, vcc
	;; [unrolled: 5-line block ×6, first 2 shown]
	v_lshlrev_b64 v[56:57], 2, v[56:57]
	v_add_co_u32_e32 v56, vcc, s0, v56
	v_addc_co_u32_e32 v57, vcc, v97, v57, vcc
	v_add_co_u32_e32 v58, vcc, s0, v58
	v_addc_co_u32_e32 v59, vcc, v97, v59, vcc
	global_load_dword v60, v[26:27], off
	global_load_dword v61, v[28:29], off
	;; [unrolled: 1-line block ×8, first 2 shown]
	v_add_u32_e32 v26, s85, v94
	v_ashrrev_i32_e32 v27, 31, v26
	v_lshlrev_b64 v[26:27], 2, v[26:27]
	v_add_u32_e32 v28, s86, v94
	v_add_co_u32_e32 v26, vcc, s0, v26
	v_ashrrev_i32_e32 v29, 31, v28
	v_addc_co_u32_e32 v27, vcc, v97, v27, vcc
	v_lshlrev_b64 v[28:29], 2, v[28:29]
	v_add_u32_e32 v30, s87, v94
	v_add_co_u32_e32 v28, vcc, s0, v28
	v_ashrrev_i32_e32 v31, 31, v30
	v_addc_co_u32_e32 v29, vcc, v97, v29, vcc
	;; [unrolled: 5-line block ×7, first 2 shown]
	v_lshlrev_b64 v[58:59], 2, v[58:59]
	v_add_co_u32_e32 v58, vcc, s0, v58
	v_addc_co_u32_e32 v59, vcc, v97, v59, vcc
	global_load_dword v68, v[26:27], off
	global_load_dword v69, v[28:29], off
	;; [unrolled: 1-line block ×8, first 2 shown]
	v_add_u32_e32 v26, s92, v94
	v_ashrrev_i32_e32 v27, 31, v26
	v_lshlrev_b64 v[26:27], 2, v[26:27]
	v_add_u32_e32 v28, s93, v94
	v_add_co_u32_e32 v26, vcc, s0, v26
	v_ashrrev_i32_e32 v29, 31, v28
	v_addc_co_u32_e32 v27, vcc, v97, v27, vcc
	v_lshlrev_b64 v[28:29], 2, v[28:29]
	v_add_u32_e32 v30, s94, v94
	v_add_co_u32_e32 v28, vcc, s0, v28
	v_ashrrev_i32_e32 v31, 31, v30
	v_addc_co_u32_e32 v29, vcc, v97, v29, vcc
	;; [unrolled: 5-line block ×7, first 2 shown]
	v_lshlrev_b64 v[58:59], 2, v[58:59]
	v_add_co_u32_e32 v58, vcc, s0, v58
	v_addc_co_u32_e32 v59, vcc, v97, v59, vcc
	global_load_dword v76, v[26:27], off
	global_load_dword v77, v[28:29], off
	;; [unrolled: 1-line block ×8, first 2 shown]
	v_add_u32_e32 v26, s28, v94
	v_ashrrev_i32_e32 v27, 31, v26
	v_lshlrev_b64 v[26:27], 2, v[26:27]
	v_add_u32_e32 v28, s29, v94
	v_add_co_u32_e32 v26, vcc, s0, v26
	v_ashrrev_i32_e32 v29, 31, v28
	v_addc_co_u32_e32 v27, vcc, v97, v27, vcc
	v_lshlrev_b64 v[28:29], 2, v[28:29]
	v_add_u32_e32 v30, s3, v94
	v_add_co_u32_e32 v28, vcc, s0, v28
	v_ashrrev_i32_e32 v31, 31, v30
	v_addc_co_u32_e32 v29, vcc, v97, v29, vcc
	;; [unrolled: 5-line block ×5, first 2 shown]
	v_lshlrev_b64 v[54:55], 2, v[54:55]
	v_add_co_u32_e32 v54, vcc, s0, v54
	v_addc_co_u32_e32 v55, vcc, v97, v55, vcc
	global_load_dword v84, v[26:27], off
	global_load_dword v85, v[28:29], off
	;; [unrolled: 1-line block ×6, first 2 shown]
	s_waitcnt vmcnt(55)
	ds_write_b32 v95, v18 offset:2112
	s_waitcnt vmcnt(54)
	ds_write_b32 v95, v19 offset:2376
	s_waitcnt vmcnt(53)
	ds_write_b32 v95, v20 offset:2640
	s_waitcnt vmcnt(52)
	ds_write_b32 v95, v21 offset:2904
	s_waitcnt vmcnt(51)
	ds_write_b32 v95, v22 offset:3168
	s_waitcnt vmcnt(50)
	ds_write_b32 v95, v23 offset:3432
	s_waitcnt vmcnt(49)
	ds_write_b32 v95, v24 offset:3696
	s_waitcnt vmcnt(48)
	ds_write_b32 v95, v25 offset:3960
	ds_read_b64 v[34:35], v96
	ds_read_b64 v[30:31], v96 offset:32
	ds_read_b64 v[28:29], v96 offset:64
	ds_read_b64 v[26:27], v96 offset:96
	ds_read_b64 v[24:25], v96 offset:128
	ds_read_b64 v[22:23], v96 offset:160
	ds_read_b64 v[20:21], v96 offset:192
	ds_read_b64 v[18:19], v96 offset:224
	s_waitcnt vmcnt(47)
	ds_write_b32 v95, v32
	s_waitcnt vmcnt(46)
	ds_write_b32 v95, v33 offset:264
	s_waitcnt vmcnt(45)
	ds_write_b32 v95, v36 offset:528
	s_waitcnt vmcnt(44)
	ds_write_b32 v95, v37 offset:792
	s_waitcnt vmcnt(43)
	ds_write_b32 v95, v38 offset:1056
	s_waitcnt vmcnt(42)
	ds_write_b32 v95, v39 offset:1320
	s_waitcnt vmcnt(41)
	ds_write_b32 v95, v40 offset:1584
	s_waitcnt vmcnt(40)
	ds_write_b32 v95, v41 offset:1848
	s_waitcnt vmcnt(39)
	ds_write_b32 v95, v42 offset:2112
	s_waitcnt vmcnt(38)
	ds_write_b32 v95, v43 offset:2376
	s_waitcnt vmcnt(37)
	ds_write_b32 v95, v44 offset:2640
	s_waitcnt vmcnt(36)
	ds_write_b32 v95, v45 offset:2904
	s_waitcnt vmcnt(35)
	ds_write_b32 v95, v46 offset:3168
	s_waitcnt vmcnt(34)
	ds_write_b32 v95, v47 offset:3432
	s_waitcnt vmcnt(33)
	ds_write_b32 v95, v50 offset:3696
	s_waitcnt vmcnt(32)
	ds_write_b32 v95, v51 offset:3960
	ds_read_b64 v[50:51], v96
	ds_read_b64 v[46:47], v96 offset:32
	ds_read_b64 v[44:45], v96 offset:64
	ds_read_b64 v[42:43], v96 offset:96
	ds_read_b64 v[40:41], v96 offset:128
	ds_read_b64 v[38:39], v96 offset:160
	ds_read_b64 v[36:37], v96 offset:192
	ds_read_b64 v[32:33], v96 offset:224
	s_waitcnt vmcnt(31)
	ds_write_b32 v95, v48
	s_waitcnt vmcnt(30)
	ds_write_b32 v95, v49 offset:264
	s_waitcnt vmcnt(29)
	ds_write_b32 v95, v60 offset:528
	s_waitcnt vmcnt(28)
	ds_write_b32 v95, v61 offset:792
	s_waitcnt vmcnt(27)
	ds_write_b32 v95, v62 offset:1056
	s_waitcnt vmcnt(26)
	ds_write_b32 v95, v63 offset:1320
	s_waitcnt vmcnt(25)
	ds_write_b32 v95, v64 offset:1584
	s_waitcnt vmcnt(24)
	ds_write_b32 v95, v65 offset:1848
	;; [unrolled: 40-line block ×3, first 2 shown]
	s_waitcnt vmcnt(7)
	ds_write_b32 v95, v82 offset:2112
	s_waitcnt vmcnt(6)
	ds_write_b32 v95, v83 offset:2376
	;; [unrolled: 2-line block ×8, first 2 shown]
	ds_read_b64 v[80:81], v96
	ds_read_b64 v[78:79], v96 offset:32
	ds_read_b64 v[76:77], v96 offset:64
	;; [unrolled: 1-line block ×7, first 2 shown]
	s_andn2_b64 vcc, exec, s[4:5]
	v_mov_b32_e32 v88, 0
	v_mov_b32_e32 v89, 0
	s_cbranch_vccnz .LBB138_9
; %bb.7:                                ;   in Loop: Header=BB138_6 Depth=1
	s_load_dword s27, s[34:35], 0x0
	v_mov_b32_e32 v89, 0
	v_mov_b32_e32 v88, 0
	s_waitcnt lgkmcnt(0)
	s_mul_hi_u32 s44, s27, s16
	s_add_i32 s44, s27, s44
	s_lshr_b32 s44, s44, s17
	s_cmp_ge_i32 s44, s13
	s_cbranch_scc1 .LBB138_9
; %bb.8:                                ;   in Loop: Header=BB138_6 Depth=1
	s_mul_i32 s45, s44, s18
	s_sub_i32 s27, s27, s45
	s_mul_i32 s44, s44, s20
	s_mul_i32 s27, s27, s1
	v_add_u32_e32 v82, s44, v94
	v_lshl_add_u32 v82, v82, 1, s27
	v_ashrrev_i32_e32 v83, 31, v82
	v_lshlrev_b64 v[82:83], 2, v[82:83]
	v_mov_b32_e32 v84, s11
	v_add_co_u32_e32 v82, vcc, s10, v82
	v_addc_co_u32_e32 v83, vcc, v84, v83, vcc
	global_load_dwordx2 v[88:89], v[82:83], off
.LBB138_9:                              ;   in Loop: Header=BB138_6 Depth=1
	s_andn2_b64 vcc, exec, s[36:37]
	v_mov_b32_e32 v82, 0
	v_mov_b32_e32 v86, 0
	;; [unrolled: 1-line block ×3, first 2 shown]
	s_cbranch_vccnz .LBB138_12
; %bb.10:                               ;   in Loop: Header=BB138_6 Depth=1
	s_load_dword s27, s[34:35], 0x4
	v_mov_b32_e32 v87, 0
	v_mov_b32_e32 v86, 0
	s_waitcnt lgkmcnt(0)
	s_mul_hi_u32 s44, s27, s16
	s_add_i32 s44, s27, s44
	s_lshr_b32 s44, s44, s17
	s_cmp_ge_i32 s44, s13
	s_cbranch_scc1 .LBB138_12
; %bb.11:                               ;   in Loop: Header=BB138_6 Depth=1
	s_mul_i32 s45, s44, s18
	s_sub_i32 s27, s27, s45
	s_mul_i32 s44, s44, s20
	s_mul_i32 s27, s27, s1
	v_add_u32_e32 v83, s44, v94
	v_lshl_add_u32 v84, v83, 1, s27
	v_ashrrev_i32_e32 v85, 31, v84
	v_lshlrev_b64 v[84:85], 2, v[84:85]
	v_mov_b32_e32 v83, s11
	v_add_co_u32_e32 v84, vcc, s10, v84
	v_addc_co_u32_e32 v85, vcc, v83, v85, vcc
	global_load_dwordx2 v[86:87], v[84:85], off
.LBB138_12:                             ;   in Loop: Header=BB138_6 Depth=1
	s_andn2_b64 vcc, exec, s[38:39]
	v_mov_b32_e32 v83, 0
	s_cbranch_vccnz .LBB138_15
; %bb.13:                               ;   in Loop: Header=BB138_6 Depth=1
	s_load_dword s27, s[34:35], 0x8
	v_mov_b32_e32 v83, 0
	v_mov_b32_e32 v82, 0
	s_waitcnt lgkmcnt(0)
	s_mul_hi_u32 s44, s27, s16
	s_add_i32 s44, s27, s44
	s_lshr_b32 s44, s44, s17
	s_cmp_ge_i32 s44, s13
	s_cbranch_scc1 .LBB138_15
; %bb.14:                               ;   in Loop: Header=BB138_6 Depth=1
	s_mul_i32 s45, s44, s18
	s_sub_i32 s27, s27, s45
	s_mul_i32 s44, s44, s20
	s_mul_i32 s27, s27, s1
	v_add_u32_e32 v82, s44, v94
	v_lshl_add_u32 v82, v82, 1, s27
	v_ashrrev_i32_e32 v83, 31, v82
	v_lshlrev_b64 v[82:83], 2, v[82:83]
	v_mov_b32_e32 v84, s11
	v_add_co_u32_e32 v82, vcc, s10, v82
	v_addc_co_u32_e32 v83, vcc, v84, v83, vcc
	global_load_dwordx2 v[82:83], v[82:83], off
.LBB138_15:                             ;   in Loop: Header=BB138_6 Depth=1
	s_andn2_b64 vcc, exec, s[40:41]
	v_mov_b32_e32 v84, 0
	v_mov_b32_e32 v85, 0
	s_cbranch_vccnz .LBB138_18
; %bb.16:                               ;   in Loop: Header=BB138_6 Depth=1
	s_load_dword s27, s[34:35], 0xc
	v_mov_b32_e32 v85, 0
	v_mov_b32_e32 v84, 0
	s_waitcnt lgkmcnt(0)
	s_mul_hi_u32 s44, s27, s16
	s_add_i32 s44, s27, s44
	s_lshr_b32 s44, s44, s17
	s_cmp_ge_i32 s44, s13
	s_cbranch_scc1 .LBB138_18
; %bb.17:                               ;   in Loop: Header=BB138_6 Depth=1
	s_mul_i32 s45, s44, s18
	s_sub_i32 s27, s27, s45
	s_mul_i32 s44, s44, s20
	s_mul_i32 s27, s27, s1
	v_add_u32_e32 v84, s44, v94
	v_lshl_add_u32 v84, v84, 1, s27
	v_ashrrev_i32_e32 v85, 31, v84
	v_lshlrev_b64 v[84:85], 2, v[84:85]
	v_mov_b32_e32 v100, s11
	v_add_co_u32_e32 v84, vcc, s10, v84
	v_addc_co_u32_e32 v85, vcc, v100, v85, vcc
	global_load_dwordx2 v[84:85], v[84:85], off
.LBB138_18:                             ;   in Loop: Header=BB138_6 Depth=1
	s_waitcnt vmcnt(0)
	v_and_b32_e32 v100, 0x7f800000, v88
	v_cmp_ne_u32_e32 vcc, s6, v100
                                        ; implicit-def: $vgpr100
	s_and_saveexec_b64 s[44:45], vcc
	s_xor_b64 s[44:45], exec, s[44:45]
; %bb.19:                               ;   in Loop: Header=BB138_6 Depth=1
	v_bfe_u32 v100, v88, 16, 1
	v_add3_u32 v100, v88, v100, s33
; %bb.20:                               ;   in Loop: Header=BB138_6 Depth=1
	s_andn2_saveexec_b64 s[44:45], s[44:45]
; %bb.21:                               ;   in Loop: Header=BB138_6 Depth=1
	v_or_b32_e32 v100, 0x10000, v88
	v_cmp_eq_u32_sdwa vcc, v88, v98 src0_sel:WORD_0 src1_sel:DWORD
	v_cndmask_b32_e32 v100, v100, v88, vcc
; %bb.22:                               ;   in Loop: Header=BB138_6 Depth=1
	s_or_b64 exec, exec, s[44:45]
	v_and_b32_e32 v88, 0x7f800000, v89
	v_cmp_ne_u32_e32 vcc, s6, v88
                                        ; implicit-def: $vgpr88
	s_and_saveexec_b64 s[44:45], vcc
	s_xor_b64 s[44:45], exec, s[44:45]
; %bb.23:                               ;   in Loop: Header=BB138_6 Depth=1
	v_bfe_u32 v88, v89, 16, 1
	v_add3_u32 v88, v89, v88, s33
                                        ; implicit-def: $vgpr89
; %bb.24:                               ;   in Loop: Header=BB138_6 Depth=1
	s_andn2_saveexec_b64 s[44:45], s[44:45]
; %bb.25:                               ;   in Loop: Header=BB138_6 Depth=1
	v_or_b32_e32 v88, 0x10000, v89
	v_cmp_eq_u32_sdwa vcc, v89, v98 src0_sel:WORD_0 src1_sel:DWORD
	v_cndmask_b32_e32 v88, v88, v89, vcc
; %bb.26:                               ;   in Loop: Header=BB138_6 Depth=1
	s_or_b64 exec, exec, s[44:45]
	v_perm_b32 v88, v88, v100, s26
	ds_write_b32 v95, v88
	v_and_b32_e32 v88, 0x7f800000, v86
	v_cmp_ne_u32_e32 vcc, s6, v88
                                        ; implicit-def: $vgpr88
	s_and_saveexec_b64 s[44:45], vcc
	s_xor_b64 s[44:45], exec, s[44:45]
; %bb.27:                               ;   in Loop: Header=BB138_6 Depth=1
	v_bfe_u32 v88, v86, 16, 1
	v_add3_u32 v88, v86, v88, s33
; %bb.28:                               ;   in Loop: Header=BB138_6 Depth=1
	s_andn2_saveexec_b64 s[44:45], s[44:45]
; %bb.29:                               ;   in Loop: Header=BB138_6 Depth=1
	v_or_b32_e32 v88, 0x10000, v86
	v_cmp_eq_u32_sdwa vcc, v86, v98 src0_sel:WORD_0 src1_sel:DWORD
	v_cndmask_b32_e32 v88, v88, v86, vcc
; %bb.30:                               ;   in Loop: Header=BB138_6 Depth=1
	s_or_b64 exec, exec, s[44:45]
	v_and_b32_e32 v86, 0x7f800000, v87
	v_cmp_ne_u32_e32 vcc, s6, v86
                                        ; implicit-def: $vgpr86
	s_and_saveexec_b64 s[44:45], vcc
	s_xor_b64 s[44:45], exec, s[44:45]
; %bb.31:                               ;   in Loop: Header=BB138_6 Depth=1
	v_bfe_u32 v86, v87, 16, 1
	v_add3_u32 v86, v87, v86, s33
                                        ; implicit-def: $vgpr87
; %bb.32:                               ;   in Loop: Header=BB138_6 Depth=1
	s_andn2_saveexec_b64 s[44:45], s[44:45]
; %bb.33:                               ;   in Loop: Header=BB138_6 Depth=1
	v_or_b32_e32 v86, 0x10000, v87
	v_cmp_eq_u32_sdwa vcc, v87, v98 src0_sel:WORD_0 src1_sel:DWORD
	v_cndmask_b32_e32 v86, v86, v87, vcc
; %bb.34:                               ;   in Loop: Header=BB138_6 Depth=1
	s_or_b64 exec, exec, s[44:45]
	v_perm_b32 v86, v86, v88, s26
	ds_write_b32 v95, v86 offset:264
	v_and_b32_e32 v86, 0x7f800000, v82
	v_cmp_ne_u32_e32 vcc, s6, v86
                                        ; implicit-def: $vgpr86
	s_and_saveexec_b64 s[44:45], vcc
	s_xor_b64 s[44:45], exec, s[44:45]
; %bb.35:                               ;   in Loop: Header=BB138_6 Depth=1
	v_bfe_u32 v86, v82, 16, 1
	v_add3_u32 v86, v82, v86, s33
; %bb.36:                               ;   in Loop: Header=BB138_6 Depth=1
	s_andn2_saveexec_b64 s[44:45], s[44:45]
; %bb.37:                               ;   in Loop: Header=BB138_6 Depth=1
	v_or_b32_e32 v86, 0x10000, v82
	v_cmp_eq_u32_sdwa vcc, v82, v98 src0_sel:WORD_0 src1_sel:DWORD
	v_cndmask_b32_e32 v86, v86, v82, vcc
; %bb.38:                               ;   in Loop: Header=BB138_6 Depth=1
	s_or_b64 exec, exec, s[44:45]
	v_and_b32_e32 v82, 0x7f800000, v83
	v_cmp_ne_u32_e32 vcc, s6, v82
                                        ; implicit-def: $vgpr82
	s_and_saveexec_b64 s[44:45], vcc
	s_xor_b64 s[44:45], exec, s[44:45]
; %bb.39:                               ;   in Loop: Header=BB138_6 Depth=1
	v_bfe_u32 v82, v83, 16, 1
	v_add3_u32 v82, v83, v82, s33
                                        ; implicit-def: $vgpr83
; %bb.40:                               ;   in Loop: Header=BB138_6 Depth=1
	s_andn2_saveexec_b64 s[44:45], s[44:45]
; %bb.41:                               ;   in Loop: Header=BB138_6 Depth=1
	v_or_b32_e32 v82, 0x10000, v83
	v_cmp_eq_u32_sdwa vcc, v83, v98 src0_sel:WORD_0 src1_sel:DWORD
	v_cndmask_b32_e32 v82, v82, v83, vcc
; %bb.42:                               ;   in Loop: Header=BB138_6 Depth=1
	s_or_b64 exec, exec, s[44:45]
	v_perm_b32 v82, v82, v86, s26
	ds_write_b32 v95, v82 offset:528
	v_and_b32_e32 v82, 0x7f800000, v84
	v_cmp_ne_u32_e32 vcc, s6, v82
                                        ; implicit-def: $vgpr82
	s_and_saveexec_b64 s[44:45], vcc
	s_xor_b64 s[44:45], exec, s[44:45]
; %bb.43:                               ;   in Loop: Header=BB138_6 Depth=1
	v_bfe_u32 v82, v84, 16, 1
	v_add3_u32 v82, v84, v82, s33
; %bb.44:                               ;   in Loop: Header=BB138_6 Depth=1
	s_andn2_saveexec_b64 s[44:45], s[44:45]
; %bb.45:                               ;   in Loop: Header=BB138_6 Depth=1
	v_or_b32_e32 v82, 0x10000, v84
	v_cmp_eq_u32_sdwa vcc, v84, v98 src0_sel:WORD_0 src1_sel:DWORD
	v_cndmask_b32_e32 v82, v82, v84, vcc
; %bb.46:                               ;   in Loop: Header=BB138_6 Depth=1
	s_or_b64 exec, exec, s[44:45]
	v_and_b32_e32 v83, 0x7f800000, v85
	v_cmp_ne_u32_e32 vcc, s6, v83
                                        ; implicit-def: $vgpr83
	s_and_saveexec_b64 s[44:45], vcc
	s_xor_b64 s[44:45], exec, s[44:45]
; %bb.47:                               ;   in Loop: Header=BB138_6 Depth=1
	v_bfe_u32 v83, v85, 16, 1
	v_add3_u32 v83, v85, v83, s33
                                        ; implicit-def: $vgpr85
; %bb.48:                               ;   in Loop: Header=BB138_6 Depth=1
	s_andn2_saveexec_b64 s[44:45], s[44:45]
	s_cbranch_execz .LBB138_5
; %bb.49:                               ;   in Loop: Header=BB138_6 Depth=1
	v_or_b32_e32 v83, 0x10000, v85
	v_cmp_eq_u32_sdwa vcc, v85, v98 src0_sel:WORD_0 src1_sel:DWORD
	v_cndmask_b32_e32 v83, v83, v85, vcc
	s_branch .LBB138_5
.LBB138_50:
	s_or_b64 exec, exec, s[8:9]
	v_readlane_b32 s24, v101, 6
	v_readlane_b32 s26, v101, 9
	;; [unrolled: 1-line block ×8, first 2 shown]
.LBB138_51:
	v_readlane_b32 s0, v101, 4
	v_readlane_b32 s1, v101, 5
	s_or_b64 exec, exec, s[0:1]
	v_mul_u32_u24_e32 v16, 0x608, v93
	v_lshlrev_b32_e32 v17, 2, v92
	v_add3_u32 v16, 0, v16, v17
	v_and_b32_e32 v17, 0x3f0, v90
	v_add_u32_e32 v17, v16, v17
	s_barrier
	ds_write2_b32 v17, v8, v9 offset1:1
	ds_write_b32 v17, v10 offset:8
	v_or_b32_e32 v8, 12, v90
	v_and_b32_e32 v8, 0x3fc, v8
	v_add_u32_e32 v8, v16, v8
	v_cmp_gt_u32_e32 vcc, 4, v91
	ds_write_b32 v8, v11
	ds_write2_b32 v17, v4, v5 offset0:16 offset1:17
	ds_write_b32 v17, v6 offset:72
	ds_write_b32 v8, v7 offset:64
	ds_write2_b32 v17, v0, v1 offset0:32 offset1:33
	ds_write_b32 v17, v2 offset:136
	ds_write_b32 v8, v3 offset:128
	ds_write2_b32 v17, v12, v13 offset0:48 offset1:49
	ds_write_b32 v17, v14 offset:200
	ds_write_b32 v8, v15 offset:192
	s_waitcnt lgkmcnt(0)
	s_barrier
	s_and_saveexec_b64 s[0:1], vcc
	s_cbranch_execz .LBB138_55
; %bb.52:
	s_cmp_gt_i32 s14, 0
	v_or_b32_e32 v0, s30, v91
	s_cselect_b64 s[0:1], -1, 0
	v_cmp_gt_i32_e32 vcc, s28, v0
	s_and_b64 s[0:1], s[0:1], vcc
	s_and_b64 exec, exec, s[0:1]
	s_cbranch_execz .LBB138_55
; %bb.53:
	s_lshl_b64 s[0:1], s[26:27], 2
	v_readlane_b32 s4, v101, 0
	v_readlane_b32 s5, v101, 1
	s_add_u32 s0, s4, s0
	v_ashrrev_i32_e32 v1, 31, v0
	s_addc_u32 s1, s5, s1
	v_lshlrev_b64 v[0:1], 2, v[0:1]
	v_mov_b32_e32 v2, s1
	v_add_co_u32_e32 v0, vcc, s0, v0
	v_addc_co_u32_e32 v1, vcc, v2, v1, vcc
	global_load_dword v0, v[0:1], off
	s_waitcnt vmcnt(0)
	v_mul_hi_u32 v1, v0, s19
	v_add_u32_e32 v1, v0, v1
	v_lshrrev_b32_e32 v1, s24, v1
	v_cmp_gt_i32_e32 vcc, s13, v1
	s_and_b64 exec, exec, vcc
	s_cbranch_execz .LBB138_55
; %bb.54:
	v_lshlrev_b32_e32 v2, 2, v90
	v_mul_u32_u24_e32 v3, 0x608, v91
	v_add3_u32 v6, 0, v2, v3
	ds_read2st64_b32 v[2:3], v6 offset1:1
	ds_read2st64_b32 v[4:5], v6 offset0:2 offset1:3
	ds_read2st64_b32 v[6:7], v6 offset0:4 offset1:5
	v_add_u32_e32 v8, s22, v90
	v_readlane_b32 s0, v101, 2
	s_waitcnt lgkmcnt(2)
	v_add_f32_e32 v2, 0, v2
	v_add_f32_e32 v2, v2, v3
	v_mul_lo_u32 v3, v1, s25
	v_sub_u32_e32 v0, v0, v3
	v_mul_lo_u32 v0, v0, s2
	v_mul_lo_u32 v1, v1, s21
	s_waitcnt lgkmcnt(1)
	v_add_f32_e32 v2, v2, v4
	v_add3_u32 v0, v8, v1, v0
	v_mov_b32_e32 v1, 0
	v_add_f32_e32 v2, v2, v5
	v_lshlrev_b64 v[0:1], 2, v[0:1]
	v_readlane_b32 s1, v101, 3
	s_waitcnt lgkmcnt(0)
	v_add_f32_e32 v2, v2, v6
	v_mov_b32_e32 v3, s1
	v_add_co_u32_e32 v0, vcc, s0, v0
	v_add_f32_e32 v2, v2, v7
	v_addc_co_u32_e32 v1, vcc, v3, v1, vcc
	global_store_dword v[0:1], v2, off
.LBB138_55:
	s_endpgm
	.section	.rodata,"a",@progbits
	.p2align	6, 0x0
	.amdhsa_kernel _ZL13mul_mat_f_idsI15__hip_bfloat162Li64ELi4ELi6EEvPKT_PKfPKiS7_S7_Pfiiiiiiiiiiiiii15HIP_vector_typeIjLj3EESA_
		.amdhsa_group_segment_fixed_size 0
		.amdhsa_private_segment_fixed_size 0
		.amdhsa_kernarg_size 128
		.amdhsa_user_sgpr_count 6
		.amdhsa_user_sgpr_private_segment_buffer 1
		.amdhsa_user_sgpr_dispatch_ptr 0
		.amdhsa_user_sgpr_queue_ptr 0
		.amdhsa_user_sgpr_kernarg_segment_ptr 1
		.amdhsa_user_sgpr_dispatch_id 0
		.amdhsa_user_sgpr_flat_scratch_init 0
		.amdhsa_user_sgpr_kernarg_preload_length 0
		.amdhsa_user_sgpr_kernarg_preload_offset 0
		.amdhsa_user_sgpr_private_segment_size 0
		.amdhsa_uses_dynamic_stack 0
		.amdhsa_system_sgpr_private_segment_wavefront_offset 0
		.amdhsa_system_sgpr_workgroup_id_x 1
		.amdhsa_system_sgpr_workgroup_id_y 1
		.amdhsa_system_sgpr_workgroup_id_z 1
		.amdhsa_system_sgpr_workgroup_info 0
		.amdhsa_system_vgpr_workitem_id 1
		.amdhsa_next_free_vgpr 102
		.amdhsa_next_free_sgpr 96
		.amdhsa_accum_offset 104
		.amdhsa_reserve_vcc 1
		.amdhsa_reserve_flat_scratch 0
		.amdhsa_float_round_mode_32 0
		.amdhsa_float_round_mode_16_64 0
		.amdhsa_float_denorm_mode_32 3
		.amdhsa_float_denorm_mode_16_64 3
		.amdhsa_dx10_clamp 1
		.amdhsa_ieee_mode 1
		.amdhsa_fp16_overflow 0
		.amdhsa_tg_split 0
		.amdhsa_exception_fp_ieee_invalid_op 0
		.amdhsa_exception_fp_denorm_src 0
		.amdhsa_exception_fp_ieee_div_zero 0
		.amdhsa_exception_fp_ieee_overflow 0
		.amdhsa_exception_fp_ieee_underflow 0
		.amdhsa_exception_fp_ieee_inexact 0
		.amdhsa_exception_int_div_zero 0
	.end_amdhsa_kernel
	.section	.text._ZL13mul_mat_f_idsI15__hip_bfloat162Li64ELi4ELi6EEvPKT_PKfPKiS7_S7_Pfiiiiiiiiiiiiii15HIP_vector_typeIjLj3EESA_,"axG",@progbits,_ZL13mul_mat_f_idsI15__hip_bfloat162Li64ELi4ELi6EEvPKT_PKfPKiS7_S7_Pfiiiiiiiiiiiiii15HIP_vector_typeIjLj3EESA_,comdat
.Lfunc_end138:
	.size	_ZL13mul_mat_f_idsI15__hip_bfloat162Li64ELi4ELi6EEvPKT_PKfPKiS7_S7_Pfiiiiiiiiiiiiii15HIP_vector_typeIjLj3EESA_, .Lfunc_end138-_ZL13mul_mat_f_idsI15__hip_bfloat162Li64ELi4ELi6EEvPKT_PKfPKiS7_S7_Pfiiiiiiiiiiiiii15HIP_vector_typeIjLj3EESA_
                                        ; -- End function
	.section	.AMDGPU.csdata,"",@progbits
; Kernel info:
; codeLenInByte = 6084
; NumSgprs: 100
; NumVgprs: 102
; NumAgprs: 0
; TotalNumVgprs: 102
; ScratchSize: 0
; MemoryBound: 0
; FloatMode: 240
; IeeeMode: 1
; LDSByteSize: 0 bytes/workgroup (compile time only)
; SGPRBlocks: 12
; VGPRBlocks: 12
; NumSGPRsForWavesPerEU: 100
; NumVGPRsForWavesPerEU: 102
; AccumOffset: 104
; Occupancy: 4
; WaveLimiterHint : 1
; COMPUTE_PGM_RSRC2:SCRATCH_EN: 0
; COMPUTE_PGM_RSRC2:USER_SGPR: 6
; COMPUTE_PGM_RSRC2:TRAP_HANDLER: 0
; COMPUTE_PGM_RSRC2:TGID_X_EN: 1
; COMPUTE_PGM_RSRC2:TGID_Y_EN: 1
; COMPUTE_PGM_RSRC2:TGID_Z_EN: 1
; COMPUTE_PGM_RSRC2:TIDIG_COMP_CNT: 1
; COMPUTE_PGM_RSRC3_GFX90A:ACCUM_OFFSET: 25
; COMPUTE_PGM_RSRC3_GFX90A:TG_SPLIT: 0
	.section	.text._ZL9mul_mat_fI15__hip_bfloat162Li64ELi4ELi6ELb1EEvPKT_PKfPKiPfiiiiiiiiiiiiiiii,"axG",@progbits,_ZL9mul_mat_fI15__hip_bfloat162Li64ELi4ELi6ELb1EEvPKT_PKfPKiPfiiiiiiiiiiiiiiii,comdat
	.globl	_ZL9mul_mat_fI15__hip_bfloat162Li64ELi4ELi6ELb1EEvPKT_PKfPKiPfiiiiiiiiiiiiiiii ; -- Begin function _ZL9mul_mat_fI15__hip_bfloat162Li64ELi4ELi6ELb1EEvPKT_PKfPKiPfiiiiiiiiiiiiiiii
	.p2align	8
	.type	_ZL9mul_mat_fI15__hip_bfloat162Li64ELi4ELi6ELb1EEvPKT_PKfPKiPfiiiiiiiiiiiiiiii,@function
_ZL9mul_mat_fI15__hip_bfloat162Li64ELi4ELi6ELb1EEvPKT_PKfPKiPfiiiiiiiiiiiiiiii: ; @_ZL9mul_mat_fI15__hip_bfloat162Li64ELi4ELi6ELb1EEvPKT_PKfPKiPfiiiiiiiiiiiiiiii
; %bb.0:
	s_load_dwordx8 s[12:19], s[4:5], 0x20
	v_and_b32_e32 v16, 0x3ff, v0
	v_bfe_u32 v17, v0, 10, 10
	v_cmp_eq_u32_e32 vcc, 0, v16
	s_waitcnt lgkmcnt(0)
	s_add_i32 s0, s13, 3
	s_ashr_i32 s1, s0, 31
	s_lshr_b32 s1, s1, 30
	s_add_i32 s0, s0, s1
	s_ashr_i32 s0, s0, 2
	v_cvt_f32_u32_e32 v1, s0
	s_load_dwordx4 s[20:23], s[4:5], 0x44
	s_load_dword s1, s[4:5], 0x64
	s_sub_i32 s2, 0, s0
	s_add_u32 s10, s4, 0x60
	v_rcp_iflag_f32_e32 v1, v1
	s_addc_u32 s11, s5, 0
	v_mul_f32_e32 v1, 0x4f7ffffe, v1
	v_cvt_u32_f32_e32 v1, v1
	v_readfirstlane_b32 s3, v1
	s_mul_i32 s2, s2, s3
	s_mul_hi_u32 s2, s3, s2
	s_add_i32 s3, s3, s2
	s_waitcnt lgkmcnt(0)
	s_mul_hi_u32 s2, s1, s3
	s_mul_i32 s3, s2, s0
	s_sub_i32 s1, s1, s3
	s_add_i32 s9, s2, 1
	s_sub_i32 s3, s1, s0
	s_cmp_ge_u32 s1, s0
	s_cselect_b32 s2, s9, s2
	s_cselect_b32 s1, s3, s1
	s_add_i32 s3, s2, 1
	s_cmp_ge_u32 s1, s0
	s_cselect_b32 s2, s3, s2
	v_cvt_f32_u32_e32 v1, s2
	s_abs_i32 s33, s23
	v_cvt_f32_u32_e32 v2, s33
	s_sub_i32 s0, 0, s2
	v_rcp_iflag_f32_e32 v1, v1
	s_sub_i32 s1, 0, s33
	v_rcp_iflag_f32_e32 v2, v2
	v_mul_f32_e32 v1, 0x4f7ffffe, v1
	v_cvt_u32_f32_e32 v1, v1
	v_mul_f32_e32 v2, 0x4f7ffffe, v2
	v_cvt_u32_f32_e32 v2, v2
	v_readfirstlane_b32 s3, v1
	s_mul_i32 s0, s0, s3
	v_readfirstlane_b32 s34, v2
	s_mul_hi_u32 s0, s3, s0
	s_mul_i32 s1, s1, s34
	s_add_i32 s3, s3, s0
	s_mul_hi_u32 s9, s34, s1
	s_mul_hi_u32 s3, s7, s3
	s_and_saveexec_b64 s[0:1], vcc
	s_cbranch_execz .LBB139_2
; %bb.1:
	v_mov_b32_e32 v1, 0x100
	v_lshl_add_u32 v1, v17, 2, v1
	v_mov_b32_e32 v2, -1
	ds_write_b32 v1, v2
.LBB139_2:
	s_or_b64 exec, exec, s[0:1]
	s_mul_i32 s0, s3, s2
	s_load_dwordx4 s[24:27], s[4:5], 0x54
	s_sub_i32 s0, s7, s0
	s_waitcnt lgkmcnt(0)
	s_abs_i32 s27, s8
	s_add_i32 s34, s34, s9
	s_add_i32 s1, s3, 1
	s_sub_i32 s9, s0, s2
	s_cmp_ge_u32 s0, s2
	s_cselect_b32 s1, s1, s3
	s_cselect_b32 s0, s9, s0
	s_add_i32 s3, s1, 1
	s_cmp_ge_u32 s0, s2
	s_cselect_b32 s0, s3, s1
	s_lshl_b32 s9, s0, 2
	s_mul_i32 s1, s0, s2
	v_add_u32_e32 v1, s9, v17
	s_sub_i32 s7, s7, s1
	v_cmp_gt_i32_e32 vcc, s13, v1
	v_mov_b32_e32 v1, 0
	s_and_saveexec_b64 s[2:3], vcc
	s_cbranch_execz .LBB139_10
; %bb.3:
	v_cmp_gt_i32_e32 vcc, s14, v16
	v_mov_b32_e32 v1, 0
	s_and_saveexec_b64 s[28:29], vcc
	s_cbranch_execz .LBB139_9
; %bb.4:
	s_load_dwordx2 s[0:1], s[4:5], 0x10
	s_mul_hi_i32 s31, s9, s19
	s_mul_i32 s30, s9, s19
	v_mul_lo_u32 v2, v17, s19
	s_lshl_b64 s[30:31], s[30:31], 2
	s_waitcnt lgkmcnt(0)
	s_add_u32 s0, s0, s30
	v_ashrrev_i32_e32 v3, 31, v2
	s_addc_u32 s1, s1, s31
	v_lshlrev_b64 v[2:3], 2, v[2:3]
	v_mov_b32_e32 v4, s1
	v_add_co_u32_e32 v1, vcc, s0, v2
	v_mov_b32_e32 v2, 0x100
	v_addc_co_u32_e32 v4, vcc, v4, v3, vcc
	v_lshl_add_u32 v5, v17, 2, v2
	v_mul_lo_u32 v2, v16, s18
	s_lshl_b32 s35, s18, 6
	s_mov_b64 s[18:19], 0
	v_mov_b32_e32 v6, 0
	v_mov_b32_e32 v7, v16
	s_branch .LBB139_6
.LBB139_5:                              ;   in Loop: Header=BB139_6 Depth=1
	s_or_b64 exec, exec, s[30:31]
	v_add_u32_e32 v7, 64, v7
	v_cmp_le_i32_e64 s[0:1], s14, v7
	s_xor_b64 s[30:31], vcc, -1
	s_or_b64 s[0:1], s[30:31], s[0:1]
	s_and_b64 s[0:1], exec, s[0:1]
	s_or_b64 s[18:19], s[0:1], s[18:19]
	v_add_u32_e32 v2, s35, v2
	s_andn2_b64 exec, exec, s[18:19]
	s_cbranch_execz .LBB139_8
.LBB139_6:                              ; =>This Inner Loop Header: Depth=1
	v_ashrrev_i32_e32 v3, 31, v2
	v_lshlrev_b64 v[8:9], 2, v[2:3]
	v_add_co_u32_e32 v8, vcc, v1, v8
	v_addc_co_u32_e32 v9, vcc, v4, v9, vcc
	global_load_dword v3, v[8:9], off
	s_waitcnt vmcnt(0)
	v_cmp_ne_u32_e32 vcc, s7, v3
	v_cmp_eq_u32_e64 s[0:1], s7, v3
	s_and_saveexec_b64 s[30:31], s[0:1]
	s_cbranch_execz .LBB139_5
; %bb.7:                                ;   in Loop: Header=BB139_6 Depth=1
	v_mov_b32_e32 v6, 1
	ds_write_b32 v5, v7
	s_branch .LBB139_5
.LBB139_8:
	s_or_b64 exec, exec, s[18:19]
	v_cmp_ne_u32_e32 vcc, 0, v6
	v_cndmask_b32_e64 v1, 0, 1, vcc
.LBB139_9:
	s_or_b64 exec, exec, s[28:29]
.LBB139_10:
	s_or_b64 exec, exec, s[2:3]
	s_load_dwordx2 s[0:1], s[10:11], 0xc
	s_load_dwordx4 s[28:31], s[4:5], 0x0
	s_load_dwordx2 s[18:19], s[4:5], 0x18
	v_or_b32_dpp v1, v1, v1 row_shl:1 row_mask:0xf bank_mask:0xf bound_ctrl:1
	s_mul_hi_u32 s2, s27, s34
	s_waitcnt lgkmcnt(0)
	s_and_b32 s3, s1, 0xffff
	s_lshr_b32 s1, s0, 16
	s_and_b32 s0, s0, 0xffff
	v_or_b32_dpp v1, v1, v1 row_shl:2 row_mask:0xf bank_mask:0xf bound_ctrl:1
	s_mul_i32 s4, s1, s0
	s_bfe_i32 s4, s4, 0x180000
	v_or_b32_dpp v1, v1, v1 row_shl:4 row_mask:0xf bank_mask:0xf bound_ctrl:1
	s_mul_i32 s3, s4, s3
	s_add_i32 s4, s3, 63
	v_or_b32_dpp v1, v1, v1 row_shl:8 row_mask:0xf bank_mask:0xf bound_ctrl:1
	s_bitcmp1_b32 exec_hi, 0
	s_nop 0
	v_mov_b32_dpp v2, v1 wave_shl:1 row_mask:0xf bank_mask:0xf bound_ctrl:1
	s_nop 1
	v_or_b32_dpp v1, v2, v1 row_mirror row_mask:0xf bank_mask:0xf bound_ctrl:1
	v_readlane_b32 s3, v1, 32
	s_cselect_b32 s3, s3, 0
	v_readlane_b32 s5, v1, 0
	s_or_b32 s3, s3, s5
	s_andn2_b32 s4, s4, 63
	s_cmp_lg_u32 s4, 64
	v_mov_b32_e32 v1, s3
	s_cbranch_scc0 .LBB139_17
; %bb.11:
	v_bfe_u32 v0, v0, 20, 10
	v_mbcnt_lo_u32_b32 v1, -1, 0
	v_mad_u32_u24 v0, v0, s1, v17
	v_mbcnt_hi_u32_b32 v2, -1, v1
	v_mad_u64_u32 v[0:1], s[0:1], v0, s0, v[16:17]
	v_lshrrev_b32_e32 v1, 6, v0
	v_or_b32_e32 v1, v2, v1
	v_cmp_eq_u32_e32 vcc, 0, v1
	s_and_saveexec_b64 s[0:1], vcc
	s_cbranch_execz .LBB139_13
; %bb.12:
	v_mov_b32_e32 v1, 0
	v_mov_b32_e32 v3, s3
	ds_write_b32 v1, v3
.LBB139_13:
	s_or_b64 exec, exec, s[0:1]
	v_cmp_eq_u32_e32 vcc, 0, v2
	v_cmp_lt_u32_e64 s[0:1], 63, v0
	s_and_b64 s[4:5], s[0:1], vcc
	s_waitcnt lgkmcnt(0)
	s_barrier
	s_and_saveexec_b64 s[0:1], s[4:5]
	s_cbranch_execz .LBB139_16
; %bb.14:
	v_mbcnt_lo_u32_b32 v0, exec_lo, 0
	v_mbcnt_hi_u32_b32 v0, exec_hi, v0
	v_cmp_eq_u32_e32 vcc, 0, v0
	s_and_b64 exec, exec, vcc
	s_cbranch_execz .LBB139_16
; %bb.15:
	v_mov_b32_e32 v0, 0
	v_mov_b32_e32 v1, s3
	ds_or_b32 v0, v1
.LBB139_16:
	s_or_b64 exec, exec, s[0:1]
	v_mov_b32_e32 v0, 0
	s_waitcnt lgkmcnt(0)
	s_barrier
	ds_read_b32 v1, v0
	s_waitcnt lgkmcnt(0)
	s_barrier
.LBB139_17:
	v_cmp_ne_u32_e32 vcc, 0, v1
	s_ashr_i32 s3, s8, 31
	s_ashr_i32 s4, s23, 31
	s_cbranch_vccz .LBB139_71
; %bb.18:
	v_lshlrev_b32_e32 v86, 6, v17
	v_add_u32_e32 v88, v86, v16
	v_cmp_le_i32_e32 vcc, s12, v88
	v_and_b32_e32 v87, 15, v16
                                        ; implicit-def: $sgpr5
	s_and_saveexec_b64 s[0:1], vcc
	s_xor_b64 s[0:1], exec, s[0:1]
; %bb.19:
	v_and_b32_e32 v87, 15, v16
	s_mov_b32 s5, 0
                                        ; implicit-def: $vgpr88
; %bb.20:
	s_or_saveexec_b64 s[0:1], s[0:1]
	s_lshl_b32 s23, s6, 6
	v_mov_b32_e32 v11, s5
	v_mov_b32_e32 v10, s5
	;; [unrolled: 1-line block ×16, first 2 shown]
	s_xor_b64 exec, exec, s[0:1]
	s_cbranch_execz .LBB139_68
; %bb.21:
	s_xor_b32 s3, s3, s4
	s_mul_i32 s4, s2, s33
	s_sub_i32 s4, s27, s4
	s_add_i32 s5, s2, 1
	s_sub_i32 s6, s4, s33
	s_cmp_ge_u32 s4, s33
	s_cselect_b32 s2, s5, s2
	s_cselect_b32 s4, s6, s4
	s_add_i32 s5, s2, 1
	s_cmp_ge_u32 s4, s33
	s_cselect_b32 s2, s5, s2
	s_xor_b32 s2, s2, s3
	s_sub_i32 s2, s2, s3
	s_mul_hi_i32 s3, s2, s24
	s_mul_i32 s2, s2, s24
	s_mul_i32 s4, s7, s20
	s_ashr_i32 s5, s4, 31
	s_lshl_b64 s[2:3], s[2:3], 2
	s_add_u32 s7, s28, s2
	s_addc_u32 s10, s29, s3
	s_lshl_b64 s[34:35], s[4:5], 2
	s_mul_i32 s6, s23, s15
	s_add_u32 s4, s7, s34
	s_addc_u32 s5, s10, s35
	s_ashr_i32 s7, s6, 31
	s_lshl_b64 s[36:37], s[6:7], 2
	s_add_u32 s20, s4, s36
	s_movk_i32 s4, 0x1080
	v_mov_b32_e32 v89, 0x100
	s_addc_u32 s14, s5, s37
	v_mad_u32_u24 v0, v17, s4, v89
	s_mul_hi_i32 s5, s25, s8
	s_mul_i32 s4, s25, s8
	s_mul_hi_i32 s7, s16, s9
	s_mul_i32 s6, s16, s9
	s_lshl_b64 s[6:7], s[6:7], 3
	s_lshl_b64 s[4:5], s[4:5], 2
	s_add_u32 s4, s30, s4
	s_addc_u32 s5, s31, s5
	s_add_u32 s27, s4, s6
	s_addc_u32 s30, s5, s7
	s_cmp_lt_i32 s9, s13
	s_cselect_b64 s[4:5], -1, 0
	s_or_b32 s6, s9, 1
	s_cmp_lt_i32 s6, s13
                                        ; implicit-def: $vgpr102 : SGPR spill to VGPR lane
	s_cselect_b64 s[6:7], -1, 0
	s_or_b32 s10, s9, 2
	v_writelane_b32 v102, s18, 0
	s_cmp_lt_i32 s10, s13
	v_writelane_b32 v102, s19, 1
	s_cselect_b64 s[10:11], -1, 0
	s_lshl_b32 s31, s16, 2
	s_or_b32 s18, s9, 3
	s_cmp_lt_i32 s18, s13
	s_cselect_b64 s[18:19], -1, 0
	s_ashr_i32 s25, s15, 31
	s_mov_b32 s24, s15
	s_lshl_b64 s[24:25], s[24:25], 2
	s_add_u32 s2, s2, s36
	s_addc_u32 s3, s3, s37
	v_lshrrev_b32_e32 v2, 1, v16
	s_add_u32 s2, s2, s34
	v_mul_u32_u24_e32 v1, 0x108, v87
	v_and_b32_e32 v2, 0x1f8, v2
	s_addc_u32 s3, s3, s35
	v_lshl_add_u32 v90, v16, 2, v0
	v_add3_u32 v91, v0, v1, v2
	v_lshlrev_b32_e32 v0, 1, v16
	s_add_u32 s2, s28, s2
	v_lshl_add_u32 v92, v17, 7, v0
	v_lshlrev_b32_e32 v0, 2, v88
	s_addc_u32 s3, s29, s3
	v_mov_b32_e32 v1, s3
	v_add_co_u32_e32 v18, vcc, s2, v0
	v_mov_b32_e32 v94, 0
	v_addc_co_u32_e32 v19, vcc, 0, v1, vcc
	s_mul_i32 s33, s16, 6
	s_lshl_b32 s16, s16, 1
	s_lshl_b32 s34, s15, 1
	s_mul_i32 s35, s15, 3
	s_lshl_b32 s36, s15, 2
	s_mul_i32 s37, s15, 5
	s_mul_i32 s38, s15, 6
	;; [unrolled: 1-line block ×3, first 2 shown]
	s_lshl_b32 s40, s15, 3
	s_mul_i32 s41, s15, 9
	s_mul_i32 s42, s15, 10
	;; [unrolled: 1-line block ×7, first 2 shown]
	s_lshl_b32 s48, s15, 4
	s_mul_i32 s49, s15, 17
	s_mul_i32 s50, s15, 18
	;; [unrolled: 1-line block ×15, first 2 shown]
	s_lshl_b32 s64, s15, 5
	s_mul_i32 s65, s15, 33
	s_mul_i32 s66, s15, 34
	;; [unrolled: 1-line block ×11, first 2 shown]
	v_mov_b32_e32 v93, s14
	s_mul_i32 s76, s15, 44
	v_mov_b32_e32 v95, s25
	v_mov_b32_e32 v12, 0
	;; [unrolled: 1-line block ×17, first 2 shown]
	s_mul_i32 s25, s15, 45
	s_mul_i32 s77, s15, 46
	s_mul_i32 s78, s15, 47
	s_mul_i32 s79, s15, 48
	s_mul_i32 s80, s15, 49
	s_mul_i32 s81, s15, 50
	s_mul_i32 s82, s15, 51
	s_mul_i32 s83, s15, 52
	s_mul_i32 s84, s15, 53
	s_mul_i32 s85, s15, 54
	s_mul_i32 s86, s15, 55
	s_mul_i32 s87, s15, 56
	s_mul_i32 s88, s15, 57
	s_mul_i32 s89, s15, 58
	s_mul_i32 s90, s15, 59
	s_mul_i32 s91, s15, 60
	s_mul_i32 s92, s15, 61
	s_mul_i32 s93, s15, 62
	s_mul_i32 s94, s15, 63
	s_mov_b32 s95, 0x7f800000
	s_movk_i32 s2, 0x7fff
	s_mov_b32 s3, 0x7060302
	s_mov_b64 s[14:15], 0
	s_branch .LBB139_23
.LBB139_22:                             ;   in Loop: Header=BB139_23 Depth=1
	s_or_b64 exec, exec, s[28:29]
	v_perm_b32 v84, v84, v96, s3
	v_add_u32_e32 v85, 0x200, v90
	ds_write2_b32 v85, v84, v94 offset0:86 offset1:152
	v_add_u32_e32 v84, 0x400, v90
	ds_write2_b32 v84, v94, v94 offset0:90 offset1:156
	;; [unrolled: 2-line block ×6, first 2 shown]
	ds_write_b32 v90, v94 offset:4024
	ds_read2_b64 v[96:99], v91 offset0:8 offset1:12
	s_waitcnt lgkmcnt(0)
	v_mfma_f32_16x16x16bf16_1k v[8:11], v[36:37], v[96:97], v[8:11]
	v_add_co_u32_e32 v18, vcc, 0x600, v18
	v_add_u32_e32 v88, 0x180, v88
	v_addc_co_u32_e32 v19, vcc, 0, v19, vcc
	v_cmp_le_i32_e32 vcc, s12, v88
	v_add_u32_e32 v92, 0x300, v92
	v_mfma_f32_16x16x16bf16_1k v[4:7], v[52:53], v[96:97], v[4:7]
	s_or_b64 s[14:15], vcc, s[14:15]
	v_mfma_f32_16x16x16bf16_1k v[0:3], v[66:67], v[96:97], v[0:3]
	v_mfma_f32_16x16x16bf16_1k v[12:15], v[82:83], v[96:97], v[12:15]
	;; [unrolled: 1-line block ×4, first 2 shown]
	ds_read2_b64 v[50:53], v91 offset0:16 offset1:20
	v_mfma_f32_16x16x16bf16_1k v[0:3], v[64:65], v[98:99], v[0:3]
	v_mfma_f32_16x16x16bf16_1k v[12:15], v[80:81], v[98:99], v[12:15]
	s_waitcnt lgkmcnt(0)
	v_mfma_f32_16x16x16bf16_1k v[8:11], v[30:31], v[50:51], v[8:11]
	v_mfma_f32_16x16x16bf16_1k v[4:7], v[46:47], v[50:51], v[4:7]
	;; [unrolled: 1-line block ×5, first 2 shown]
	ds_read2_b64 v[28:31], v91 offset0:24 offset1:28
	v_mfma_f32_16x16x16bf16_1k v[4:7], v[44:45], v[52:53], v[4:7]
	v_mfma_f32_16x16x16bf16_1k v[0:3], v[60:61], v[52:53], v[0:3]
	;; [unrolled: 1-line block ×3, first 2 shown]
	s_waitcnt lgkmcnt(0)
	v_mfma_f32_16x16x16bf16_1k v[8:11], v[26:27], v[28:29], v[8:11]
	v_mfma_f32_16x16x16bf16_1k v[4:7], v[42:43], v[28:29], v[4:7]
	;; [unrolled: 1-line block ×5, first 2 shown]
	ds_read2_b64 v[24:27], v91 offset0:32 offset1:36
	v_mfma_f32_16x16x16bf16_1k v[4:7], v[40:41], v[30:31], v[4:7]
	v_mfma_f32_16x16x16bf16_1k v[0:3], v[56:57], v[30:31], v[0:3]
	;; [unrolled: 1-line block ×3, first 2 shown]
	s_waitcnt lgkmcnt(0)
	v_mfma_f32_16x16x16bf16_1k v[8:11], v[22:23], v[24:25], v[8:11]
	v_mfma_f32_16x16x16bf16_1k v[4:7], v[38:39], v[24:25], v[4:7]
	;; [unrolled: 1-line block ×8, first 2 shown]
	s_andn2_b64 exec, exec, s[14:15]
	s_cbranch_execz .LBB139_67
.LBB139_23:                             ; =>This Inner Loop Header: Depth=1
	v_add_co_u32_e32 v20, vcc, s24, v18
	v_addc_co_u32_e32 v21, vcc, v19, v95, vcc
	global_load_dword v32, v[18:19], off
	global_load_dword v33, v[20:21], off
	v_add_u32_e32 v20, s34, v88
	v_ashrrev_i32_e32 v21, 31, v20
	v_lshlrev_b64 v[20:21], 2, v[20:21]
	v_add_u32_e32 v22, s35, v88
	v_add_co_u32_e32 v20, vcc, s20, v20
	v_ashrrev_i32_e32 v23, 31, v22
	v_addc_co_u32_e32 v21, vcc, v93, v21, vcc
	v_lshlrev_b64 v[22:23], 2, v[22:23]
	v_add_u32_e32 v24, s36, v88
	v_add_co_u32_e32 v22, vcc, s20, v22
	v_ashrrev_i32_e32 v25, 31, v24
	v_addc_co_u32_e32 v23, vcc, v93, v23, vcc
	;; [unrolled: 5-line block ×5, first 2 shown]
	v_lshlrev_b64 v[30:31], 2, v[30:31]
	v_add_co_u32_e32 v30, vcc, s20, v30
	v_addc_co_u32_e32 v31, vcc, v93, v31, vcc
	global_load_dword v34, v[20:21], off
	global_load_dword v35, v[22:23], off
	;; [unrolled: 1-line block ×3, first 2 shown]
	s_nop 0
	global_load_dword v26, v[26:27], off
	s_nop 0
	global_load_dword v27, v[28:29], off
	;; [unrolled: 2-line block ×3, first 2 shown]
	v_add_u32_e32 v20, s40, v88
	v_ashrrev_i32_e32 v21, 31, v20
	v_add_u32_e32 v22, s41, v88
	v_lshlrev_b64 v[20:21], 2, v[20:21]
	v_ashrrev_i32_e32 v23, 31, v22
	v_add_co_u32_e32 v20, vcc, s20, v20
	v_add_u32_e32 v24, s42, v88
	v_lshlrev_b64 v[22:23], 2, v[22:23]
	v_addc_co_u32_e32 v21, vcc, v93, v21, vcc
	v_ashrrev_i32_e32 v25, 31, v24
	v_add_co_u32_e32 v22, vcc, s20, v22
	v_lshlrev_b64 v[24:25], 2, v[24:25]
	v_addc_co_u32_e32 v23, vcc, v93, v23, vcc
	global_load_dword v20, v[20:21], off
	s_nop 0
	global_load_dword v21, v[22:23], off
	v_add_u32_e32 v22, s43, v88
	v_add_co_u32_e32 v24, vcc, s20, v24
	v_ashrrev_i32_e32 v23, 31, v22
	v_addc_co_u32_e32 v25, vcc, v93, v25, vcc
	v_lshlrev_b64 v[22:23], 2, v[22:23]
	v_add_u32_e32 v60, s73, v88
	v_ashrrev_i32_e32 v61, 31, v60
	v_lshlrev_b64 v[60:61], 2, v[60:61]
	s_waitcnt vmcnt(9)
	ds_write_b32 v90, v32 offset:64
	s_waitcnt vmcnt(8)
	ds_write_b32 v90, v33 offset:328
	;; [unrolled: 2-line block ×8, first 2 shown]
	v_add_co_u32_e32 v26, vcc, s20, v22
	v_add_u32_e32 v22, s44, v88
	v_addc_co_u32_e32 v27, vcc, v93, v23, vcc
	v_ashrrev_i32_e32 v23, 31, v22
	v_lshlrev_b64 v[22:23], 2, v[22:23]
	v_add_co_u32_e32 v28, vcc, s20, v22
	v_add_u32_e32 v22, s45, v88
	v_addc_co_u32_e32 v29, vcc, v93, v23, vcc
	v_ashrrev_i32_e32 v23, 31, v22
	v_lshlrev_b64 v[22:23], 2, v[22:23]
	;; [unrolled: 5-line block ×6, first 2 shown]
	v_add_co_u32_e32 v38, vcc, s20, v22
	v_addc_co_u32_e32 v39, vcc, v93, v23, vcc
	global_load_dword v22, v[24:25], off
	global_load_dword v23, v[26:27], off
	s_nop 0
	global_load_dword v24, v[28:29], off
	global_load_dword v25, v[30:31], off
	global_load_dword v26, v[32:33], off
	global_load_dword v27, v[34:35], off
	s_nop 0
	global_load_dword v34, v[36:37], off
	global_load_dword v35, v[38:39], off
	v_add_u32_e32 v28, s50, v88
	v_ashrrev_i32_e32 v29, 31, v28
	v_lshlrev_b64 v[28:29], 2, v[28:29]
	v_add_u32_e32 v30, s51, v88
	v_add_co_u32_e32 v28, vcc, s20, v28
	v_ashrrev_i32_e32 v31, 31, v30
	v_addc_co_u32_e32 v29, vcc, v93, v29, vcc
	v_lshlrev_b64 v[30:31], 2, v[30:31]
	v_add_u32_e32 v32, s52, v88
	v_add_co_u32_e32 v30, vcc, s20, v30
	v_ashrrev_i32_e32 v33, 31, v32
	v_addc_co_u32_e32 v31, vcc, v93, v31, vcc
	;; [unrolled: 5-line block ×4, first 2 shown]
	v_lshlrev_b64 v[38:39], 2, v[38:39]
	v_add_co_u32_e32 v42, vcc, s20, v38
	v_add_u32_e32 v38, s55, v88
	v_addc_co_u32_e32 v43, vcc, v93, v39, vcc
	v_ashrrev_i32_e32 v39, 31, v38
	v_lshlrev_b64 v[38:39], 2, v[38:39]
	v_add_co_u32_e32 v44, vcc, s20, v38
	v_add_u32_e32 v38, s56, v88
	v_addc_co_u32_e32 v45, vcc, v93, v39, vcc
	v_ashrrev_i32_e32 v39, 31, v38
	v_lshlrev_b64 v[38:39], 2, v[38:39]
	v_add_co_u32_e32 v46, vcc, s20, v38
	v_add_u32_e32 v38, s57, v88
	v_addc_co_u32_e32 v47, vcc, v93, v39, vcc
	v_ashrrev_i32_e32 v39, 31, v38
	v_lshlrev_b64 v[38:39], 2, v[38:39]
	v_add_co_u32_e32 v48, vcc, s20, v38
	v_addc_co_u32_e32 v49, vcc, v93, v39, vcc
	global_load_dword v38, v[28:29], off
	global_load_dword v39, v[30:31], off
	;; [unrolled: 1-line block ×4, first 2 shown]
	s_nop 0
	global_load_dword v42, v[42:43], off
	s_nop 0
	global_load_dword v43, v[44:45], off
	;; [unrolled: 2-line block ×3, first 2 shown]
	global_load_dword v45, v[48:49], off
	v_add_u32_e32 v28, s58, v88
	v_ashrrev_i32_e32 v29, 31, v28
	v_lshlrev_b64 v[28:29], 2, v[28:29]
	v_add_u32_e32 v30, s59, v88
	v_add_co_u32_e32 v28, vcc, s20, v28
	v_ashrrev_i32_e32 v31, 31, v30
	v_addc_co_u32_e32 v29, vcc, v93, v29, vcc
	v_lshlrev_b64 v[30:31], 2, v[30:31]
	v_add_u32_e32 v32, s60, v88
	v_add_co_u32_e32 v30, vcc, s20, v30
	v_ashrrev_i32_e32 v33, 31, v32
	v_addc_co_u32_e32 v31, vcc, v93, v31, vcc
	;; [unrolled: 5-line block ×4, first 2 shown]
	v_lshlrev_b64 v[46:47], 2, v[46:47]
	v_add_co_u32_e32 v48, vcc, s20, v46
	v_add_u32_e32 v46, s63, v88
	v_addc_co_u32_e32 v49, vcc, v93, v47, vcc
	v_ashrrev_i32_e32 v47, 31, v46
	v_lshlrev_b64 v[46:47], 2, v[46:47]
	v_add_co_u32_e32 v54, vcc, s20, v46
	v_add_u32_e32 v46, s64, v88
	v_addc_co_u32_e32 v55, vcc, v93, v47, vcc
	v_ashrrev_i32_e32 v47, 31, v46
	;; [unrolled: 5-line block ×3, first 2 shown]
	v_lshlrev_b64 v[46:47], 2, v[46:47]
	v_add_co_u32_e32 v58, vcc, s20, v46
	v_addc_co_u32_e32 v59, vcc, v93, v47, vcc
	global_load_dword v46, v[28:29], off
	global_load_dword v47, v[30:31], off
	;; [unrolled: 1-line block ×6, first 2 shown]
	s_nop 0
	global_load_dword v48, v[56:57], off
	global_load_dword v49, v[58:59], off
	v_add_u32_e32 v28, s66, v88
	v_ashrrev_i32_e32 v29, 31, v28
	v_lshlrev_b64 v[28:29], 2, v[28:29]
	v_add_u32_e32 v30, s67, v88
	v_add_co_u32_e32 v28, vcc, s20, v28
	v_ashrrev_i32_e32 v31, 31, v30
	v_addc_co_u32_e32 v29, vcc, v93, v29, vcc
	v_lshlrev_b64 v[30:31], 2, v[30:31]
	v_add_u32_e32 v32, s68, v88
	v_add_co_u32_e32 v30, vcc, s20, v30
	v_ashrrev_i32_e32 v33, 31, v32
	v_addc_co_u32_e32 v31, vcc, v93, v31, vcc
	;; [unrolled: 5-line block ×6, first 2 shown]
	v_lshlrev_b64 v[58:59], 2, v[58:59]
	v_add_co_u32_e32 v58, vcc, s20, v58
	v_addc_co_u32_e32 v59, vcc, v93, v59, vcc
	v_add_co_u32_e32 v60, vcc, s20, v60
	v_addc_co_u32_e32 v61, vcc, v93, v61, vcc
	global_load_dword v62, v[28:29], off
	global_load_dword v63, v[30:31], off
	;; [unrolled: 1-line block ×8, first 2 shown]
	v_add_u32_e32 v28, s74, v88
	v_ashrrev_i32_e32 v29, 31, v28
	v_lshlrev_b64 v[28:29], 2, v[28:29]
	v_add_u32_e32 v30, s75, v88
	v_add_co_u32_e32 v28, vcc, s20, v28
	v_ashrrev_i32_e32 v31, 31, v30
	v_addc_co_u32_e32 v29, vcc, v93, v29, vcc
	v_lshlrev_b64 v[30:31], 2, v[30:31]
	v_add_u32_e32 v32, s76, v88
	v_add_co_u32_e32 v30, vcc, s20, v30
	v_ashrrev_i32_e32 v33, 31, v32
	v_addc_co_u32_e32 v31, vcc, v93, v31, vcc
	;; [unrolled: 5-line block ×7, first 2 shown]
	v_lshlrev_b64 v[60:61], 2, v[60:61]
	v_add_co_u32_e32 v60, vcc, s20, v60
	v_addc_co_u32_e32 v61, vcc, v93, v61, vcc
	global_load_dword v70, v[28:29], off
	global_load_dword v71, v[30:31], off
	;; [unrolled: 1-line block ×8, first 2 shown]
	v_add_u32_e32 v28, s81, v88
	v_ashrrev_i32_e32 v29, 31, v28
	v_lshlrev_b64 v[28:29], 2, v[28:29]
	v_add_u32_e32 v30, s82, v88
	v_add_co_u32_e32 v28, vcc, s20, v28
	v_ashrrev_i32_e32 v31, 31, v30
	v_addc_co_u32_e32 v29, vcc, v93, v29, vcc
	v_lshlrev_b64 v[30:31], 2, v[30:31]
	v_add_u32_e32 v32, s83, v88
	v_add_co_u32_e32 v30, vcc, s20, v30
	v_ashrrev_i32_e32 v33, 31, v32
	v_addc_co_u32_e32 v31, vcc, v93, v31, vcc
	;; [unrolled: 5-line block ×7, first 2 shown]
	v_lshlrev_b64 v[60:61], 2, v[60:61]
	v_add_co_u32_e32 v60, vcc, s20, v60
	v_addc_co_u32_e32 v61, vcc, v93, v61, vcc
	global_load_dword v78, v[28:29], off
	global_load_dword v79, v[30:31], off
	;; [unrolled: 1-line block ×8, first 2 shown]
	v_add_u32_e32 v28, s89, v88
	v_ashrrev_i32_e32 v29, 31, v28
	v_lshlrev_b64 v[28:29], 2, v[28:29]
	v_add_u32_e32 v30, s90, v88
	v_add_co_u32_e32 v28, vcc, s20, v28
	v_ashrrev_i32_e32 v31, 31, v30
	v_addc_co_u32_e32 v29, vcc, v93, v29, vcc
	v_lshlrev_b64 v[30:31], 2, v[30:31]
	v_add_u32_e32 v32, s91, v88
	v_add_co_u32_e32 v30, vcc, s20, v30
	v_ashrrev_i32_e32 v33, 31, v32
	v_addc_co_u32_e32 v31, vcc, v93, v31, vcc
	;; [unrolled: 5-line block ×5, first 2 shown]
	v_lshlrev_b64 v[56:57], 2, v[56:57]
	v_add_co_u32_e32 v56, vcc, s20, v56
	v_addc_co_u32_e32 v57, vcc, v93, v57, vcc
	global_load_dword v96, v[28:29], off
	global_load_dword v97, v[30:31], off
	;; [unrolled: 1-line block ×6, first 2 shown]
	s_waitcnt vmcnt(55)
	ds_write_b32 v90, v20 offset:2176
	s_waitcnt vmcnt(54)
	ds_write_b32 v90, v21 offset:2440
	s_waitcnt vmcnt(53)
	ds_write_b32 v90, v22 offset:2704
	s_waitcnt vmcnt(52)
	ds_write_b32 v90, v23 offset:2968
	s_waitcnt vmcnt(51)
	ds_write_b32 v90, v24 offset:3232
	s_waitcnt vmcnt(50)
	ds_write_b32 v90, v25 offset:3496
	s_waitcnt vmcnt(49)
	ds_write_b32 v90, v26 offset:3760
	s_waitcnt vmcnt(48)
	ds_write_b32 v90, v27 offset:4024
	ds_read_b64 v[36:37], v91 offset:64
	ds_read_b64 v[32:33], v91 offset:96
	ds_read_b64 v[30:31], v91 offset:128
	ds_read_b64 v[28:29], v91 offset:160
	ds_read_b64 v[26:27], v91 offset:192
	ds_read_b64 v[24:25], v91 offset:224
	ds_read_b64 v[22:23], v91 offset:256
	ds_read_b64 v[20:21], v91 offset:288
	s_waitcnt vmcnt(47)
	ds_write_b32 v90, v34 offset:64
	s_waitcnt vmcnt(46)
	ds_write_b32 v90, v35 offset:328
	s_waitcnt vmcnt(45)
	ds_write_b32 v90, v38 offset:592
	s_waitcnt vmcnt(44)
	ds_write_b32 v90, v39 offset:856
	s_waitcnt vmcnt(43)
	ds_write_b32 v90, v40 offset:1120
	s_waitcnt vmcnt(42)
	ds_write_b32 v90, v41 offset:1384
	s_waitcnt vmcnt(41)
	ds_write_b32 v90, v42 offset:1648
	s_waitcnt vmcnt(40)
	ds_write_b32 v90, v43 offset:1912
	s_waitcnt vmcnt(39)
	ds_write_b32 v90, v44 offset:2176
	s_waitcnt vmcnt(38)
	ds_write_b32 v90, v45 offset:2440
	s_waitcnt vmcnt(37)
	ds_write_b32 v90, v46 offset:2704
	s_waitcnt vmcnt(36)
	ds_write_b32 v90, v47 offset:2968
	s_waitcnt vmcnt(35)
	ds_write_b32 v90, v50 offset:3232
	s_waitcnt vmcnt(34)
	ds_write_b32 v90, v51 offset:3496
	s_waitcnt vmcnt(33)
	ds_write_b32 v90, v52 offset:3760
	s_waitcnt vmcnt(32)
	ds_write_b32 v90, v53 offset:4024
	ds_read_b64 v[52:53], v91 offset:64
	ds_read_b64 v[50:51], v91 offset:96
	ds_read_b64 v[46:47], v91 offset:128
	ds_read_b64 v[44:45], v91 offset:160
	ds_read_b64 v[42:43], v91 offset:192
	ds_read_b64 v[40:41], v91 offset:224
	ds_read_b64 v[38:39], v91 offset:256
	ds_read_b64 v[34:35], v91 offset:288
	s_waitcnt vmcnt(31)
	ds_write_b32 v90, v48 offset:64
	s_waitcnt vmcnt(30)
	ds_write_b32 v90, v49 offset:328
	s_waitcnt vmcnt(29)
	ds_write_b32 v90, v62 offset:592
	s_waitcnt vmcnt(28)
	ds_write_b32 v90, v63 offset:856
	s_waitcnt vmcnt(27)
	ds_write_b32 v90, v64 offset:1120
	s_waitcnt vmcnt(26)
	ds_write_b32 v90, v65 offset:1384
	s_waitcnt vmcnt(25)
	ds_write_b32 v90, v66 offset:1648
	s_waitcnt vmcnt(24)
	ds_write_b32 v90, v67 offset:1912
	;; [unrolled: 40-line block ×3, first 2 shown]
	s_waitcnt vmcnt(7)
	ds_write_b32 v90, v84 offset:2176
	s_waitcnt vmcnt(6)
	ds_write_b32 v90, v85 offset:2440
	s_waitcnt vmcnt(5)
	ds_write_b32 v90, v96 offset:2704
	s_waitcnt vmcnt(4)
	ds_write_b32 v90, v97 offset:2968
	s_waitcnt vmcnt(3)
	ds_write_b32 v90, v98 offset:3232
	s_waitcnt vmcnt(2)
	ds_write_b32 v90, v99 offset:3496
	s_waitcnt vmcnt(1)
	ds_write_b32 v90, v100 offset:3760
	s_waitcnt vmcnt(0)
	ds_write_b32 v90, v101 offset:4024
	ds_read_b64 v[82:83], v91 offset:64
	ds_read_b64 v[80:81], v91 offset:96
	;; [unrolled: 1-line block ×8, first 2 shown]
	s_andn2_b64 vcc, exec, s[4:5]
	v_mov_b32_e32 v84, 0
	v_mov_b32_e32 v85, 0
	s_cbranch_vccnz .LBB139_26
; %bb.24:                               ;   in Loop: Header=BB139_23 Depth=1
	ds_read_b32 v96, v89
	v_mov_b32_e32 v85, 0
	v_mov_b32_e32 v84, 0
	s_waitcnt lgkmcnt(0)
	v_cmp_gt_i32_e32 vcc, 0, v96
	s_cbranch_vccnz .LBB139_26
; %bb.25:                               ;   in Loop: Header=BB139_23 Depth=1
	v_mul_lo_u32 v84, v96, s21
	v_add_u32_e32 v84, v92, v84
	v_ashrrev_i32_e32 v85, 31, v84
	v_lshlrev_b64 v[84:85], 2, v[84:85]
	v_mov_b32_e32 v96, s30
	v_add_co_u32_e32 v84, vcc, s27, v84
	v_addc_co_u32_e32 v85, vcc, v96, v85, vcc
	global_load_dwordx2 v[84:85], v[84:85], off
.LBB139_26:                             ;   in Loop: Header=BB139_23 Depth=1
	s_waitcnt vmcnt(0)
	v_and_b32_e32 v96, 0x7f800000, v84
	v_cmp_ne_u32_e32 vcc, s95, v96
                                        ; implicit-def: $vgpr96
	s_and_saveexec_b64 s[28:29], vcc
	s_xor_b64 s[28:29], exec, s[28:29]
; %bb.27:                               ;   in Loop: Header=BB139_23 Depth=1
	v_bfe_u32 v96, v84, 16, 1
	v_add3_u32 v96, v84, v96, s2
; %bb.28:                               ;   in Loop: Header=BB139_23 Depth=1
	s_andn2_saveexec_b64 s[28:29], s[28:29]
; %bb.29:                               ;   in Loop: Header=BB139_23 Depth=1
	v_or_b32_e32 v96, 0x10000, v84
	v_cmp_eq_u32_sdwa vcc, v84, v94 src0_sel:WORD_0 src1_sel:DWORD
	v_cndmask_b32_e32 v96, v96, v84, vcc
; %bb.30:                               ;   in Loop: Header=BB139_23 Depth=1
	s_or_b64 exec, exec, s[28:29]
	v_and_b32_e32 v84, 0x7f800000, v85
	v_cmp_ne_u32_e32 vcc, s95, v84
                                        ; implicit-def: $vgpr84
	s_and_saveexec_b64 s[28:29], vcc
	s_xor_b64 s[28:29], exec, s[28:29]
; %bb.31:                               ;   in Loop: Header=BB139_23 Depth=1
	v_bfe_u32 v84, v85, 16, 1
	v_add3_u32 v84, v85, v84, s2
                                        ; implicit-def: $vgpr85
; %bb.32:                               ;   in Loop: Header=BB139_23 Depth=1
	s_andn2_saveexec_b64 s[28:29], s[28:29]
; %bb.33:                               ;   in Loop: Header=BB139_23 Depth=1
	v_or_b32_e32 v84, 0x10000, v85
	v_cmp_eq_u32_sdwa vcc, v85, v94 src0_sel:WORD_0 src1_sel:DWORD
	v_cndmask_b32_e32 v84, v84, v85, vcc
; %bb.34:                               ;   in Loop: Header=BB139_23 Depth=1
	s_or_b64 exec, exec, s[28:29]
	v_perm_b32 v84, v84, v96, s3
	ds_write_b32 v90, v84 offset:64
	s_andn2_b64 vcc, exec, s[6:7]
	v_mov_b32_e32 v84, 0
	v_mov_b32_e32 v85, 0
	s_cbranch_vccnz .LBB139_37
; %bb.35:                               ;   in Loop: Header=BB139_23 Depth=1
	ds_read_b32 v96, v89 offset:4
	v_mov_b32_e32 v85, 0
	v_mov_b32_e32 v84, 0
	s_waitcnt lgkmcnt(0)
	v_cmp_gt_i32_e32 vcc, 0, v96
	s_cbranch_vccnz .LBB139_37
; %bb.36:                               ;   in Loop: Header=BB139_23 Depth=1
	v_mul_lo_u32 v84, v96, s21
	v_add_u32_e32 v84, s16, v84
	v_add_u32_e32 v84, v84, v92
	v_ashrrev_i32_e32 v85, 31, v84
	v_lshlrev_b64 v[84:85], 2, v[84:85]
	v_mov_b32_e32 v96, s30
	v_add_co_u32_e32 v84, vcc, s27, v84
	v_addc_co_u32_e32 v85, vcc, v96, v85, vcc
	global_load_dwordx2 v[84:85], v[84:85], off
.LBB139_37:                             ;   in Loop: Header=BB139_23 Depth=1
	s_waitcnt vmcnt(0)
	v_and_b32_e32 v96, 0x7f800000, v84
	v_cmp_ne_u32_e32 vcc, s95, v96
                                        ; implicit-def: $vgpr96
	s_and_saveexec_b64 s[28:29], vcc
	s_xor_b64 s[28:29], exec, s[28:29]
; %bb.38:                               ;   in Loop: Header=BB139_23 Depth=1
	v_bfe_u32 v96, v84, 16, 1
	v_add3_u32 v96, v84, v96, s2
; %bb.39:                               ;   in Loop: Header=BB139_23 Depth=1
	s_andn2_saveexec_b64 s[28:29], s[28:29]
; %bb.40:                               ;   in Loop: Header=BB139_23 Depth=1
	v_or_b32_e32 v96, 0x10000, v84
	v_cmp_eq_u32_sdwa vcc, v84, v94 src0_sel:WORD_0 src1_sel:DWORD
	v_cndmask_b32_e32 v96, v96, v84, vcc
; %bb.41:                               ;   in Loop: Header=BB139_23 Depth=1
	s_or_b64 exec, exec, s[28:29]
	v_and_b32_e32 v84, 0x7f800000, v85
	v_cmp_ne_u32_e32 vcc, s95, v84
                                        ; implicit-def: $vgpr84
	s_and_saveexec_b64 s[28:29], vcc
	s_xor_b64 s[28:29], exec, s[28:29]
; %bb.42:                               ;   in Loop: Header=BB139_23 Depth=1
	v_bfe_u32 v84, v85, 16, 1
	v_add3_u32 v84, v85, v84, s2
                                        ; implicit-def: $vgpr85
; %bb.43:                               ;   in Loop: Header=BB139_23 Depth=1
	s_andn2_saveexec_b64 s[28:29], s[28:29]
; %bb.44:                               ;   in Loop: Header=BB139_23 Depth=1
	v_or_b32_e32 v84, 0x10000, v85
	v_cmp_eq_u32_sdwa vcc, v85, v94 src0_sel:WORD_0 src1_sel:DWORD
	v_cndmask_b32_e32 v84, v84, v85, vcc
; %bb.45:                               ;   in Loop: Header=BB139_23 Depth=1
	s_or_b64 exec, exec, s[28:29]
	v_perm_b32 v84, v84, v96, s3
	ds_write_b32 v90, v84 offset:328
	s_andn2_b64 vcc, exec, s[10:11]
	v_mov_b32_e32 v84, 0
	v_mov_b32_e32 v85, 0
	s_cbranch_vccnz .LBB139_48
; %bb.46:                               ;   in Loop: Header=BB139_23 Depth=1
	ds_read_b32 v96, v89 offset:8
	v_mov_b32_e32 v85, 0
	v_mov_b32_e32 v84, 0
	s_waitcnt lgkmcnt(0)
	v_cmp_gt_i32_e32 vcc, 0, v96
	s_cbranch_vccnz .LBB139_48
; %bb.47:                               ;   in Loop: Header=BB139_23 Depth=1
	v_mul_lo_u32 v84, v96, s21
	v_add_u32_e32 v84, s31, v84
	v_add_u32_e32 v84, v84, v92
	v_ashrrev_i32_e32 v85, 31, v84
	v_lshlrev_b64 v[84:85], 2, v[84:85]
	v_mov_b32_e32 v96, s30
	v_add_co_u32_e32 v84, vcc, s27, v84
	v_addc_co_u32_e32 v85, vcc, v96, v85, vcc
	global_load_dwordx2 v[84:85], v[84:85], off
.LBB139_48:                             ;   in Loop: Header=BB139_23 Depth=1
	;; [unrolled: 58-line block ×3, first 2 shown]
	s_waitcnt vmcnt(0)
	v_and_b32_e32 v96, 0x7f800000, v84
	v_cmp_ne_u32_e32 vcc, s95, v96
                                        ; implicit-def: $vgpr96
	s_and_saveexec_b64 s[28:29], vcc
	s_xor_b64 s[28:29], exec, s[28:29]
; %bb.60:                               ;   in Loop: Header=BB139_23 Depth=1
	v_bfe_u32 v96, v84, 16, 1
	v_add3_u32 v96, v84, v96, s2
; %bb.61:                               ;   in Loop: Header=BB139_23 Depth=1
	s_andn2_saveexec_b64 s[28:29], s[28:29]
; %bb.62:                               ;   in Loop: Header=BB139_23 Depth=1
	v_or_b32_e32 v96, 0x10000, v84
	v_cmp_eq_u32_sdwa vcc, v84, v94 src0_sel:WORD_0 src1_sel:DWORD
	v_cndmask_b32_e32 v96, v96, v84, vcc
; %bb.63:                               ;   in Loop: Header=BB139_23 Depth=1
	s_or_b64 exec, exec, s[28:29]
	v_and_b32_e32 v84, 0x7f800000, v85
	v_cmp_ne_u32_e32 vcc, s95, v84
                                        ; implicit-def: $vgpr84
	s_and_saveexec_b64 s[28:29], vcc
	s_xor_b64 s[28:29], exec, s[28:29]
; %bb.64:                               ;   in Loop: Header=BB139_23 Depth=1
	v_bfe_u32 v84, v85, 16, 1
	v_add3_u32 v84, v85, v84, s2
                                        ; implicit-def: $vgpr85
; %bb.65:                               ;   in Loop: Header=BB139_23 Depth=1
	s_andn2_saveexec_b64 s[28:29], s[28:29]
	s_cbranch_execz .LBB139_22
; %bb.66:                               ;   in Loop: Header=BB139_23 Depth=1
	v_or_b32_e32 v84, 0x10000, v85
	v_cmp_eq_u32_sdwa vcc, v85, v94 src0_sel:WORD_0 src1_sel:DWORD
	v_cndmask_b32_e32 v84, v84, v85, vcc
	s_branch .LBB139_22
.LBB139_67:
	s_or_b64 exec, exec, s[14:15]
	v_readlane_b32 s18, v102, 0
	v_readlane_b32 s19, v102, 1
.LBB139_68:
	s_or_b64 exec, exec, s[0:1]
	v_mul_u32_u24_e32 v18, 0x608, v87
	s_movk_i32 s2, 0x100
	v_lshlrev_b32_e32 v19, 2, v86
	v_add3_u32 v18, s2, v18, v19
	v_and_b32_e32 v20, 0x3f0, v16
	v_add_u32_e32 v21, v18, v20
	s_barrier
	v_add_u32_e32 v19, 64, v18
	ds_write2_b32 v21, v8, v9 offset0:16 offset1:17
	v_or_b32_e32 v9, 12, v16
	v_add_u32_e32 v8, v19, v20
	v_and_b32_e32 v9, 0x3fc, v9
	ds_write_b32 v8, v10 offset:8
	v_add_u32_e32 v10, v18, v9
	ds_write_b32 v10, v11 offset:64
	ds_write2_b32 v8, v4, v5 offset0:16 offset1:17
	ds_write_b32 v8, v6 offset:72
	v_add_u32_e32 v4, v19, v9
	v_cmp_gt_u32_e32 vcc, 4, v17
	ds_write_b32 v4, v7 offset:64
	ds_write2_b32 v8, v0, v1 offset0:32 offset1:33
	ds_write_b32 v8, v2 offset:136
	ds_write_b32 v4, v3 offset:128
	ds_write2_b32 v8, v12, v13 offset0:48 offset1:49
	ds_write_b32 v8, v14 offset:200
	ds_write_b32 v4, v15 offset:192
	s_waitcnt lgkmcnt(0)
	s_barrier
	s_and_saveexec_b64 s[0:1], vcc
	s_cbranch_execz .LBB139_71
; %bb.69:
	v_mov_b32_e32 v0, 0x100
	v_lshl_add_u32 v0, v17, 2, v0
	ds_read_b32 v0, v0
	v_or_b32_e32 v1, s9, v17
	v_cmp_gt_i32_e64 s[0:1], s13, v1
	s_waitcnt lgkmcnt(0)
	v_cmp_lt_i32_e32 vcc, -1, v0
	s_and_b64 s[0:1], vcc, s[0:1]
	s_and_b64 exec, exec, s[0:1]
	s_cbranch_execz .LBB139_71
; %bb.70:
	v_lshlrev_b32_e32 v2, 2, v16
	v_mul_u32_u24_e32 v3, 0x608, v17
	v_add3_u32 v6, s2, v2, v3
	ds_read2_b32 v[2:3], v6 offset0:16 offset1:80
	ds_read2_b32 v[4:5], v6 offset0:144 offset1:208
	s_mul_hi_i32 s1, s26, s8
	s_mul_i32 s0, s26, s8
	v_add_u32_e32 v6, 64, v6
	s_lshl_b64 s[0:1], s[0:1], 2
	ds_read2st64_b32 v[6:7], v6 offset0:4 offset1:5
	s_mul_hi_i32 s5, s9, s17
	s_mul_i32 s4, s9, s17
	s_add_u32 s3, s18, s0
	s_waitcnt lgkmcnt(2)
	v_add_f32_e32 v2, 0, v2
	v_add_u32_e32 v1, s23, v16
	s_addc_u32 s6, s19, s1
	s_lshl_b64 s[0:1], s[4:5], 2
	v_add_f32_e32 v2, v2, v3
	v_mul_lo_u32 v0, v0, s22
	v_mul_lo_u32 v3, v17, s17
	s_add_u32 s0, s3, s0
	s_waitcnt lgkmcnt(1)
	v_add_f32_e32 v2, v2, v4
	v_add3_u32 v0, v1, v3, v0
	v_mov_b32_e32 v1, 0
	s_addc_u32 s1, s6, s1
	v_add_f32_e32 v2, v2, v5
	v_lshlrev_b64 v[0:1], 2, v[0:1]
	s_waitcnt lgkmcnt(0)
	v_add_f32_e32 v2, v2, v6
	v_mov_b32_e32 v3, s1
	v_add_co_u32_e32 v0, vcc, s0, v0
	v_add_f32_e32 v2, v2, v7
	v_addc_co_u32_e32 v1, vcc, v3, v1, vcc
	global_store_dword v[0:1], v2, off
.LBB139_71:
	s_endpgm
	.section	.rodata,"a",@progbits
	.p2align	6, 0x0
	.amdhsa_kernel _ZL9mul_mat_fI15__hip_bfloat162Li64ELi4ELi6ELb1EEvPKT_PKfPKiPfiiiiiiiiiiiiiiii
		.amdhsa_group_segment_fixed_size 256
		.amdhsa_private_segment_fixed_size 0
		.amdhsa_kernarg_size 352
		.amdhsa_user_sgpr_count 6
		.amdhsa_user_sgpr_private_segment_buffer 1
		.amdhsa_user_sgpr_dispatch_ptr 0
		.amdhsa_user_sgpr_queue_ptr 0
		.amdhsa_user_sgpr_kernarg_segment_ptr 1
		.amdhsa_user_sgpr_dispatch_id 0
		.amdhsa_user_sgpr_flat_scratch_init 0
		.amdhsa_user_sgpr_kernarg_preload_length 0
		.amdhsa_user_sgpr_kernarg_preload_offset 0
		.amdhsa_user_sgpr_private_segment_size 0
		.amdhsa_uses_dynamic_stack 0
		.amdhsa_system_sgpr_private_segment_wavefront_offset 0
		.amdhsa_system_sgpr_workgroup_id_x 1
		.amdhsa_system_sgpr_workgroup_id_y 1
		.amdhsa_system_sgpr_workgroup_id_z 1
		.amdhsa_system_sgpr_workgroup_info 0
		.amdhsa_system_vgpr_workitem_id 2
		.amdhsa_next_free_vgpr 103
		.amdhsa_next_free_sgpr 96
		.amdhsa_accum_offset 104
		.amdhsa_reserve_vcc 1
		.amdhsa_reserve_flat_scratch 0
		.amdhsa_float_round_mode_32 0
		.amdhsa_float_round_mode_16_64 0
		.amdhsa_float_denorm_mode_32 3
		.amdhsa_float_denorm_mode_16_64 3
		.amdhsa_dx10_clamp 1
		.amdhsa_ieee_mode 1
		.amdhsa_fp16_overflow 0
		.amdhsa_tg_split 0
		.amdhsa_exception_fp_ieee_invalid_op 0
		.amdhsa_exception_fp_denorm_src 0
		.amdhsa_exception_fp_ieee_div_zero 0
		.amdhsa_exception_fp_ieee_overflow 0
		.amdhsa_exception_fp_ieee_underflow 0
		.amdhsa_exception_fp_ieee_inexact 0
		.amdhsa_exception_int_div_zero 0
	.end_amdhsa_kernel
	.section	.text._ZL9mul_mat_fI15__hip_bfloat162Li64ELi4ELi6ELb1EEvPKT_PKfPKiPfiiiiiiiiiiiiiiii,"axG",@progbits,_ZL9mul_mat_fI15__hip_bfloat162Li64ELi4ELi6ELb1EEvPKT_PKfPKiPfiiiiiiiiiiiiiiii,comdat
.Lfunc_end139:
	.size	_ZL9mul_mat_fI15__hip_bfloat162Li64ELi4ELi6ELb1EEvPKT_PKfPKiPfiiiiiiiiiiiiiiii, .Lfunc_end139-_ZL9mul_mat_fI15__hip_bfloat162Li64ELi4ELi6ELb1EEvPKT_PKfPKiPfiiiiiiiiiiiiiiii
                                        ; -- End function
	.section	.AMDGPU.csdata,"",@progbits
; Kernel info:
; codeLenInByte = 6760
; NumSgprs: 100
; NumVgprs: 103
; NumAgprs: 0
; TotalNumVgprs: 103
; ScratchSize: 0
; MemoryBound: 0
; FloatMode: 240
; IeeeMode: 1
; LDSByteSize: 256 bytes/workgroup (compile time only)
; SGPRBlocks: 12
; VGPRBlocks: 12
; NumSGPRsForWavesPerEU: 100
; NumVGPRsForWavesPerEU: 103
; AccumOffset: 104
; Occupancy: 4
; WaveLimiterHint : 0
; COMPUTE_PGM_RSRC2:SCRATCH_EN: 0
; COMPUTE_PGM_RSRC2:USER_SGPR: 6
; COMPUTE_PGM_RSRC2:TRAP_HANDLER: 0
; COMPUTE_PGM_RSRC2:TGID_X_EN: 1
; COMPUTE_PGM_RSRC2:TGID_Y_EN: 1
; COMPUTE_PGM_RSRC2:TGID_Z_EN: 1
; COMPUTE_PGM_RSRC2:TIDIG_COMP_CNT: 2
; COMPUTE_PGM_RSRC3_GFX90A:ACCUM_OFFSET: 25
; COMPUTE_PGM_RSRC3_GFX90A:TG_SPLIT: 0
	.section	.text._ZL9mul_mat_fI15__hip_bfloat162Li64ELi4ELi6ELb0EEvPKT_PKfPKiPfiiiiiiiiiiiiiiii,"axG",@progbits,_ZL9mul_mat_fI15__hip_bfloat162Li64ELi4ELi6ELb0EEvPKT_PKfPKiPfiiiiiiiiiiiiiiii,comdat
	.globl	_ZL9mul_mat_fI15__hip_bfloat162Li64ELi4ELi6ELb0EEvPKT_PKfPKiPfiiiiiiiiiiiiiiii ; -- Begin function _ZL9mul_mat_fI15__hip_bfloat162Li64ELi4ELi6ELb0EEvPKT_PKfPKiPfiiiiiiiiiiiiiiii
	.p2align	8
	.type	_ZL9mul_mat_fI15__hip_bfloat162Li64ELi4ELi6ELb0EEvPKT_PKfPKiPfiiiiiiiiiiiiiiii,@function
_ZL9mul_mat_fI15__hip_bfloat162Li64ELi4ELi6ELb0EEvPKT_PKfPKiPfiiiiiiiiiiiiiiii: ; @_ZL9mul_mat_fI15__hip_bfloat162Li64ELi4ELi6ELb0EEvPKT_PKfPKiPfiiiiiiiiiiiiiiii
; %bb.0:
	s_load_dwordx8 s[12:19], s[4:5], 0x40
	s_load_dword s9, s[4:5], 0x20
	s_load_dwordx4 s[0:3], s[4:5], 0x2c
	v_bfe_u32 v86, v0, 10, 10
	v_lshlrev_b32_e32 v89, 6, v86
	v_and_b32_e32 v87, 0x3ff, v0
	s_waitcnt lgkmcnt(0)
	s_abs_i32 s27, s12
	s_abs_i32 s26, s16
	v_cvt_f32_u32_e32 v1, s27
	v_cvt_f32_u32_e32 v2, s26
	v_add_u32_e32 v91, v89, v87
	s_mov_b32 s22, 0
	v_rcp_iflag_f32_e32 v1, v1
	v_rcp_iflag_f32_e32 v2, v2
	s_ashr_i32 s28, s8, 31
	v_cmp_le_i32_e32 vcc, s9, v91
	v_mul_f32_e32 v1, 0x4f7ffffe, v1
	v_mul_f32_e32 v2, 0x4f7ffffe, v2
	v_cvt_u32_f32_e32 v1, v1
	v_cvt_u32_f32_e32 v2, v2
	v_and_b32_e32 v90, 15, v87
	v_readfirstlane_b32 s21, v1
	v_readfirstlane_b32 s20, v2
	s_and_saveexec_b64 s[10:11], vcc
	s_xor_b64 s[10:11], exec, s[10:11]
; %bb.1:
	v_and_b32_e32 v90, 15, v87
                                        ; implicit-def: $vgpr91
; %bb.2:
	s_or_saveexec_b64 s[24:25], s[10:11]
	s_load_dwordx2 s[10:11], s[4:5], 0x18
	s_lshl_b32 s3, s6, 6
	v_mov_b32_e32 v7, s22
	v_lshlrev_b32_e32 v88, 2, v87
	v_mov_b32_e32 v6, s22
	v_mov_b32_e32 v5, s22
	;; [unrolled: 1-line block ×15, first 2 shown]
	s_xor_b64 exec, exec, s[24:25]
	s_cbranch_execz .LBB140_38
; %bb.3:
	s_sub_i32 s6, 0, s27
	s_sub_i32 s22, 0, s26
	s_mul_i32 s6, s6, s21
	s_mul_i32 s22, s22, s20
	s_mul_hi_u32 s6, s21, s6
	s_mul_hi_u32 s22, s20, s22
	s_abs_i32 s29, s7
	s_add_i32 s6, s21, s6
	s_add_i32 s31, s20, s22
	s_load_dwordx4 s[20:23], s[4:5], 0x0
	s_mul_hi_u32 s4, s29, s6
	s_ashr_i32 s6, s7, 31
	s_ashr_i32 s12, s12, 31
	s_xor_b32 s6, s6, s12
	s_mul_i32 s12, s4, s27
	s_abs_i32 s30, s8
	s_sub_i32 s12, s29, s12
	s_mul_hi_u32 s5, s30, s31
	s_ashr_i32 s16, s16, 31
	s_add_i32 s29, s4, 1
	s_sub_i32 s31, s12, s27
	s_cmp_ge_u32 s12, s27
	s_cselect_b32 s4, s29, s4
	s_cselect_b32 s12, s31, s12
	s_add_i32 s29, s4, 1
	s_cmp_ge_u32 s12, s27
	s_cselect_b32 s4, s29, s4
	s_mul_i32 s12, s5, s26
	s_xor_b32 s4, s4, s6
	s_sub_i32 s12, s30, s12
	s_sub_i32 s6, s4, s6
	s_xor_b32 s4, s28, s16
	s_add_i32 s16, s5, 1
	s_sub_i32 s27, s12, s26
	s_cmp_ge_u32 s12, s26
	s_cselect_b32 s5, s16, s5
	s_cselect_b32 s12, s27, s12
	s_add_i32 s16, s5, 1
	s_cmp_ge_u32 s12, s26
	s_cselect_b32 s5, s16, s5
	s_xor_b32 s5, s5, s4
	s_sub_i32 s4, s5, s4
	s_mul_hi_i32 s5, s4, s17
	s_mul_i32 s4, s4, s17
	s_mul_i32 s12, s6, s13
	s_ashr_i32 s13, s12, 31
	s_lshl_b64 s[26:27], s[4:5], 2
	s_mul_i32 s16, s3, s0
	s_waitcnt lgkmcnt(0)
	s_add_u32 s6, s20, s26
	s_addc_u32 s29, s21, s27
	s_ashr_i32 s17, s16, 31
	s_lshl_b64 s[16:17], s[16:17], 2
	s_lshl_b64 s[12:13], s[12:13], 2
	s_add_u32 s30, s12, s16
	s_addc_u32 s31, s13, s17
	s_mul_i32 s28, s7, s14
	s_add_u32 s6, s30, s6
	s_mul_hi_i32 s5, s18, s8
	s_mul_i32 s4, s18, s8
	s_addc_u32 s76, s31, s29
	s_ashr_i32 s29, s28, 31
	s_lshl_b64 s[16:17], s[4:5], 2
	s_lshl_b64 s[4:5], s[28:29], 2
	s_add_u32 s22, s22, s4
	s_addc_u32 s23, s23, s5
	s_add_u32 s14, s22, s16
	s_movk_i32 s4, 0x1080
	s_addc_u32 s18, s23, s17
	v_mad_u32_u24 v0, v86, s4, 0
	s_ashr_i32 s5, s0, 31
	s_mov_b32 s4, s0
	v_lshrrev_b32_e32 v2, 1, v87
	s_ashr_i32 s13, s1, 31
	s_lshl_b64 s[4:5], s[4:5], 2
	v_mul_u32_u24_e32 v1, 0x108, v90
	v_and_b32_e32 v2, 0x1f8, v2
	s_add_u32 s26, s30, s26
	v_add_u32_e32 v92, v0, v88
	v_add3_u32 v93, v0, v1, v2
	v_lshlrev_b32_e32 v0, 8, v86
	s_addc_u32 s27, s31, s27
	v_mov_b32_e32 v1, s27
	v_add_co_u32_e32 v0, vcc, s26, v0
	v_addc_co_u32_e32 v1, vcc, 0, v1, vcc
	v_add_co_u32_e32 v0, vcc, v0, v88
	v_addc_co_u32_e32 v1, vcc, 0, v1, vcc
	v_mov_b32_e32 v2, s21
	v_add_co_u32_e32 v16, vcc, s20, v0
	v_addc_co_u32_e32 v17, vcc, v2, v1, vcc
	v_lshlrev_b32_e32 v0, 9, v86
	v_mov_b32_e32 v1, s17
	v_add_co_u32_e32 v0, vcc, s16, v0
	v_addc_co_u32_e32 v1, vcc, 0, v1, vcc
	v_lshlrev_b32_e32 v2, 3, v87
	v_add_co_u32_e32 v0, vcc, v0, v2
	v_addc_co_u32_e32 v1, vcc, 0, v1, vcc
	s_mov_b32 s12, s1
	v_mov_b32_e32 v2, s23
	v_add_co_u32_e32 v18, vcc, s22, v0
	v_mov_b32_e32 v95, 0
	s_lshl_b64 s[12:13], s[12:13], 3
	v_addc_co_u32_e32 v19, vcc, v2, v1, vcc
	s_mul_i32 s20, s0, 63
	s_lshl_b32 s21, s1, 1
	s_mul_i32 s22, s1, 3
	s_lshl_b32 s23, s0, 1
	s_mul_i32 s26, s0, 3
	s_lshl_b32 s27, s0, 2
	s_mul_i32 s28, s0, 5
	s_mul_i32 s29, s0, 6
	;; [unrolled: 1-line block ×3, first 2 shown]
	s_lshl_b32 s31, s0, 3
	s_mul_i32 s33, s0, 9
	s_mul_i32 s34, s0, 10
	;; [unrolled: 1-line block ×7, first 2 shown]
	s_lshl_b32 s40, s0, 4
	s_mul_i32 s41, s0, 17
	s_mul_i32 s42, s0, 18
	;; [unrolled: 1-line block ×15, first 2 shown]
	s_lshl_b32 s56, s0, 5
	s_mul_i32 s57, s0, 33
	s_mul_i32 s58, s0, 34
	;; [unrolled: 1-line block ×19, first 2 shown]
	v_mov_b32_e32 v94, s76
	s_mul_i32 s76, s0, 52
	v_mov_b32_e32 v96, s5
	v_mov_b32_e32 v12, 0
	;; [unrolled: 1-line block ×17, first 2 shown]
	s_mul_i32 s5, s0, 53
	s_mul_i32 s77, s0, 54
	;; [unrolled: 1-line block ×10, first 2 shown]
	s_mov_b32 s86, 0x7f800000
	s_movk_i32 s87, 0x7fff
	s_mov_b32 s88, 0x7060302
	s_mov_b64 s[0:1], 0
	s_branch .LBB140_5
.LBB140_4:                              ;   in Loop: Header=BB140_5 Depth=1
	s_or_b64 exec, exec, s[16:17]
	v_perm_b32 v84, v98, v97, s88
	v_add_u32_e32 v85, 0x200, v92
	ds_write2_b32 v85, v84, v95 offset0:70 offset1:136
	v_add_u32_e32 v84, 0x400, v92
	ds_write2_b32 v84, v95, v95 offset0:74 offset1:140
	;; [unrolled: 2-line block ×6, first 2 shown]
	ds_write_b32 v92, v95 offset:3960
	ds_read2_b64 v[98:101], v93 offset1:4
	s_waitcnt lgkmcnt(0)
	v_mfma_f32_16x16x16bf16_1k v[4:7], v[36:37], v[98:99], v[4:7]
	v_add_co_u32_e32 v16, vcc, 0x600, v16
	v_addc_co_u32_e32 v17, vcc, 0, v17, vcc
	v_add_co_u32_e32 v18, vcc, 0xc00, v18
	v_add_u32_e32 v91, 0x180, v91
	v_mfma_f32_16x16x16bf16_1k v[0:3], v[54:55], v[98:99], v[0:3]
	v_addc_co_u32_e32 v19, vcc, 0, v19, vcc
	v_cmp_le_i32_e32 vcc, s9, v91
	s_or_b64 s[0:1], vcc, s[0:1]
	v_mfma_f32_16x16x16bf16_1k v[8:11], v[68:69], v[98:99], v[8:11]
	v_mfma_f32_16x16x16bf16_1k v[12:15], v[82:83], v[98:99], v[12:15]
	;; [unrolled: 1-line block ×4, first 2 shown]
	ds_read2_b64 v[52:55], v93 offset0:8 offset1:12
	v_mfma_f32_16x16x16bf16_1k v[8:11], v[66:67], v[100:101], v[8:11]
	v_mfma_f32_16x16x16bf16_1k v[12:15], v[80:81], v[100:101], v[12:15]
	s_waitcnt lgkmcnt(0)
	v_mfma_f32_16x16x16bf16_1k v[4:7], v[30:31], v[52:53], v[4:7]
	v_mfma_f32_16x16x16bf16_1k v[0:3], v[50:51], v[52:53], v[0:3]
	;; [unrolled: 1-line block ×5, first 2 shown]
	ds_read2_b64 v[28:31], v93 offset0:16 offset1:20
	v_mfma_f32_16x16x16bf16_1k v[0:3], v[48:49], v[54:55], v[0:3]
	v_mfma_f32_16x16x16bf16_1k v[8:11], v[62:63], v[54:55], v[8:11]
	v_mfma_f32_16x16x16bf16_1k v[12:15], v[76:77], v[54:55], v[12:15]
	s_waitcnt lgkmcnt(0)
	v_mfma_f32_16x16x16bf16_1k v[4:7], v[26:27], v[28:29], v[4:7]
	v_mfma_f32_16x16x16bf16_1k v[0:3], v[44:45], v[28:29], v[0:3]
	;; [unrolled: 1-line block ×5, first 2 shown]
	ds_read2_b64 v[24:27], v93 offset0:24 offset1:28
	v_mfma_f32_16x16x16bf16_1k v[0:3], v[42:43], v[30:31], v[0:3]
	v_mfma_f32_16x16x16bf16_1k v[8:11], v[58:59], v[30:31], v[8:11]
	;; [unrolled: 1-line block ×3, first 2 shown]
	s_waitcnt lgkmcnt(0)
	v_mfma_f32_16x16x16bf16_1k v[4:7], v[22:23], v[24:25], v[4:7]
	v_mfma_f32_16x16x16bf16_1k v[0:3], v[40:41], v[24:25], v[0:3]
	;; [unrolled: 1-line block ×8, first 2 shown]
	s_andn2_b64 exec, exec, s[0:1]
	s_cbranch_execz .LBB140_37
.LBB140_5:                              ; =>This Inner Loop Header: Depth=1
	v_add_co_u32_e32 v20, vcc, s4, v16
	v_addc_co_u32_e32 v21, vcc, v17, v96, vcc
	global_load_dword v34, v[16:17], off
	global_load_dword v35, v[20:21], off
	v_add_u32_e32 v20, s23, v91
	v_ashrrev_i32_e32 v21, 31, v20
	v_lshlrev_b64 v[20:21], 2, v[20:21]
	v_add_u32_e32 v22, s26, v91
	v_add_co_u32_e32 v20, vcc, s6, v20
	v_ashrrev_i32_e32 v23, 31, v22
	v_addc_co_u32_e32 v21, vcc, v94, v21, vcc
	v_lshlrev_b64 v[22:23], 2, v[22:23]
	v_add_u32_e32 v24, s27, v91
	v_add_co_u32_e32 v22, vcc, s6, v22
	v_ashrrev_i32_e32 v25, 31, v24
	v_addc_co_u32_e32 v23, vcc, v94, v23, vcc
	;; [unrolled: 5-line block ×6, first 2 shown]
	v_lshlrev_b64 v[32:33], 2, v[32:33]
	v_add_co_u32_e32 v32, vcc, s6, v32
	v_addc_co_u32_e32 v33, vcc, v94, v33, vcc
	global_load_dword v36, v[20:21], off
	global_load_dword v37, v[22:23], off
	s_nop 0
	global_load_dword v24, v[24:25], off
	s_nop 0
	;; [unrolled: 2-line block ×3, first 2 shown]
	global_load_dword v26, v[28:29], off
	global_load_dword v27, v[30:31], off
	s_nop 0
	global_load_dword v28, v[32:33], off
	v_add_u32_e32 v20, s33, v91
	v_ashrrev_i32_e32 v21, 31, v20
	v_lshlrev_b64 v[20:21], 2, v[20:21]
	v_add_u32_e32 v22, s34, v91
	v_add_co_u32_e32 v20, vcc, s6, v20
	v_ashrrev_i32_e32 v23, 31, v22
	v_addc_co_u32_e32 v21, vcc, v94, v21, vcc
	v_lshlrev_b64 v[22:23], 2, v[22:23]
	global_load_dword v20, v[20:21], off
	v_add_co_u32_e32 v22, vcc, s6, v22
	v_addc_co_u32_e32 v23, vcc, v94, v23, vcc
	v_add_u32_e32 v30, s38, v91
	v_ashrrev_i32_e32 v31, 31, v30
	v_lshlrev_b64 v[30:31], 2, v[30:31]
	v_add_u32_e32 v32, s39, v91
	v_ashrrev_i32_e32 v33, 31, v32
	v_lshlrev_b64 v[32:33], 2, v[32:33]
	;; [unrolled: 3-line block ×6, first 2 shown]
	s_waitcnt vmcnt(9)
	ds_write_b32 v92, v34
	s_waitcnt vmcnt(8)
	ds_write_b32 v92, v35 offset:264
	s_waitcnt vmcnt(7)
	ds_write_b32 v92, v36 offset:528
	;; [unrolled: 2-line block ×8, first 2 shown]
	v_add_u32_e32 v24, s35, v91
	v_ashrrev_i32_e32 v25, 31, v24
	v_lshlrev_b64 v[24:25], 2, v[24:25]
	v_add_u32_e32 v26, s36, v91
	v_add_co_u32_e32 v24, vcc, s6, v24
	v_ashrrev_i32_e32 v27, 31, v26
	v_addc_co_u32_e32 v25, vcc, v94, v25, vcc
	v_lshlrev_b64 v[26:27], 2, v[26:27]
	v_add_u32_e32 v28, s37, v91
	v_add_co_u32_e32 v26, vcc, s6, v26
	v_ashrrev_i32_e32 v29, 31, v28
	v_addc_co_u32_e32 v27, vcc, v94, v27, vcc
	v_lshlrev_b64 v[28:29], 2, v[28:29]
	v_add_co_u32_e32 v28, vcc, s6, v28
	v_addc_co_u32_e32 v29, vcc, v94, v29, vcc
	v_add_co_u32_e32 v30, vcc, s6, v30
	v_addc_co_u32_e32 v31, vcc, v94, v31, vcc
	v_add_u32_e32 v34, s40, v91
	v_add_co_u32_e32 v32, vcc, s6, v32
	v_ashrrev_i32_e32 v35, 31, v34
	v_addc_co_u32_e32 v33, vcc, v94, v33, vcc
	v_lshlrev_b64 v[34:35], 2, v[34:35]
	v_add_u32_e32 v36, s41, v91
	v_add_co_u32_e32 v34, vcc, s6, v34
	v_ashrrev_i32_e32 v37, 31, v36
	v_addc_co_u32_e32 v35, vcc, v94, v35, vcc
	v_lshlrev_b64 v[36:37], 2, v[36:37]
	v_add_co_u32_e32 v36, vcc, s6, v36
	v_addc_co_u32_e32 v37, vcc, v94, v37, vcc
	global_load_dword v21, v[22:23], off
	s_nop 0
	global_load_dword v22, v[24:25], off
	global_load_dword v23, v[26:27], off
	s_nop 0
	global_load_dword v24, v[28:29], off
	global_load_dword v25, v[30:31], off
	;; [unrolled: 1-line block ×3, first 2 shown]
	s_nop 0
	global_load_dword v34, v[34:35], off
	s_nop 0
	global_load_dword v35, v[36:37], off
	v_add_u32_e32 v28, s42, v91
	v_ashrrev_i32_e32 v29, 31, v28
	v_lshlrev_b64 v[28:29], 2, v[28:29]
	v_add_u32_e32 v30, s43, v91
	v_add_co_u32_e32 v28, vcc, s6, v28
	v_ashrrev_i32_e32 v31, 31, v30
	v_addc_co_u32_e32 v29, vcc, v94, v29, vcc
	v_lshlrev_b64 v[30:31], 2, v[30:31]
	v_add_u32_e32 v32, s44, v91
	v_add_co_u32_e32 v30, vcc, s6, v30
	v_ashrrev_i32_e32 v33, 31, v32
	v_addc_co_u32_e32 v31, vcc, v94, v31, vcc
	;; [unrolled: 5-line block ×3, first 2 shown]
	v_lshlrev_b64 v[36:37], 2, v[36:37]
	v_add_co_u32_e32 v36, vcc, s6, v36
	v_addc_co_u32_e32 v37, vcc, v94, v37, vcc
	v_add_co_u32_e32 v38, vcc, s6, v38
	v_addc_co_u32_e32 v39, vcc, v94, v39, vcc
	;; [unrolled: 2-line block ×5, first 2 shown]
	global_load_dword v46, v[28:29], off
	global_load_dword v47, v[30:31], off
	global_load_dword v48, v[32:33], off
	global_load_dword v49, v[36:37], off
	global_load_dword v50, v[38:39], off
	global_load_dword v51, v[40:41], off
	global_load_dword v52, v[42:43], off
	global_load_dword v53, v[44:45], off
	v_add_u32_e32 v28, s50, v91
	v_ashrrev_i32_e32 v29, 31, v28
	v_lshlrev_b64 v[28:29], 2, v[28:29]
	v_add_u32_e32 v30, s51, v91
	v_add_co_u32_e32 v28, vcc, s6, v28
	v_ashrrev_i32_e32 v31, 31, v30
	v_addc_co_u32_e32 v29, vcc, v94, v29, vcc
	v_lshlrev_b64 v[30:31], 2, v[30:31]
	v_add_u32_e32 v32, s52, v91
	v_add_co_u32_e32 v30, vcc, s6, v30
	v_ashrrev_i32_e32 v33, 31, v32
	v_addc_co_u32_e32 v31, vcc, v94, v31, vcc
	v_lshlrev_b64 v[32:33], 2, v[32:33]
	v_add_u32_e32 v36, s53, v91
	v_add_co_u32_e32 v32, vcc, s6, v32
	v_ashrrev_i32_e32 v37, 31, v36
	v_addc_co_u32_e32 v33, vcc, v94, v33, vcc
	v_lshlrev_b64 v[36:37], 2, v[36:37]
	v_add_u32_e32 v38, s54, v91
	v_add_co_u32_e32 v36, vcc, s6, v36
	v_ashrrev_i32_e32 v39, 31, v38
	v_addc_co_u32_e32 v37, vcc, v94, v37, vcc
	v_lshlrev_b64 v[38:39], 2, v[38:39]
	v_add_u32_e32 v40, s55, v91
	v_add_co_u32_e32 v38, vcc, s6, v38
	v_ashrrev_i32_e32 v41, 31, v40
	v_addc_co_u32_e32 v39, vcc, v94, v39, vcc
	v_lshlrev_b64 v[40:41], 2, v[40:41]
	v_add_u32_e32 v42, s56, v91
	v_add_co_u32_e32 v40, vcc, s6, v40
	v_ashrrev_i32_e32 v43, 31, v42
	v_addc_co_u32_e32 v41, vcc, v94, v41, vcc
	v_lshlrev_b64 v[42:43], 2, v[42:43]
	v_add_u32_e32 v44, s57, v91
	v_add_co_u32_e32 v42, vcc, s6, v42
	v_ashrrev_i32_e32 v45, 31, v44
	v_addc_co_u32_e32 v43, vcc, v94, v43, vcc
	v_lshlrev_b64 v[44:45], 2, v[44:45]
	v_add_co_u32_e32 v44, vcc, s6, v44
	v_addc_co_u32_e32 v45, vcc, v94, v45, vcc
	global_load_dword v54, v[28:29], off
	global_load_dword v55, v[30:31], off
	global_load_dword v56, v[32:33], off
	global_load_dword v57, v[36:37], off
	global_load_dword v58, v[38:39], off
	global_load_dword v59, v[40:41], off
	global_load_dword v60, v[42:43], off
	global_load_dword v61, v[44:45], off
	v_add_u32_e32 v28, s58, v91
	v_ashrrev_i32_e32 v29, 31, v28
	v_lshlrev_b64 v[28:29], 2, v[28:29]
	v_add_u32_e32 v30, s59, v91
	v_add_co_u32_e32 v28, vcc, s6, v28
	v_ashrrev_i32_e32 v31, 31, v30
	v_addc_co_u32_e32 v29, vcc, v94, v29, vcc
	v_lshlrev_b64 v[30:31], 2, v[30:31]
	v_add_u32_e32 v32, s60, v91
	v_add_co_u32_e32 v30, vcc, s6, v30
	v_ashrrev_i32_e32 v33, 31, v32
	v_addc_co_u32_e32 v31, vcc, v94, v31, vcc
	v_lshlrev_b64 v[32:33], 2, v[32:33]
	v_add_u32_e32 v36, s61, v91
	v_add_co_u32_e32 v32, vcc, s6, v32
	v_ashrrev_i32_e32 v37, 31, v36
	v_addc_co_u32_e32 v33, vcc, v94, v33, vcc
	v_lshlrev_b64 v[36:37], 2, v[36:37]
	v_add_u32_e32 v38, s62, v91
	v_add_co_u32_e32 v36, vcc, s6, v36
	v_ashrrev_i32_e32 v39, 31, v38
	v_addc_co_u32_e32 v37, vcc, v94, v37, vcc
	v_lshlrev_b64 v[38:39], 2, v[38:39]
	v_add_u32_e32 v40, s63, v91
	v_add_co_u32_e32 v38, vcc, s6, v38
	v_ashrrev_i32_e32 v41, 31, v40
	v_addc_co_u32_e32 v39, vcc, v94, v39, vcc
	v_lshlrev_b64 v[40:41], 2, v[40:41]
	v_add_u32_e32 v42, s64, v91
	v_add_co_u32_e32 v40, vcc, s6, v40
	v_ashrrev_i32_e32 v43, 31, v42
	v_addc_co_u32_e32 v41, vcc, v94, v41, vcc
	v_lshlrev_b64 v[42:43], 2, v[42:43]
	v_add_u32_e32 v44, s65, v91
	v_add_co_u32_e32 v42, vcc, s6, v42
	v_ashrrev_i32_e32 v45, 31, v44
	v_addc_co_u32_e32 v43, vcc, v94, v43, vcc
	v_lshlrev_b64 v[44:45], 2, v[44:45]
	v_add_co_u32_e32 v44, vcc, s6, v44
	v_addc_co_u32_e32 v45, vcc, v94, v45, vcc
	global_load_dword v62, v[28:29], off
	global_load_dword v63, v[30:31], off
	global_load_dword v64, v[32:33], off
	global_load_dword v65, v[36:37], off
	global_load_dword v66, v[38:39], off
	global_load_dword v67, v[40:41], off
	global_load_dword v68, v[42:43], off
	global_load_dword v69, v[44:45], off
	v_add_u32_e32 v28, s66, v91
	v_ashrrev_i32_e32 v29, 31, v28
	v_lshlrev_b64 v[28:29], 2, v[28:29]
	v_add_u32_e32 v30, s67, v91
	v_add_co_u32_e32 v28, vcc, s6, v28
	v_ashrrev_i32_e32 v31, 31, v30
	v_addc_co_u32_e32 v29, vcc, v94, v29, vcc
	v_lshlrev_b64 v[30:31], 2, v[30:31]
	v_add_u32_e32 v32, s68, v91
	v_add_co_u32_e32 v30, vcc, s6, v30
	v_ashrrev_i32_e32 v33, 31, v32
	v_addc_co_u32_e32 v31, vcc, v94, v31, vcc
	v_lshlrev_b64 v[32:33], 2, v[32:33]
	v_add_u32_e32 v36, s69, v91
	v_add_co_u32_e32 v32, vcc, s6, v32
	v_ashrrev_i32_e32 v37, 31, v36
	v_addc_co_u32_e32 v33, vcc, v94, v33, vcc
	v_lshlrev_b64 v[36:37], 2, v[36:37]
	v_add_u32_e32 v38, s70, v91
	v_add_co_u32_e32 v36, vcc, s6, v36
	v_ashrrev_i32_e32 v39, 31, v38
	v_addc_co_u32_e32 v37, vcc, v94, v37, vcc
	v_lshlrev_b64 v[38:39], 2, v[38:39]
	v_add_u32_e32 v40, s71, v91
	v_add_co_u32_e32 v38, vcc, s6, v38
	v_ashrrev_i32_e32 v41, 31, v40
	v_addc_co_u32_e32 v39, vcc, v94, v39, vcc
	v_lshlrev_b64 v[40:41], 2, v[40:41]
	v_add_u32_e32 v42, s72, v91
	v_add_co_u32_e32 v40, vcc, s6, v40
	v_ashrrev_i32_e32 v43, 31, v42
	v_addc_co_u32_e32 v41, vcc, v94, v41, vcc
	v_lshlrev_b64 v[42:43], 2, v[42:43]
	v_add_u32_e32 v44, s73, v91
	v_add_co_u32_e32 v42, vcc, s6, v42
	v_ashrrev_i32_e32 v45, 31, v44
	v_addc_co_u32_e32 v43, vcc, v94, v43, vcc
	v_lshlrev_b64 v[44:45], 2, v[44:45]
	v_add_co_u32_e32 v44, vcc, s6, v44
	v_addc_co_u32_e32 v45, vcc, v94, v45, vcc
	global_load_dword v70, v[28:29], off
	global_load_dword v71, v[30:31], off
	global_load_dword v72, v[32:33], off
	global_load_dword v73, v[36:37], off
	global_load_dword v74, v[38:39], off
	global_load_dword v75, v[40:41], off
	global_load_dword v76, v[42:43], off
	global_load_dword v77, v[44:45], off
	v_add_u32_e32 v28, s74, v91
	v_ashrrev_i32_e32 v29, 31, v28
	v_lshlrev_b64 v[28:29], 2, v[28:29]
	v_add_u32_e32 v30, s75, v91
	v_add_co_u32_e32 v28, vcc, s6, v28
	v_ashrrev_i32_e32 v31, 31, v30
	v_addc_co_u32_e32 v29, vcc, v94, v29, vcc
	v_lshlrev_b64 v[30:31], 2, v[30:31]
	v_add_u32_e32 v32, s76, v91
	v_add_co_u32_e32 v30, vcc, s6, v30
	v_ashrrev_i32_e32 v33, 31, v32
	v_addc_co_u32_e32 v31, vcc, v94, v31, vcc
	v_lshlrev_b64 v[32:33], 2, v[32:33]
	v_add_u32_e32 v36, s5, v91
	v_add_co_u32_e32 v32, vcc, s6, v32
	v_ashrrev_i32_e32 v37, 31, v36
	v_addc_co_u32_e32 v33, vcc, v94, v33, vcc
	v_lshlrev_b64 v[36:37], 2, v[36:37]
	v_add_u32_e32 v38, s77, v91
	v_add_co_u32_e32 v36, vcc, s6, v36
	v_ashrrev_i32_e32 v39, 31, v38
	v_addc_co_u32_e32 v37, vcc, v94, v37, vcc
	v_lshlrev_b64 v[38:39], 2, v[38:39]
	v_add_u32_e32 v40, s78, v91
	v_add_co_u32_e32 v38, vcc, s6, v38
	v_ashrrev_i32_e32 v41, 31, v40
	v_addc_co_u32_e32 v39, vcc, v94, v39, vcc
	v_lshlrev_b64 v[40:41], 2, v[40:41]
	v_add_u32_e32 v42, s79, v91
	v_add_co_u32_e32 v40, vcc, s6, v40
	v_ashrrev_i32_e32 v43, 31, v42
	v_addc_co_u32_e32 v41, vcc, v94, v41, vcc
	v_lshlrev_b64 v[42:43], 2, v[42:43]
	v_add_u32_e32 v44, s80, v91
	v_add_co_u32_e32 v42, vcc, s6, v42
	v_ashrrev_i32_e32 v45, 31, v44
	v_addc_co_u32_e32 v43, vcc, v94, v43, vcc
	v_lshlrev_b64 v[44:45], 2, v[44:45]
	v_add_co_u32_e32 v44, vcc, s6, v44
	v_addc_co_u32_e32 v45, vcc, v94, v45, vcc
	global_load_dword v78, v[28:29], off
	global_load_dword v79, v[30:31], off
	;; [unrolled: 1-line block ×8, first 2 shown]
	v_add_u32_e32 v28, s81, v91
	v_ashrrev_i32_e32 v29, 31, v28
	v_lshlrev_b64 v[28:29], 2, v[28:29]
	v_add_u32_e32 v30, s82, v91
	v_add_co_u32_e32 v28, vcc, s6, v28
	v_ashrrev_i32_e32 v31, 31, v30
	v_addc_co_u32_e32 v29, vcc, v94, v29, vcc
	v_lshlrev_b64 v[30:31], 2, v[30:31]
	v_add_u32_e32 v32, s83, v91
	v_add_co_u32_e32 v30, vcc, s6, v30
	v_ashrrev_i32_e32 v33, 31, v32
	v_addc_co_u32_e32 v31, vcc, v94, v31, vcc
	v_lshlrev_b64 v[32:33], 2, v[32:33]
	v_add_u32_e32 v36, s84, v91
	v_add_co_u32_e32 v32, vcc, s6, v32
	v_ashrrev_i32_e32 v37, 31, v36
	v_addc_co_u32_e32 v33, vcc, v94, v33, vcc
	v_lshlrev_b64 v[36:37], 2, v[36:37]
	v_add_u32_e32 v38, s85, v91
	v_add_co_u32_e32 v36, vcc, s6, v36
	v_ashrrev_i32_e32 v39, 31, v38
	v_addc_co_u32_e32 v37, vcc, v94, v37, vcc
	v_lshlrev_b64 v[38:39], 2, v[38:39]
	v_add_u32_e32 v40, s20, v91
	v_add_co_u32_e32 v38, vcc, s6, v38
	v_ashrrev_i32_e32 v41, 31, v40
	v_addc_co_u32_e32 v39, vcc, v94, v39, vcc
	v_lshlrev_b64 v[40:41], 2, v[40:41]
	v_add_co_u32_e32 v40, vcc, s6, v40
	v_addc_co_u32_e32 v41, vcc, v94, v41, vcc
	global_load_dword v99, v[28:29], off
	global_load_dword v100, v[30:31], off
	;; [unrolled: 1-line block ×6, first 2 shown]
	s_waitcnt vmcnt(54)
	ds_write_b32 v92, v20 offset:2376
	s_waitcnt vmcnt(53)
	ds_write_b32 v92, v21 offset:2640
	;; [unrolled: 2-line block ×7, first 2 shown]
	global_load_dwordx2 v[84:85], v[18:19], off
	ds_read_b64 v[36:37], v93
	ds_read_b64 v[32:33], v93 offset:32
	ds_read_b64 v[30:31], v93 offset:64
	ds_read_b64 v[28:29], v93 offset:96
	ds_read_b64 v[26:27], v93 offset:128
	ds_read_b64 v[24:25], v93 offset:160
	ds_read_b64 v[22:23], v93 offset:192
	ds_read_b64 v[20:21], v93 offset:224
	s_waitcnt vmcnt(48)
	ds_write_b32 v92, v34
	s_waitcnt vmcnt(47)
	ds_write_b32 v92, v35 offset:264
	s_waitcnt vmcnt(46)
	ds_write_b32 v92, v46 offset:528
	s_waitcnt vmcnt(45)
	ds_write_b32 v92, v47 offset:792
	s_waitcnt vmcnt(44)
	ds_write_b32 v92, v48 offset:1056
	s_waitcnt vmcnt(43)
	ds_write_b32 v92, v49 offset:1320
	s_waitcnt vmcnt(42)
	ds_write_b32 v92, v50 offset:1584
	s_waitcnt vmcnt(41)
	ds_write_b32 v92, v51 offset:1848
	s_waitcnt vmcnt(40)
	ds_write_b32 v92, v52 offset:2112
	s_waitcnt vmcnt(39)
	ds_write_b32 v92, v53 offset:2376
	s_waitcnt vmcnt(38)
	ds_write_b32 v92, v54 offset:2640
	s_waitcnt vmcnt(37)
	ds_write_b32 v92, v55 offset:2904
	s_waitcnt vmcnt(36)
	ds_write_b32 v92, v56 offset:3168
	s_waitcnt vmcnt(35)
	ds_write_b32 v92, v57 offset:3432
	s_waitcnt vmcnt(34)
	ds_write_b32 v92, v58 offset:3696
	s_waitcnt vmcnt(33)
	ds_write_b32 v92, v59 offset:3960
	ds_read_b64 v[54:55], v93
	ds_read_b64 v[52:53], v93 offset:32
	ds_read_b64 v[50:51], v93 offset:64
	ds_read_b64 v[48:49], v93 offset:96
	ds_read_b64 v[44:45], v93 offset:128
	ds_read_b64 v[42:43], v93 offset:160
	ds_read_b64 v[40:41], v93 offset:192
	ds_read_b64 v[34:35], v93 offset:224
	s_waitcnt vmcnt(32)
	ds_write_b32 v92, v60
	s_waitcnt vmcnt(31)
	ds_write_b32 v92, v61 offset:264
	s_waitcnt vmcnt(30)
	ds_write_b32 v92, v62 offset:528
	s_waitcnt vmcnt(29)
	ds_write_b32 v92, v63 offset:792
	s_waitcnt vmcnt(28)
	ds_write_b32 v92, v64 offset:1056
	s_waitcnt vmcnt(27)
	ds_write_b32 v92, v65 offset:1320
	s_waitcnt vmcnt(26)
	ds_write_b32 v92, v66 offset:1584
	s_waitcnt vmcnt(25)
	ds_write_b32 v92, v67 offset:1848
	s_waitcnt vmcnt(24)
	ds_write_b32 v92, v68 offset:2112
	s_waitcnt vmcnt(23)
	ds_write_b32 v92, v69 offset:2376
	s_waitcnt vmcnt(22)
	ds_write_b32 v92, v70 offset:2640
	s_waitcnt vmcnt(21)
	ds_write_b32 v92, v71 offset:2904
	s_waitcnt vmcnt(20)
	ds_write_b32 v92, v72 offset:3168
	s_waitcnt vmcnt(19)
	ds_write_b32 v92, v73 offset:3432
	s_waitcnt vmcnt(18)
	ds_write_b32 v92, v74 offset:3696
	s_waitcnt vmcnt(17)
	ds_write_b32 v92, v75 offset:3960
	;; [unrolled: 40-line block ×3, first 2 shown]
	ds_read_b64 v[82:83], v93
	ds_read_b64 v[80:81], v93 offset:32
	ds_read_b64 v[78:79], v93 offset:64
	;; [unrolled: 1-line block ×7, first 2 shown]
	s_waitcnt vmcnt(0)
	v_and_b32_e32 v97, 0x7f800000, v84
	v_cmp_ne_u32_e32 vcc, s86, v97
                                        ; implicit-def: $vgpr97
	s_and_saveexec_b64 s[16:17], vcc
	s_xor_b64 s[16:17], exec, s[16:17]
; %bb.6:                                ;   in Loop: Header=BB140_5 Depth=1
	v_bfe_u32 v97, v84, 16, 1
	v_add3_u32 v97, v84, v97, s87
; %bb.7:                                ;   in Loop: Header=BB140_5 Depth=1
	s_andn2_saveexec_b64 s[16:17], s[16:17]
; %bb.8:                                ;   in Loop: Header=BB140_5 Depth=1
	v_or_b32_e32 v97, 0x10000, v84
	v_cmp_eq_u32_sdwa vcc, v84, v95 src0_sel:WORD_0 src1_sel:DWORD
	v_cndmask_b32_e32 v97, v97, v84, vcc
; %bb.9:                                ;   in Loop: Header=BB140_5 Depth=1
	s_or_b64 exec, exec, s[16:17]
	v_and_b32_e32 v84, 0x7f800000, v85
	v_cmp_ne_u32_e32 vcc, s86, v84
                                        ; implicit-def: $vgpr98
	s_and_saveexec_b64 s[16:17], vcc
	s_xor_b64 s[16:17], exec, s[16:17]
; %bb.10:                               ;   in Loop: Header=BB140_5 Depth=1
	v_bfe_u32 v84, v85, 16, 1
	v_add3_u32 v98, v85, v84, s87
                                        ; implicit-def: $vgpr84_vgpr85
; %bb.11:                               ;   in Loop: Header=BB140_5 Depth=1
	s_andn2_saveexec_b64 s[16:17], s[16:17]
; %bb.12:                               ;   in Loop: Header=BB140_5 Depth=1
	v_or_b32_e32 v84, 0x10000, v85
	v_cmp_eq_u32_sdwa vcc, v85, v95 src0_sel:WORD_0 src1_sel:DWORD
	v_cndmask_b32_e32 v98, v84, v85, vcc
; %bb.13:                               ;   in Loop: Header=BB140_5 Depth=1
	s_or_b64 exec, exec, s[16:17]
	v_mov_b32_e32 v85, s13
	v_add_co_u32_e32 v84, vcc, s12, v18
	v_addc_co_u32_e32 v85, vcc, v19, v85, vcc
	global_load_dwordx2 v[84:85], v[84:85], off
	v_perm_b32 v97, v98, v97, s88
	ds_write_b32 v92, v97
	s_waitcnt vmcnt(0)
	v_and_b32_e32 v97, 0x7f800000, v84
	v_cmp_ne_u32_e32 vcc, s86, v97
                                        ; implicit-def: $vgpr97
	s_and_saveexec_b64 s[16:17], vcc
	s_xor_b64 s[16:17], exec, s[16:17]
; %bb.14:                               ;   in Loop: Header=BB140_5 Depth=1
	v_bfe_u32 v97, v84, 16, 1
	v_add3_u32 v97, v84, v97, s87
; %bb.15:                               ;   in Loop: Header=BB140_5 Depth=1
	s_andn2_saveexec_b64 s[16:17], s[16:17]
; %bb.16:                               ;   in Loop: Header=BB140_5 Depth=1
	v_or_b32_e32 v97, 0x10000, v84
	v_cmp_eq_u32_sdwa vcc, v84, v95 src0_sel:WORD_0 src1_sel:DWORD
	v_cndmask_b32_e32 v97, v97, v84, vcc
; %bb.17:                               ;   in Loop: Header=BB140_5 Depth=1
	s_or_b64 exec, exec, s[16:17]
	v_and_b32_e32 v84, 0x7f800000, v85
	v_cmp_ne_u32_e32 vcc, s86, v84
                                        ; implicit-def: $vgpr98
	s_and_saveexec_b64 s[16:17], vcc
	s_xor_b64 s[16:17], exec, s[16:17]
; %bb.18:                               ;   in Loop: Header=BB140_5 Depth=1
	v_bfe_u32 v84, v85, 16, 1
	v_add3_u32 v98, v85, v84, s87
                                        ; implicit-def: $vgpr84_vgpr85
; %bb.19:                               ;   in Loop: Header=BB140_5 Depth=1
	s_andn2_saveexec_b64 s[16:17], s[16:17]
; %bb.20:                               ;   in Loop: Header=BB140_5 Depth=1
	v_or_b32_e32 v84, 0x10000, v85
	v_cmp_eq_u32_sdwa vcc, v85, v95 src0_sel:WORD_0 src1_sel:DWORD
	v_cndmask_b32_e32 v98, v84, v85, vcc
; %bb.21:                               ;   in Loop: Header=BB140_5 Depth=1
	s_or_b64 exec, exec, s[16:17]
	v_add_u32_e32 v84, s21, v91
	v_ashrrev_i32_e32 v85, 31, v84
	v_lshlrev_b64 v[84:85], 3, v[84:85]
	v_mov_b32_e32 v99, s18
	v_add_co_u32_e32 v84, vcc, s14, v84
	v_addc_co_u32_e32 v85, vcc, v99, v85, vcc
	global_load_dwordx2 v[84:85], v[84:85], off
	v_perm_b32 v97, v98, v97, s88
	ds_write_b32 v92, v97 offset:264
	s_waitcnt vmcnt(0)
	v_and_b32_e32 v97, 0x7f800000, v84
	v_cmp_ne_u32_e32 vcc, s86, v97
                                        ; implicit-def: $vgpr97
	s_and_saveexec_b64 s[16:17], vcc
	s_xor_b64 s[16:17], exec, s[16:17]
; %bb.22:                               ;   in Loop: Header=BB140_5 Depth=1
	v_bfe_u32 v97, v84, 16, 1
	v_add3_u32 v97, v84, v97, s87
; %bb.23:                               ;   in Loop: Header=BB140_5 Depth=1
	s_andn2_saveexec_b64 s[16:17], s[16:17]
; %bb.24:                               ;   in Loop: Header=BB140_5 Depth=1
	v_or_b32_e32 v97, 0x10000, v84
	v_cmp_eq_u32_sdwa vcc, v84, v95 src0_sel:WORD_0 src1_sel:DWORD
	v_cndmask_b32_e32 v97, v97, v84, vcc
; %bb.25:                               ;   in Loop: Header=BB140_5 Depth=1
	s_or_b64 exec, exec, s[16:17]
	v_and_b32_e32 v84, 0x7f800000, v85
	v_cmp_ne_u32_e32 vcc, s86, v84
                                        ; implicit-def: $vgpr98
	s_and_saveexec_b64 s[16:17], vcc
	s_xor_b64 s[16:17], exec, s[16:17]
; %bb.26:                               ;   in Loop: Header=BB140_5 Depth=1
	v_bfe_u32 v84, v85, 16, 1
	v_add3_u32 v98, v85, v84, s87
                                        ; implicit-def: $vgpr84_vgpr85
; %bb.27:                               ;   in Loop: Header=BB140_5 Depth=1
	s_andn2_saveexec_b64 s[16:17], s[16:17]
; %bb.28:                               ;   in Loop: Header=BB140_5 Depth=1
	v_or_b32_e32 v84, 0x10000, v85
	v_cmp_eq_u32_sdwa vcc, v85, v95 src0_sel:WORD_0 src1_sel:DWORD
	v_cndmask_b32_e32 v98, v84, v85, vcc
; %bb.29:                               ;   in Loop: Header=BB140_5 Depth=1
	s_or_b64 exec, exec, s[16:17]
	v_add_u32_e32 v84, s22, v91
	v_ashrrev_i32_e32 v85, 31, v84
	v_lshlrev_b64 v[84:85], 3, v[84:85]
	v_mov_b32_e32 v99, s18
	v_add_co_u32_e32 v84, vcc, s14, v84
	v_addc_co_u32_e32 v85, vcc, v99, v85, vcc
	global_load_dwordx2 v[84:85], v[84:85], off
	v_perm_b32 v97, v98, v97, s88
	ds_write_b32 v92, v97 offset:528
	s_waitcnt vmcnt(0)
	v_and_b32_e32 v97, 0x7f800000, v84
	v_cmp_ne_u32_e32 vcc, s86, v97
                                        ; implicit-def: $vgpr97
	s_and_saveexec_b64 s[16:17], vcc
	s_xor_b64 s[16:17], exec, s[16:17]
; %bb.30:                               ;   in Loop: Header=BB140_5 Depth=1
	v_bfe_u32 v97, v84, 16, 1
	v_add3_u32 v97, v84, v97, s87
; %bb.31:                               ;   in Loop: Header=BB140_5 Depth=1
	s_andn2_saveexec_b64 s[16:17], s[16:17]
; %bb.32:                               ;   in Loop: Header=BB140_5 Depth=1
	v_or_b32_e32 v97, 0x10000, v84
	v_cmp_eq_u32_sdwa vcc, v84, v95 src0_sel:WORD_0 src1_sel:DWORD
	v_cndmask_b32_e32 v97, v97, v84, vcc
; %bb.33:                               ;   in Loop: Header=BB140_5 Depth=1
	s_or_b64 exec, exec, s[16:17]
	v_and_b32_e32 v84, 0x7f800000, v85
	v_cmp_ne_u32_e32 vcc, s86, v84
                                        ; implicit-def: $vgpr98
	s_and_saveexec_b64 s[16:17], vcc
	s_xor_b64 s[16:17], exec, s[16:17]
; %bb.34:                               ;   in Loop: Header=BB140_5 Depth=1
	v_bfe_u32 v84, v85, 16, 1
	v_add3_u32 v98, v85, v84, s87
                                        ; implicit-def: $vgpr84_vgpr85
; %bb.35:                               ;   in Loop: Header=BB140_5 Depth=1
	s_andn2_saveexec_b64 s[16:17], s[16:17]
	s_cbranch_execz .LBB140_4
; %bb.36:                               ;   in Loop: Header=BB140_5 Depth=1
	v_or_b32_e32 v84, 0x10000, v85
	v_cmp_eq_u32_sdwa vcc, v85, v95 src0_sel:WORD_0 src1_sel:DWORD
	v_cndmask_b32_e32 v98, v84, v85, vcc
	s_branch .LBB140_4
.LBB140_37:
	s_or_b64 exec, exec, s[0:1]
.LBB140_38:
	s_or_b64 exec, exec, s[24:25]
	v_mul_u32_u24_e32 v16, 0x608, v90
	v_lshlrev_b32_e32 v17, 2, v89
	v_add3_u32 v16, 0, v16, v17
	v_and_b32_e32 v17, 0x3f0, v87
	v_add_u32_e32 v17, v16, v17
	s_waitcnt lgkmcnt(0)
	s_barrier
	ds_write2_b32 v17, v4, v5 offset1:1
	ds_write_b32 v17, v6 offset:8
	v_or_b32_e32 v4, 12, v87
	v_and_b32_e32 v4, 0x3fc, v4
	v_add_u32_e32 v4, v16, v4
	v_cmp_gt_u32_e32 vcc, 4, v86
	ds_write_b32 v4, v7
	ds_write2_b32 v17, v0, v1 offset0:16 offset1:17
	ds_write_b32 v17, v2 offset:72
	ds_write_b32 v4, v3 offset:64
	ds_write2_b32 v17, v8, v9 offset0:32 offset1:33
	ds_write_b32 v17, v10 offset:136
	ds_write_b32 v4, v11 offset:128
	;; [unrolled: 3-line block ×3, first 2 shown]
	s_waitcnt lgkmcnt(0)
	s_barrier
	s_and_saveexec_b64 s[0:1], vcc
	s_cbranch_execz .LBB140_40
; %bb.39:
	v_mul_u32_u24_e32 v0, 0x608, v86
	v_add3_u32 v4, 0, v88, v0
	ds_read2st64_b32 v[0:1], v4 offset1:1
	ds_read2st64_b32 v[2:3], v4 offset0:2 offset1:3
	ds_read2st64_b32 v[4:5], v4 offset0:4 offset1:5
	s_mul_hi_i32 s1, s19, s8
	s_mul_i32 s0, s19, s8
	s_waitcnt lgkmcnt(2)
	v_add_f32_e32 v0, 0, v0
	v_add_f32_e32 v0, v0, v1
	s_lshl_b64 s[0:1], s[0:1], 2
	s_waitcnt lgkmcnt(1)
	v_add_f32_e32 v0, v0, v2
	s_mul_i32 s4, s7, s15
	s_add_u32 s6, s10, s0
	v_add_f32_e32 v0, v0, v3
	s_addc_u32 s7, s11, s1
	s_ashr_i32 s5, s4, 31
	s_waitcnt lgkmcnt(0)
	v_add_f32_e32 v0, v0, v4
	s_lshl_b64 s[0:1], s[4:5], 2
	v_add_f32_e32 v2, v0, v5
	v_mul_lo_u32 v0, v86, s2
	s_add_u32 s0, s6, s0
	v_add3_u32 v0, s3, v87, v0
	v_mov_b32_e32 v1, 0
	s_addc_u32 s1, s7, s1
	v_lshlrev_b64 v[0:1], 2, v[0:1]
	v_mov_b32_e32 v3, s1
	v_add_co_u32_e32 v0, vcc, s0, v0
	v_addc_co_u32_e32 v1, vcc, v3, v1, vcc
	global_store_dword v[0:1], v2, off
.LBB140_40:
	s_endpgm
	.section	.rodata,"a",@progbits
	.p2align	6, 0x0
	.amdhsa_kernel _ZL9mul_mat_fI15__hip_bfloat162Li64ELi4ELi6ELb0EEvPKT_PKfPKiPfiiiiiiiiiiiiiiii
		.amdhsa_group_segment_fixed_size 0
		.amdhsa_private_segment_fixed_size 0
		.amdhsa_kernarg_size 96
		.amdhsa_user_sgpr_count 6
		.amdhsa_user_sgpr_private_segment_buffer 1
		.amdhsa_user_sgpr_dispatch_ptr 0
		.amdhsa_user_sgpr_queue_ptr 0
		.amdhsa_user_sgpr_kernarg_segment_ptr 1
		.amdhsa_user_sgpr_dispatch_id 0
		.amdhsa_user_sgpr_flat_scratch_init 0
		.amdhsa_user_sgpr_kernarg_preload_length 0
		.amdhsa_user_sgpr_kernarg_preload_offset 0
		.amdhsa_user_sgpr_private_segment_size 0
		.amdhsa_uses_dynamic_stack 0
		.amdhsa_system_sgpr_private_segment_wavefront_offset 0
		.amdhsa_system_sgpr_workgroup_id_x 1
		.amdhsa_system_sgpr_workgroup_id_y 1
		.amdhsa_system_sgpr_workgroup_id_z 1
		.amdhsa_system_sgpr_workgroup_info 0
		.amdhsa_system_vgpr_workitem_id 1
		.amdhsa_next_free_vgpr 105
		.amdhsa_next_free_sgpr 89
		.amdhsa_accum_offset 108
		.amdhsa_reserve_vcc 1
		.amdhsa_reserve_flat_scratch 0
		.amdhsa_float_round_mode_32 0
		.amdhsa_float_round_mode_16_64 0
		.amdhsa_float_denorm_mode_32 3
		.amdhsa_float_denorm_mode_16_64 3
		.amdhsa_dx10_clamp 1
		.amdhsa_ieee_mode 1
		.amdhsa_fp16_overflow 0
		.amdhsa_tg_split 0
		.amdhsa_exception_fp_ieee_invalid_op 0
		.amdhsa_exception_fp_denorm_src 0
		.amdhsa_exception_fp_ieee_div_zero 0
		.amdhsa_exception_fp_ieee_overflow 0
		.amdhsa_exception_fp_ieee_underflow 0
		.amdhsa_exception_fp_ieee_inexact 0
		.amdhsa_exception_int_div_zero 0
	.end_amdhsa_kernel
	.section	.text._ZL9mul_mat_fI15__hip_bfloat162Li64ELi4ELi6ELb0EEvPKT_PKfPKiPfiiiiiiiiiiiiiiii,"axG",@progbits,_ZL9mul_mat_fI15__hip_bfloat162Li64ELi4ELi6ELb0EEvPKT_PKfPKiPfiiiiiiiiiiiiiiii,comdat
.Lfunc_end140:
	.size	_ZL9mul_mat_fI15__hip_bfloat162Li64ELi4ELi6ELb0EEvPKT_PKfPKiPfiiiiiiiiiiiiiiii, .Lfunc_end140-_ZL9mul_mat_fI15__hip_bfloat162Li64ELi4ELi6ELb0EEvPKT_PKfPKiPfiiiiiiiiiiiiiiii
                                        ; -- End function
	.section	.AMDGPU.csdata,"",@progbits
; Kernel info:
; codeLenInByte = 5576
; NumSgprs: 93
; NumVgprs: 105
; NumAgprs: 0
; TotalNumVgprs: 105
; ScratchSize: 0
; MemoryBound: 0
; FloatMode: 240
; IeeeMode: 1
; LDSByteSize: 0 bytes/workgroup (compile time only)
; SGPRBlocks: 11
; VGPRBlocks: 13
; NumSGPRsForWavesPerEU: 93
; NumVGPRsForWavesPerEU: 105
; AccumOffset: 108
; Occupancy: 4
; WaveLimiterHint : 0
; COMPUTE_PGM_RSRC2:SCRATCH_EN: 0
; COMPUTE_PGM_RSRC2:USER_SGPR: 6
; COMPUTE_PGM_RSRC2:TRAP_HANDLER: 0
; COMPUTE_PGM_RSRC2:TGID_X_EN: 1
; COMPUTE_PGM_RSRC2:TGID_Y_EN: 1
; COMPUTE_PGM_RSRC2:TGID_Z_EN: 1
; COMPUTE_PGM_RSRC2:TIDIG_COMP_CNT: 1
; COMPUTE_PGM_RSRC3_GFX90A:ACCUM_OFFSET: 26
; COMPUTE_PGM_RSRC3_GFX90A:TG_SPLIT: 0
	.section	.text._ZL13mul_mat_f_idsI15__hip_bfloat162Li64ELi4ELi7EEvPKT_PKfPKiS7_S7_Pfiiiiiiiiiiiiii15HIP_vector_typeIjLj3EESA_,"axG",@progbits,_ZL13mul_mat_f_idsI15__hip_bfloat162Li64ELi4ELi7EEvPKT_PKfPKiS7_S7_Pfiiiiiiiiiiiiii15HIP_vector_typeIjLj3EESA_,comdat
	.globl	_ZL13mul_mat_f_idsI15__hip_bfloat162Li64ELi4ELi7EEvPKT_PKfPKiS7_S7_Pfiiiiiiiiiiiiii15HIP_vector_typeIjLj3EESA_ ; -- Begin function _ZL13mul_mat_f_idsI15__hip_bfloat162Li64ELi4ELi7EEvPKT_PKfPKiS7_S7_Pfiiiiiiiiiiiiii15HIP_vector_typeIjLj3EESA_
	.p2align	8
	.type	_ZL13mul_mat_f_idsI15__hip_bfloat162Li64ELi4ELi7EEvPKT_PKfPKiS7_S7_Pfiiiiiiiiiiiiii15HIP_vector_typeIjLj3EESA_,@function
_ZL13mul_mat_f_idsI15__hip_bfloat162Li64ELi4ELi7EEvPKT_PKfPKiS7_S7_Pfiiiiiiiiiiiiii15HIP_vector_typeIjLj3EESA_: ; @_ZL13mul_mat_f_idsI15__hip_bfloat162Li64ELi4ELi7EEvPKT_PKfPKiS7_S7_Pfiiiiiiiiiiiiii15HIP_vector_typeIjLj3EESA_
; %bb.0:
	s_load_dwordx2 s[0:1], s[4:5], 0x20
	s_mov_b32 s34, s7
	s_ashr_i32 s35, s7, 31
	s_lshl_b64 s[2:3], s[34:35], 2
	s_waitcnt lgkmcnt(0)
	s_add_u32 s0, s0, s2
	s_addc_u32 s1, s1, s3
	s_load_dwordx2 s[26:27], s[0:1], 0x0
	s_waitcnt lgkmcnt(0)
	s_sub_i32 s28, s27, s26
	s_add_i32 s0, s28, 3
	s_ashr_i32 s1, s0, 31
	s_lshr_b32 s1, s1, 30
	s_add_i32 s0, s0, s1
	s_ashr_i32 s0, s0, 2
	s_cmp_ge_i32 s8, s0
	s_cbranch_scc1 .LBB141_55
; %bb.1:
	v_bfe_u32 v91, v0, 10, 10
	v_lshlrev_b32_e32 v92, 6, v91
	v_and_b32_e32 v90, 0x3ff, v0
	s_load_dwordx4 s[12:15], s[4:5], 0x30
	s_load_dwordx2 s[20:21], s[4:5], 0x40
	s_load_dwordx4 s[0:3], s[4:5], 0x4c
	s_load_dwordx4 s[16:19], s[4:5], 0x68
	s_load_dwordx2 s[24:25], s[4:5], 0x78
	v_add_u32_e32 v94, v92, v90
	s_ashr_i32 s27, s26, 31
	s_waitcnt lgkmcnt(0)
	v_cmp_le_i32_e32 vcc, s12, v94
	v_and_b32_e32 v93, 15, v90
                                        ; implicit-def: $sgpr3
	s_and_saveexec_b64 s[10:11], vcc
	s_xor_b64 s[10:11], exec, s[10:11]
; %bb.2:
	v_and_b32_e32 v93, 15, v90
	s_mov_b32 s3, 0
                                        ; implicit-def: $vgpr94
; %bb.3:
	s_or_saveexec_b64 s[36:37], s[10:11]
	s_load_dwordx2 s[10:11], s[4:5], 0x18
                                        ; implicit-def: $vgpr101 : SGPR spill to VGPR lane
	s_lshl_b32 s22, s6, 6
	s_lshl_b32 s30, s8, 2
	v_mov_b32_e32 v15, s3
	v_mov_b32_e32 v14, s3
	s_waitcnt lgkmcnt(0)
	v_writelane_b32 v101, s10, 0
	v_writelane_b32 v101, s11, 1
	s_load_dwordx2 s[10:11], s[4:5], 0x28
	v_mov_b32_e32 v13, s3
	v_mov_b32_e32 v12, s3
	;; [unrolled: 1-line block ×4, first 2 shown]
	s_waitcnt lgkmcnt(0)
	v_writelane_b32 v101, s10, 2
	v_writelane_b32 v101, s11, 3
	v_mov_b32_e32 v1, s3
	v_mov_b32_e32 v0, s3
	;; [unrolled: 1-line block ×10, first 2 shown]
	v_writelane_b32 v101, s36, 4
	v_writelane_b32 v101, s37, 5
	s_xor_b64 exec, exec, s[36:37]
	s_cbranch_execz .LBB141_51
; %bb.4:
	v_writelane_b32 v101, s24, 6
	v_writelane_b32 v101, s25, 7
	s_load_dwordx4 s[8:11], s[4:5], 0x0
	s_load_dwordx2 s[6:7], s[4:5], 0x10
	s_mul_i32 s4, s34, s0
	v_writelane_b32 v101, s22, 8
	s_mul_i32 s22, s22, s15
	s_ashr_i32 s5, s4, 31
	s_ashr_i32 s23, s22, 31
	s_lshl_b64 s[22:23], s[22:23], 2
	s_lshl_b64 s[4:5], s[4:5], 2
	s_add_u32 s3, s4, s22
	s_addc_u32 s22, s5, s23
	s_waitcnt lgkmcnt(0)
	s_add_u32 s0, s3, s8
	s_addc_u32 s23, s22, s9
	v_writelane_b32 v101, s26, 9
	s_lshl_b64 s[4:5], s[26:27], 2
	s_add_u32 s24, s6, s4
	s_addc_u32 s25, s7, s5
	s_movk_i32 s4, 0x1080
	s_cmp_lt_i32 s30, s28
	v_mad_u32_u24 v0, v91, s4, 0
	s_cselect_b64 s[4:5], -1, 0
	s_ashr_i32 s31, s30, 31
	s_lshl_b64 s[6:7], s[30:31], 2
	s_add_u32 s34, s24, s6
	s_addc_u32 s35, s25, s7
	s_or_b32 s6, s30, 1
	v_lshrrev_b32_e32 v3, 1, v90
	s_cmp_lt_i32 s6, s28
	v_lshlrev_b32_e32 v1, 2, v90
	v_mul_u32_u24_e32 v2, 0x108, v93
	v_and_b32_e32 v3, 0x1f8, v3
	s_cselect_b64 s[36:37], -1, 0
	s_or_b32 s6, s30, 2
	v_writelane_b32 v101, s27, 10
	v_add_u32_e32 v95, v0, v1
	v_add3_u32 v96, v0, v2, v3
	s_cmp_lt_i32 s6, s28
	s_mov_b32 s6, s30
	v_lshlrev_b32_e32 v0, 8, v91
	v_writelane_b32 v101, s6, 11
	v_mov_b32_e32 v2, s22
	v_add_co_u32_e32 v0, vcc, s3, v0
	s_cselect_b64 s[38:39], -1, 0
	v_writelane_b32 v101, s7, 12
	s_or_b32 s6, s30, 3
	v_addc_co_u32_e32 v2, vcc, 0, v2, vcc
	s_cmp_lt_i32 s6, s28
	v_add_co_u32_e32 v0, vcc, v0, v1
	s_cselect_b64 s[40:41], -1, 0
	s_ashr_i32 s7, s15, 31
	s_mov_b32 s6, s15
	v_addc_co_u32_e32 v1, vcc, 0, v2, vcc
	s_lshl_b64 s[42:43], s[6:7], 2
	v_mov_b32_e32 v2, s9
	v_add_co_u32_e32 v16, vcc, s8, v0
	v_mov_b32_e32 v98, 0
	v_writelane_b32 v101, s28, 13
	v_addc_co_u32_e32 v17, vcc, v2, v1, vcc
	s_lshl_b32 s7, s15, 1
	s_mul_i32 s46, s15, 3
	s_lshl_b32 s47, s15, 2
	s_mul_i32 s48, s15, 5
	s_mul_i32 s49, s15, 6
	;; [unrolled: 1-line block ×3, first 2 shown]
	s_lshl_b32 s51, s15, 3
	s_mul_i32 s52, s15, 9
	s_mul_i32 s53, s15, 10
	;; [unrolled: 1-line block ×7, first 2 shown]
	s_lshl_b32 s59, s15, 4
	s_mul_i32 s60, s15, 17
	s_mul_i32 s61, s15, 18
	;; [unrolled: 1-line block ×15, first 2 shown]
	s_lshl_b32 s75, s15, 5
	s_mul_i32 s76, s15, 33
	s_mul_i32 s77, s15, 34
	;; [unrolled: 1-line block ×23, first 2 shown]
	v_mov_b32_e32 v97, s23
	s_mul_i32 s23, s15, 56
	v_mov_b32_e32 v99, s43
	v_mov_b32_e32 v8, 0
	;; [unrolled: 1-line block ×17, first 2 shown]
	s_mul_i32 s43, s15, 57
	s_mul_i32 s28, s15, 58
	;; [unrolled: 1-line block ×7, first 2 shown]
	s_mov_b32 s6, 0x7f800000
	s_movk_i32 s33, 0x7fff
	s_mov_b32 s26, 0x7060302
	s_mov_b64 s[8:9], 0
	s_branch .LBB141_6
.LBB141_5:                              ;   in Loop: Header=BB141_6 Depth=1
	s_or_b64 exec, exec, s[44:45]
	v_perm_b32 v82, v83, v82, s26
	v_add_u32_e32 v83, 0x200, v95
	ds_write2_b32 v83, v82, v98 offset0:70 offset1:136
	v_add_u32_e32 v82, 0x400, v95
	ds_write2_b32 v82, v98, v98 offset0:74 offset1:140
	;; [unrolled: 2-line block ×6, first 2 shown]
	ds_write_b32 v95, v98 offset:3960
	ds_read2_b64 v[82:85], v96 offset1:4
	s_waitcnt lgkmcnt(0)
	v_mfma_f32_16x16x16bf16_1k v[8:11], v[34:35], v[82:83], v[8:11]
	v_add_co_u32_e32 v16, vcc, 0x700, v16
	v_add_u32_e32 v94, 0x1c0, v94
	v_addc_co_u32_e32 v17, vcc, 0, v17, vcc
	v_cmp_le_i32_e32 vcc, s12, v94
	s_or_b64 s[8:9], vcc, s[8:9]
	v_mfma_f32_16x16x16bf16_1k v[4:7], v[50:51], v[82:83], v[4:7]
	v_mfma_f32_16x16x16bf16_1k v[0:3], v[64:65], v[82:83], v[0:3]
	;; [unrolled: 1-line block ×6, first 2 shown]
	ds_read2_b64 v[62:65], v96 offset0:8 offset1:12
	v_mfma_f32_16x16x16bf16_1k v[12:15], v[78:79], v[84:85], v[12:15]
	s_waitcnt lgkmcnt(0)
	v_mfma_f32_16x16x16bf16_1k v[8:11], v[28:29], v[62:63], v[8:11]
	v_mfma_f32_16x16x16bf16_1k v[4:7], v[44:45], v[62:63], v[4:7]
	;; [unrolled: 1-line block ×5, first 2 shown]
	ds_read2_b64 v[26:29], v96 offset0:16 offset1:20
	v_mfma_f32_16x16x16bf16_1k v[4:7], v[42:43], v[64:65], v[4:7]
	v_mfma_f32_16x16x16bf16_1k v[0:3], v[58:59], v[64:65], v[0:3]
	;; [unrolled: 1-line block ×3, first 2 shown]
	s_waitcnt lgkmcnt(0)
	v_mfma_f32_16x16x16bf16_1k v[8:11], v[24:25], v[26:27], v[8:11]
	v_mfma_f32_16x16x16bf16_1k v[4:7], v[40:41], v[26:27], v[4:7]
	v_mfma_f32_16x16x16bf16_1k v[0:3], v[56:57], v[26:27], v[0:3]
	v_mfma_f32_16x16x16bf16_1k v[12:15], v[72:73], v[26:27], v[12:15]
	v_mfma_f32_16x16x16bf16_1k v[8:11], v[22:23], v[28:29], v[8:11]
	ds_read2_b64 v[22:25], v96 offset0:24 offset1:28
	v_mfma_f32_16x16x16bf16_1k v[4:7], v[38:39], v[28:29], v[4:7]
	v_mfma_f32_16x16x16bf16_1k v[0:3], v[54:55], v[28:29], v[0:3]
	;; [unrolled: 1-line block ×3, first 2 shown]
	s_waitcnt lgkmcnt(0)
	v_mfma_f32_16x16x16bf16_1k v[8:11], v[20:21], v[22:23], v[8:11]
	v_mfma_f32_16x16x16bf16_1k v[4:7], v[36:37], v[22:23], v[4:7]
	;; [unrolled: 1-line block ×8, first 2 shown]
	s_andn2_b64 exec, exec, s[8:9]
	s_cbranch_execz .LBB141_50
.LBB141_6:                              ; =>This Inner Loop Header: Depth=1
	v_add_co_u32_e32 v18, vcc, s42, v16
	v_addc_co_u32_e32 v19, vcc, v17, v99, vcc
	global_load_dword v30, v[16:17], off
	global_load_dword v31, v[18:19], off
	v_add_u32_e32 v18, s7, v94
	v_ashrrev_i32_e32 v19, 31, v18
	v_lshlrev_b64 v[18:19], 2, v[18:19]
	v_add_u32_e32 v20, s46, v94
	v_add_co_u32_e32 v18, vcc, s0, v18
	v_ashrrev_i32_e32 v21, 31, v20
	v_addc_co_u32_e32 v19, vcc, v97, v19, vcc
	v_lshlrev_b64 v[20:21], 2, v[20:21]
	v_add_u32_e32 v22, s47, v94
	v_add_co_u32_e32 v20, vcc, s0, v20
	v_ashrrev_i32_e32 v23, 31, v22
	v_addc_co_u32_e32 v21, vcc, v97, v21, vcc
	;; [unrolled: 5-line block ×5, first 2 shown]
	v_lshlrev_b64 v[28:29], 2, v[28:29]
	v_add_co_u32_e32 v28, vcc, s0, v28
	v_addc_co_u32_e32 v29, vcc, v97, v29, vcc
	global_load_dword v32, v[18:19], off
	global_load_dword v33, v[20:21], off
	;; [unrolled: 1-line block ×3, first 2 shown]
	s_nop 0
	global_load_dword v24, v[24:25], off
	s_nop 0
	global_load_dword v25, v[26:27], off
	;; [unrolled: 2-line block ×3, first 2 shown]
	v_add_u32_e32 v18, s51, v94
	v_ashrrev_i32_e32 v19, 31, v18
	v_add_u32_e32 v20, s52, v94
	v_lshlrev_b64 v[18:19], 2, v[18:19]
	v_ashrrev_i32_e32 v21, 31, v20
	v_add_co_u32_e32 v18, vcc, s0, v18
	v_add_u32_e32 v22, s53, v94
	v_lshlrev_b64 v[20:21], 2, v[20:21]
	v_addc_co_u32_e32 v19, vcc, v97, v19, vcc
	v_ashrrev_i32_e32 v23, 31, v22
	v_add_co_u32_e32 v20, vcc, s0, v20
	v_lshlrev_b64 v[22:23], 2, v[22:23]
	v_addc_co_u32_e32 v21, vcc, v97, v21, vcc
	global_load_dword v18, v[18:19], off
	s_nop 0
	global_load_dword v19, v[20:21], off
	v_add_u32_e32 v20, s54, v94
	v_add_co_u32_e32 v22, vcc, s0, v22
	v_ashrrev_i32_e32 v21, 31, v20
	v_addc_co_u32_e32 v23, vcc, v97, v23, vcc
	v_lshlrev_b64 v[20:21], 2, v[20:21]
	v_add_u32_e32 v58, s84, v94
	v_ashrrev_i32_e32 v59, 31, v58
	v_lshlrev_b64 v[58:59], 2, v[58:59]
	s_waitcnt vmcnt(9)
	ds_write_b32 v95, v30
	s_waitcnt vmcnt(8)
	ds_write_b32 v95, v31 offset:264
	s_waitcnt vmcnt(7)
	ds_write_b32 v95, v32 offset:528
	;; [unrolled: 2-line block ×7, first 2 shown]
	v_add_co_u32_e32 v24, vcc, s0, v20
	v_add_u32_e32 v20, s55, v94
	v_addc_co_u32_e32 v25, vcc, v97, v21, vcc
	v_ashrrev_i32_e32 v21, 31, v20
	v_lshlrev_b64 v[20:21], 2, v[20:21]
	v_add_co_u32_e32 v26, vcc, s0, v20
	v_add_u32_e32 v20, s56, v94
	v_addc_co_u32_e32 v27, vcc, v97, v21, vcc
	v_ashrrev_i32_e32 v21, 31, v20
	v_lshlrev_b64 v[20:21], 2, v[20:21]
	;; [unrolled: 5-line block ×6, first 2 shown]
	v_add_co_u32_e32 v36, vcc, s0, v20
	v_addc_co_u32_e32 v37, vcc, v97, v21, vcc
	global_load_dword v20, v[22:23], off
	global_load_dword v21, v[24:25], off
	s_nop 0
	global_load_dword v22, v[26:27], off
	global_load_dword v23, v[28:29], off
	;; [unrolled: 1-line block ×4, first 2 shown]
	s_nop 0
	global_load_dword v32, v[34:35], off
	global_load_dword v33, v[36:37], off
	v_add_u32_e32 v26, s61, v94
	v_ashrrev_i32_e32 v27, 31, v26
	v_lshlrev_b64 v[26:27], 2, v[26:27]
	v_add_u32_e32 v28, s62, v94
	v_add_co_u32_e32 v26, vcc, s0, v26
	v_ashrrev_i32_e32 v29, 31, v28
	v_addc_co_u32_e32 v27, vcc, v97, v27, vcc
	v_lshlrev_b64 v[28:29], 2, v[28:29]
	v_add_u32_e32 v30, s63, v94
	v_add_co_u32_e32 v28, vcc, s0, v28
	v_ashrrev_i32_e32 v31, 31, v30
	v_addc_co_u32_e32 v29, vcc, v97, v29, vcc
	;; [unrolled: 5-line block ×4, first 2 shown]
	v_lshlrev_b64 v[36:37], 2, v[36:37]
	v_add_co_u32_e32 v40, vcc, s0, v36
	v_add_u32_e32 v36, s66, v94
	v_addc_co_u32_e32 v41, vcc, v97, v37, vcc
	v_ashrrev_i32_e32 v37, 31, v36
	v_lshlrev_b64 v[36:37], 2, v[36:37]
	v_add_co_u32_e32 v42, vcc, s0, v36
	v_add_u32_e32 v36, s67, v94
	v_addc_co_u32_e32 v43, vcc, v97, v37, vcc
	v_ashrrev_i32_e32 v37, 31, v36
	;; [unrolled: 5-line block ×3, first 2 shown]
	v_lshlrev_b64 v[36:37], 2, v[36:37]
	v_add_co_u32_e32 v46, vcc, s0, v36
	v_addc_co_u32_e32 v47, vcc, v97, v37, vcc
	global_load_dword v36, v[26:27], off
	global_load_dword v37, v[28:29], off
	;; [unrolled: 1-line block ×4, first 2 shown]
	s_nop 0
	global_load_dword v40, v[40:41], off
	s_nop 0
	global_load_dword v41, v[42:43], off
	;; [unrolled: 2-line block ×3, first 2 shown]
	global_load_dword v43, v[46:47], off
	v_add_u32_e32 v26, s69, v94
	v_ashrrev_i32_e32 v27, 31, v26
	v_lshlrev_b64 v[26:27], 2, v[26:27]
	v_add_u32_e32 v28, s70, v94
	v_add_co_u32_e32 v26, vcc, s0, v26
	v_ashrrev_i32_e32 v29, 31, v28
	v_addc_co_u32_e32 v27, vcc, v97, v27, vcc
	v_lshlrev_b64 v[28:29], 2, v[28:29]
	v_add_u32_e32 v30, s71, v94
	v_add_co_u32_e32 v28, vcc, s0, v28
	v_ashrrev_i32_e32 v31, 31, v30
	v_addc_co_u32_e32 v29, vcc, v97, v29, vcc
	;; [unrolled: 5-line block ×4, first 2 shown]
	v_lshlrev_b64 v[44:45], 2, v[44:45]
	v_add_co_u32_e32 v48, vcc, s0, v44
	v_add_u32_e32 v44, s74, v94
	v_addc_co_u32_e32 v49, vcc, v97, v45, vcc
	v_ashrrev_i32_e32 v45, 31, v44
	v_lshlrev_b64 v[44:45], 2, v[44:45]
	v_add_co_u32_e32 v52, vcc, s0, v44
	v_add_u32_e32 v44, s75, v94
	v_addc_co_u32_e32 v53, vcc, v97, v45, vcc
	v_ashrrev_i32_e32 v45, 31, v44
	;; [unrolled: 5-line block ×3, first 2 shown]
	v_lshlrev_b64 v[44:45], 2, v[44:45]
	v_add_co_u32_e32 v56, vcc, s0, v44
	v_addc_co_u32_e32 v57, vcc, v97, v45, vcc
	global_load_dword v44, v[26:27], off
	global_load_dword v45, v[28:29], off
	;; [unrolled: 1-line block ×6, first 2 shown]
	s_nop 0
	global_load_dword v48, v[54:55], off
	global_load_dword v49, v[56:57], off
	v_add_u32_e32 v26, s77, v94
	v_ashrrev_i32_e32 v27, 31, v26
	v_lshlrev_b64 v[26:27], 2, v[26:27]
	v_add_u32_e32 v28, s78, v94
	v_add_co_u32_e32 v26, vcc, s0, v26
	v_ashrrev_i32_e32 v29, 31, v28
	v_addc_co_u32_e32 v27, vcc, v97, v27, vcc
	v_lshlrev_b64 v[28:29], 2, v[28:29]
	v_add_u32_e32 v30, s79, v94
	v_add_co_u32_e32 v28, vcc, s0, v28
	v_ashrrev_i32_e32 v31, 31, v30
	v_addc_co_u32_e32 v29, vcc, v97, v29, vcc
	;; [unrolled: 5-line block ×6, first 2 shown]
	v_lshlrev_b64 v[56:57], 2, v[56:57]
	v_add_co_u32_e32 v56, vcc, s0, v56
	v_addc_co_u32_e32 v57, vcc, v97, v57, vcc
	v_add_co_u32_e32 v58, vcc, s0, v58
	v_addc_co_u32_e32 v59, vcc, v97, v59, vcc
	global_load_dword v60, v[26:27], off
	global_load_dword v61, v[28:29], off
	;; [unrolled: 1-line block ×8, first 2 shown]
	v_add_u32_e32 v26, s85, v94
	v_ashrrev_i32_e32 v27, 31, v26
	v_lshlrev_b64 v[26:27], 2, v[26:27]
	v_add_u32_e32 v28, s86, v94
	v_add_co_u32_e32 v26, vcc, s0, v26
	v_ashrrev_i32_e32 v29, 31, v28
	v_addc_co_u32_e32 v27, vcc, v97, v27, vcc
	v_lshlrev_b64 v[28:29], 2, v[28:29]
	v_add_u32_e32 v30, s87, v94
	v_add_co_u32_e32 v28, vcc, s0, v28
	v_ashrrev_i32_e32 v31, 31, v30
	v_addc_co_u32_e32 v29, vcc, v97, v29, vcc
	;; [unrolled: 5-line block ×7, first 2 shown]
	v_lshlrev_b64 v[58:59], 2, v[58:59]
	v_add_co_u32_e32 v58, vcc, s0, v58
	v_addc_co_u32_e32 v59, vcc, v97, v59, vcc
	global_load_dword v68, v[26:27], off
	global_load_dword v69, v[28:29], off
	;; [unrolled: 1-line block ×8, first 2 shown]
	v_add_u32_e32 v26, s93, v94
	v_ashrrev_i32_e32 v27, 31, v26
	v_lshlrev_b64 v[26:27], 2, v[26:27]
	v_add_u32_e32 v28, s94, v94
	v_add_co_u32_e32 v26, vcc, s0, v26
	v_ashrrev_i32_e32 v29, 31, v28
	v_addc_co_u32_e32 v27, vcc, v97, v27, vcc
	v_lshlrev_b64 v[28:29], 2, v[28:29]
	v_add_u32_e32 v30, s95, v94
	v_add_co_u32_e32 v28, vcc, s0, v28
	v_ashrrev_i32_e32 v31, 31, v30
	v_addc_co_u32_e32 v29, vcc, v97, v29, vcc
	;; [unrolled: 5-line block ×7, first 2 shown]
	v_lshlrev_b64 v[58:59], 2, v[58:59]
	v_add_co_u32_e32 v58, vcc, s0, v58
	v_addc_co_u32_e32 v59, vcc, v97, v59, vcc
	global_load_dword v76, v[26:27], off
	global_load_dword v77, v[28:29], off
	;; [unrolled: 1-line block ×8, first 2 shown]
	v_add_u32_e32 v26, s28, v94
	v_ashrrev_i32_e32 v27, 31, v26
	v_lshlrev_b64 v[26:27], 2, v[26:27]
	v_add_u32_e32 v28, s29, v94
	v_add_co_u32_e32 v26, vcc, s0, v26
	v_ashrrev_i32_e32 v29, 31, v28
	v_addc_co_u32_e32 v27, vcc, v97, v27, vcc
	v_lshlrev_b64 v[28:29], 2, v[28:29]
	v_add_u32_e32 v30, s3, v94
	v_add_co_u32_e32 v28, vcc, s0, v28
	v_ashrrev_i32_e32 v31, 31, v30
	v_addc_co_u32_e32 v29, vcc, v97, v29, vcc
	;; [unrolled: 5-line block ×5, first 2 shown]
	v_lshlrev_b64 v[54:55], 2, v[54:55]
	v_add_co_u32_e32 v54, vcc, s0, v54
	v_addc_co_u32_e32 v55, vcc, v97, v55, vcc
	global_load_dword v84, v[26:27], off
	global_load_dword v85, v[28:29], off
	;; [unrolled: 1-line block ×6, first 2 shown]
	s_waitcnt vmcnt(55)
	ds_write_b32 v95, v18 offset:2112
	s_waitcnt vmcnt(54)
	ds_write_b32 v95, v19 offset:2376
	s_waitcnt vmcnt(53)
	ds_write_b32 v95, v20 offset:2640
	s_waitcnt vmcnt(52)
	ds_write_b32 v95, v21 offset:2904
	s_waitcnt vmcnt(51)
	ds_write_b32 v95, v22 offset:3168
	s_waitcnt vmcnt(50)
	ds_write_b32 v95, v23 offset:3432
	s_waitcnt vmcnt(49)
	ds_write_b32 v95, v24 offset:3696
	s_waitcnt vmcnt(48)
	ds_write_b32 v95, v25 offset:3960
	ds_read_b64 v[34:35], v96
	ds_read_b64 v[30:31], v96 offset:32
	ds_read_b64 v[28:29], v96 offset:64
	ds_read_b64 v[26:27], v96 offset:96
	ds_read_b64 v[24:25], v96 offset:128
	ds_read_b64 v[22:23], v96 offset:160
	ds_read_b64 v[20:21], v96 offset:192
	ds_read_b64 v[18:19], v96 offset:224
	s_waitcnt vmcnt(47)
	ds_write_b32 v95, v32
	s_waitcnt vmcnt(46)
	ds_write_b32 v95, v33 offset:264
	s_waitcnt vmcnt(45)
	ds_write_b32 v95, v36 offset:528
	s_waitcnt vmcnt(44)
	ds_write_b32 v95, v37 offset:792
	s_waitcnt vmcnt(43)
	ds_write_b32 v95, v38 offset:1056
	s_waitcnt vmcnt(42)
	ds_write_b32 v95, v39 offset:1320
	s_waitcnt vmcnt(41)
	ds_write_b32 v95, v40 offset:1584
	s_waitcnt vmcnt(40)
	ds_write_b32 v95, v41 offset:1848
	s_waitcnt vmcnt(39)
	ds_write_b32 v95, v42 offset:2112
	s_waitcnt vmcnt(38)
	ds_write_b32 v95, v43 offset:2376
	s_waitcnt vmcnt(37)
	ds_write_b32 v95, v44 offset:2640
	s_waitcnt vmcnt(36)
	ds_write_b32 v95, v45 offset:2904
	s_waitcnt vmcnt(35)
	ds_write_b32 v95, v46 offset:3168
	s_waitcnt vmcnt(34)
	ds_write_b32 v95, v47 offset:3432
	s_waitcnt vmcnt(33)
	ds_write_b32 v95, v50 offset:3696
	s_waitcnt vmcnt(32)
	ds_write_b32 v95, v51 offset:3960
	ds_read_b64 v[50:51], v96
	ds_read_b64 v[46:47], v96 offset:32
	ds_read_b64 v[44:45], v96 offset:64
	ds_read_b64 v[42:43], v96 offset:96
	ds_read_b64 v[40:41], v96 offset:128
	ds_read_b64 v[38:39], v96 offset:160
	ds_read_b64 v[36:37], v96 offset:192
	ds_read_b64 v[32:33], v96 offset:224
	s_waitcnt vmcnt(31)
	ds_write_b32 v95, v48
	s_waitcnt vmcnt(30)
	ds_write_b32 v95, v49 offset:264
	s_waitcnt vmcnt(29)
	ds_write_b32 v95, v60 offset:528
	s_waitcnt vmcnt(28)
	ds_write_b32 v95, v61 offset:792
	s_waitcnt vmcnt(27)
	ds_write_b32 v95, v62 offset:1056
	s_waitcnt vmcnt(26)
	ds_write_b32 v95, v63 offset:1320
	s_waitcnt vmcnt(25)
	ds_write_b32 v95, v64 offset:1584
	s_waitcnt vmcnt(24)
	ds_write_b32 v95, v65 offset:1848
	;; [unrolled: 40-line block ×3, first 2 shown]
	s_waitcnt vmcnt(7)
	ds_write_b32 v95, v82 offset:2112
	s_waitcnt vmcnt(6)
	ds_write_b32 v95, v83 offset:2376
	;; [unrolled: 2-line block ×8, first 2 shown]
	ds_read_b64 v[80:81], v96
	ds_read_b64 v[78:79], v96 offset:32
	ds_read_b64 v[76:77], v96 offset:64
	ds_read_b64 v[74:75], v96 offset:96
	ds_read_b64 v[72:73], v96 offset:128
	ds_read_b64 v[70:71], v96 offset:160
	ds_read_b64 v[68:69], v96 offset:192
	ds_read_b64 v[66:67], v96 offset:224
	s_andn2_b64 vcc, exec, s[4:5]
	v_mov_b32_e32 v88, 0
	v_mov_b32_e32 v89, 0
	s_cbranch_vccnz .LBB141_9
; %bb.7:                                ;   in Loop: Header=BB141_6 Depth=1
	s_load_dword s27, s[34:35], 0x0
	v_mov_b32_e32 v89, 0
	v_mov_b32_e32 v88, 0
	s_waitcnt lgkmcnt(0)
	s_mul_hi_u32 s44, s27, s16
	s_add_i32 s44, s27, s44
	s_lshr_b32 s44, s44, s17
	s_cmp_ge_i32 s44, s13
	s_cbranch_scc1 .LBB141_9
; %bb.8:                                ;   in Loop: Header=BB141_6 Depth=1
	s_mul_i32 s45, s44, s18
	s_sub_i32 s27, s27, s45
	s_mul_i32 s44, s44, s20
	s_mul_i32 s27, s27, s1
	v_add_u32_e32 v82, s44, v94
	v_lshl_add_u32 v82, v82, 1, s27
	v_ashrrev_i32_e32 v83, 31, v82
	v_lshlrev_b64 v[82:83], 2, v[82:83]
	v_mov_b32_e32 v84, s11
	v_add_co_u32_e32 v82, vcc, s10, v82
	v_addc_co_u32_e32 v83, vcc, v84, v83, vcc
	global_load_dwordx2 v[88:89], v[82:83], off
.LBB141_9:                              ;   in Loop: Header=BB141_6 Depth=1
	s_andn2_b64 vcc, exec, s[36:37]
	v_mov_b32_e32 v82, 0
	v_mov_b32_e32 v86, 0
	;; [unrolled: 1-line block ×3, first 2 shown]
	s_cbranch_vccnz .LBB141_12
; %bb.10:                               ;   in Loop: Header=BB141_6 Depth=1
	s_load_dword s27, s[34:35], 0x4
	v_mov_b32_e32 v87, 0
	v_mov_b32_e32 v86, 0
	s_waitcnt lgkmcnt(0)
	s_mul_hi_u32 s44, s27, s16
	s_add_i32 s44, s27, s44
	s_lshr_b32 s44, s44, s17
	s_cmp_ge_i32 s44, s13
	s_cbranch_scc1 .LBB141_12
; %bb.11:                               ;   in Loop: Header=BB141_6 Depth=1
	s_mul_i32 s45, s44, s18
	s_sub_i32 s27, s27, s45
	s_mul_i32 s44, s44, s20
	s_mul_i32 s27, s27, s1
	v_add_u32_e32 v83, s44, v94
	v_lshl_add_u32 v84, v83, 1, s27
	v_ashrrev_i32_e32 v85, 31, v84
	v_lshlrev_b64 v[84:85], 2, v[84:85]
	v_mov_b32_e32 v83, s11
	v_add_co_u32_e32 v84, vcc, s10, v84
	v_addc_co_u32_e32 v85, vcc, v83, v85, vcc
	global_load_dwordx2 v[86:87], v[84:85], off
.LBB141_12:                             ;   in Loop: Header=BB141_6 Depth=1
	s_andn2_b64 vcc, exec, s[38:39]
	v_mov_b32_e32 v83, 0
	s_cbranch_vccnz .LBB141_15
; %bb.13:                               ;   in Loop: Header=BB141_6 Depth=1
	s_load_dword s27, s[34:35], 0x8
	v_mov_b32_e32 v83, 0
	v_mov_b32_e32 v82, 0
	s_waitcnt lgkmcnt(0)
	s_mul_hi_u32 s44, s27, s16
	s_add_i32 s44, s27, s44
	s_lshr_b32 s44, s44, s17
	s_cmp_ge_i32 s44, s13
	s_cbranch_scc1 .LBB141_15
; %bb.14:                               ;   in Loop: Header=BB141_6 Depth=1
	s_mul_i32 s45, s44, s18
	s_sub_i32 s27, s27, s45
	s_mul_i32 s44, s44, s20
	s_mul_i32 s27, s27, s1
	v_add_u32_e32 v82, s44, v94
	v_lshl_add_u32 v82, v82, 1, s27
	v_ashrrev_i32_e32 v83, 31, v82
	v_lshlrev_b64 v[82:83], 2, v[82:83]
	v_mov_b32_e32 v84, s11
	v_add_co_u32_e32 v82, vcc, s10, v82
	v_addc_co_u32_e32 v83, vcc, v84, v83, vcc
	global_load_dwordx2 v[82:83], v[82:83], off
.LBB141_15:                             ;   in Loop: Header=BB141_6 Depth=1
	s_andn2_b64 vcc, exec, s[40:41]
	v_mov_b32_e32 v84, 0
	v_mov_b32_e32 v85, 0
	s_cbranch_vccnz .LBB141_18
; %bb.16:                               ;   in Loop: Header=BB141_6 Depth=1
	s_load_dword s27, s[34:35], 0xc
	v_mov_b32_e32 v85, 0
	v_mov_b32_e32 v84, 0
	s_waitcnt lgkmcnt(0)
	s_mul_hi_u32 s44, s27, s16
	s_add_i32 s44, s27, s44
	s_lshr_b32 s44, s44, s17
	s_cmp_ge_i32 s44, s13
	s_cbranch_scc1 .LBB141_18
; %bb.17:                               ;   in Loop: Header=BB141_6 Depth=1
	s_mul_i32 s45, s44, s18
	s_sub_i32 s27, s27, s45
	s_mul_i32 s44, s44, s20
	s_mul_i32 s27, s27, s1
	v_add_u32_e32 v84, s44, v94
	v_lshl_add_u32 v84, v84, 1, s27
	v_ashrrev_i32_e32 v85, 31, v84
	v_lshlrev_b64 v[84:85], 2, v[84:85]
	v_mov_b32_e32 v100, s11
	v_add_co_u32_e32 v84, vcc, s10, v84
	v_addc_co_u32_e32 v85, vcc, v100, v85, vcc
	global_load_dwordx2 v[84:85], v[84:85], off
.LBB141_18:                             ;   in Loop: Header=BB141_6 Depth=1
	s_waitcnt vmcnt(0)
	v_and_b32_e32 v100, 0x7f800000, v88
	v_cmp_ne_u32_e32 vcc, s6, v100
                                        ; implicit-def: $vgpr100
	s_and_saveexec_b64 s[44:45], vcc
	s_xor_b64 s[44:45], exec, s[44:45]
; %bb.19:                               ;   in Loop: Header=BB141_6 Depth=1
	v_bfe_u32 v100, v88, 16, 1
	v_add3_u32 v100, v88, v100, s33
; %bb.20:                               ;   in Loop: Header=BB141_6 Depth=1
	s_andn2_saveexec_b64 s[44:45], s[44:45]
; %bb.21:                               ;   in Loop: Header=BB141_6 Depth=1
	v_or_b32_e32 v100, 0x10000, v88
	v_cmp_eq_u32_sdwa vcc, v88, v98 src0_sel:WORD_0 src1_sel:DWORD
	v_cndmask_b32_e32 v100, v100, v88, vcc
; %bb.22:                               ;   in Loop: Header=BB141_6 Depth=1
	s_or_b64 exec, exec, s[44:45]
	v_and_b32_e32 v88, 0x7f800000, v89
	v_cmp_ne_u32_e32 vcc, s6, v88
                                        ; implicit-def: $vgpr88
	s_and_saveexec_b64 s[44:45], vcc
	s_xor_b64 s[44:45], exec, s[44:45]
; %bb.23:                               ;   in Loop: Header=BB141_6 Depth=1
	v_bfe_u32 v88, v89, 16, 1
	v_add3_u32 v88, v89, v88, s33
                                        ; implicit-def: $vgpr89
; %bb.24:                               ;   in Loop: Header=BB141_6 Depth=1
	s_andn2_saveexec_b64 s[44:45], s[44:45]
; %bb.25:                               ;   in Loop: Header=BB141_6 Depth=1
	v_or_b32_e32 v88, 0x10000, v89
	v_cmp_eq_u32_sdwa vcc, v89, v98 src0_sel:WORD_0 src1_sel:DWORD
	v_cndmask_b32_e32 v88, v88, v89, vcc
; %bb.26:                               ;   in Loop: Header=BB141_6 Depth=1
	s_or_b64 exec, exec, s[44:45]
	v_perm_b32 v88, v88, v100, s26
	ds_write_b32 v95, v88
	v_and_b32_e32 v88, 0x7f800000, v86
	v_cmp_ne_u32_e32 vcc, s6, v88
                                        ; implicit-def: $vgpr88
	s_and_saveexec_b64 s[44:45], vcc
	s_xor_b64 s[44:45], exec, s[44:45]
; %bb.27:                               ;   in Loop: Header=BB141_6 Depth=1
	v_bfe_u32 v88, v86, 16, 1
	v_add3_u32 v88, v86, v88, s33
; %bb.28:                               ;   in Loop: Header=BB141_6 Depth=1
	s_andn2_saveexec_b64 s[44:45], s[44:45]
; %bb.29:                               ;   in Loop: Header=BB141_6 Depth=1
	v_or_b32_e32 v88, 0x10000, v86
	v_cmp_eq_u32_sdwa vcc, v86, v98 src0_sel:WORD_0 src1_sel:DWORD
	v_cndmask_b32_e32 v88, v88, v86, vcc
; %bb.30:                               ;   in Loop: Header=BB141_6 Depth=1
	s_or_b64 exec, exec, s[44:45]
	v_and_b32_e32 v86, 0x7f800000, v87
	v_cmp_ne_u32_e32 vcc, s6, v86
                                        ; implicit-def: $vgpr86
	s_and_saveexec_b64 s[44:45], vcc
	s_xor_b64 s[44:45], exec, s[44:45]
; %bb.31:                               ;   in Loop: Header=BB141_6 Depth=1
	v_bfe_u32 v86, v87, 16, 1
	v_add3_u32 v86, v87, v86, s33
                                        ; implicit-def: $vgpr87
; %bb.32:                               ;   in Loop: Header=BB141_6 Depth=1
	s_andn2_saveexec_b64 s[44:45], s[44:45]
; %bb.33:                               ;   in Loop: Header=BB141_6 Depth=1
	v_or_b32_e32 v86, 0x10000, v87
	v_cmp_eq_u32_sdwa vcc, v87, v98 src0_sel:WORD_0 src1_sel:DWORD
	v_cndmask_b32_e32 v86, v86, v87, vcc
; %bb.34:                               ;   in Loop: Header=BB141_6 Depth=1
	s_or_b64 exec, exec, s[44:45]
	v_perm_b32 v86, v86, v88, s26
	ds_write_b32 v95, v86 offset:264
	v_and_b32_e32 v86, 0x7f800000, v82
	v_cmp_ne_u32_e32 vcc, s6, v86
                                        ; implicit-def: $vgpr86
	s_and_saveexec_b64 s[44:45], vcc
	s_xor_b64 s[44:45], exec, s[44:45]
; %bb.35:                               ;   in Loop: Header=BB141_6 Depth=1
	v_bfe_u32 v86, v82, 16, 1
	v_add3_u32 v86, v82, v86, s33
; %bb.36:                               ;   in Loop: Header=BB141_6 Depth=1
	s_andn2_saveexec_b64 s[44:45], s[44:45]
; %bb.37:                               ;   in Loop: Header=BB141_6 Depth=1
	v_or_b32_e32 v86, 0x10000, v82
	v_cmp_eq_u32_sdwa vcc, v82, v98 src0_sel:WORD_0 src1_sel:DWORD
	v_cndmask_b32_e32 v86, v86, v82, vcc
; %bb.38:                               ;   in Loop: Header=BB141_6 Depth=1
	s_or_b64 exec, exec, s[44:45]
	v_and_b32_e32 v82, 0x7f800000, v83
	v_cmp_ne_u32_e32 vcc, s6, v82
                                        ; implicit-def: $vgpr82
	s_and_saveexec_b64 s[44:45], vcc
	s_xor_b64 s[44:45], exec, s[44:45]
; %bb.39:                               ;   in Loop: Header=BB141_6 Depth=1
	v_bfe_u32 v82, v83, 16, 1
	v_add3_u32 v82, v83, v82, s33
                                        ; implicit-def: $vgpr83
; %bb.40:                               ;   in Loop: Header=BB141_6 Depth=1
	s_andn2_saveexec_b64 s[44:45], s[44:45]
; %bb.41:                               ;   in Loop: Header=BB141_6 Depth=1
	v_or_b32_e32 v82, 0x10000, v83
	v_cmp_eq_u32_sdwa vcc, v83, v98 src0_sel:WORD_0 src1_sel:DWORD
	v_cndmask_b32_e32 v82, v82, v83, vcc
; %bb.42:                               ;   in Loop: Header=BB141_6 Depth=1
	s_or_b64 exec, exec, s[44:45]
	v_perm_b32 v82, v82, v86, s26
	ds_write_b32 v95, v82 offset:528
	v_and_b32_e32 v82, 0x7f800000, v84
	v_cmp_ne_u32_e32 vcc, s6, v82
                                        ; implicit-def: $vgpr82
	s_and_saveexec_b64 s[44:45], vcc
	s_xor_b64 s[44:45], exec, s[44:45]
; %bb.43:                               ;   in Loop: Header=BB141_6 Depth=1
	v_bfe_u32 v82, v84, 16, 1
	v_add3_u32 v82, v84, v82, s33
; %bb.44:                               ;   in Loop: Header=BB141_6 Depth=1
	s_andn2_saveexec_b64 s[44:45], s[44:45]
; %bb.45:                               ;   in Loop: Header=BB141_6 Depth=1
	v_or_b32_e32 v82, 0x10000, v84
	v_cmp_eq_u32_sdwa vcc, v84, v98 src0_sel:WORD_0 src1_sel:DWORD
	v_cndmask_b32_e32 v82, v82, v84, vcc
; %bb.46:                               ;   in Loop: Header=BB141_6 Depth=1
	s_or_b64 exec, exec, s[44:45]
	v_and_b32_e32 v83, 0x7f800000, v85
	v_cmp_ne_u32_e32 vcc, s6, v83
                                        ; implicit-def: $vgpr83
	s_and_saveexec_b64 s[44:45], vcc
	s_xor_b64 s[44:45], exec, s[44:45]
; %bb.47:                               ;   in Loop: Header=BB141_6 Depth=1
	v_bfe_u32 v83, v85, 16, 1
	v_add3_u32 v83, v85, v83, s33
                                        ; implicit-def: $vgpr85
; %bb.48:                               ;   in Loop: Header=BB141_6 Depth=1
	s_andn2_saveexec_b64 s[44:45], s[44:45]
	s_cbranch_execz .LBB141_5
; %bb.49:                               ;   in Loop: Header=BB141_6 Depth=1
	v_or_b32_e32 v83, 0x10000, v85
	v_cmp_eq_u32_sdwa vcc, v85, v98 src0_sel:WORD_0 src1_sel:DWORD
	v_cndmask_b32_e32 v83, v83, v85, vcc
	s_branch .LBB141_5
.LBB141_50:
	s_or_b64 exec, exec, s[8:9]
	v_readlane_b32 s24, v101, 6
	v_readlane_b32 s26, v101, 9
	;; [unrolled: 1-line block ×8, first 2 shown]
.LBB141_51:
	v_readlane_b32 s0, v101, 4
	v_readlane_b32 s1, v101, 5
	s_or_b64 exec, exec, s[0:1]
	v_mul_u32_u24_e32 v16, 0x708, v93
	v_lshlrev_b32_e32 v17, 2, v92
	v_add3_u32 v16, 0, v16, v17
	v_and_b32_e32 v17, 0x3f0, v90
	v_add_u32_e32 v17, v16, v17
	s_barrier
	ds_write2_b32 v17, v8, v9 offset1:1
	ds_write_b32 v17, v10 offset:8
	v_or_b32_e32 v8, 12, v90
	v_and_b32_e32 v8, 0x3fc, v8
	v_add_u32_e32 v8, v16, v8
	v_cmp_gt_u32_e32 vcc, 4, v91
	ds_write_b32 v8, v11
	ds_write2_b32 v17, v4, v5 offset0:16 offset1:17
	ds_write_b32 v17, v6 offset:72
	ds_write_b32 v8, v7 offset:64
	ds_write2_b32 v17, v0, v1 offset0:32 offset1:33
	ds_write_b32 v17, v2 offset:136
	ds_write_b32 v8, v3 offset:128
	;; [unrolled: 3-line block ×3, first 2 shown]
	s_waitcnt lgkmcnt(0)
	s_barrier
	s_and_saveexec_b64 s[0:1], vcc
	s_cbranch_execz .LBB141_55
; %bb.52:
	s_cmp_gt_i32 s14, 0
	v_or_b32_e32 v0, s30, v91
	s_cselect_b64 s[0:1], -1, 0
	v_cmp_gt_i32_e32 vcc, s28, v0
	s_and_b64 s[0:1], s[0:1], vcc
	s_and_b64 exec, exec, s[0:1]
	s_cbranch_execz .LBB141_55
; %bb.53:
	s_lshl_b64 s[0:1], s[26:27], 2
	v_readlane_b32 s4, v101, 0
	v_readlane_b32 s5, v101, 1
	s_add_u32 s0, s4, s0
	v_ashrrev_i32_e32 v1, 31, v0
	s_addc_u32 s1, s5, s1
	v_lshlrev_b64 v[0:1], 2, v[0:1]
	v_mov_b32_e32 v2, s1
	v_add_co_u32_e32 v0, vcc, s0, v0
	v_addc_co_u32_e32 v1, vcc, v2, v1, vcc
	global_load_dword v0, v[0:1], off
	s_waitcnt vmcnt(0)
	v_mul_hi_u32 v1, v0, s19
	v_add_u32_e32 v1, v0, v1
	v_lshrrev_b32_e32 v1, s24, v1
	v_cmp_gt_i32_e32 vcc, s13, v1
	s_and_b64 exec, exec, vcc
	s_cbranch_execz .LBB141_55
; %bb.54:
	v_lshlrev_b32_e32 v2, 2, v90
	v_mul_u32_u24_e32 v3, 0x708, v91
	v_add3_u32 v8, 0, v2, v3
	ds_read2st64_b32 v[2:3], v8 offset1:1
	ds_read2st64_b32 v[4:5], v8 offset0:2 offset1:3
	ds_read2st64_b32 v[6:7], v8 offset0:4 offset1:5
	ds_read_b32 v8, v8 offset:1536
	v_readlane_b32 s0, v101, 2
	s_waitcnt lgkmcnt(3)
	v_add_f32_e32 v2, 0, v2
	v_add_f32_e32 v2, v2, v3
	s_waitcnt lgkmcnt(2)
	v_add_f32_e32 v2, v2, v4
	v_mul_lo_u32 v4, v1, s25
	v_sub_u32_e32 v0, v0, v4
	v_add_u32_e32 v3, s22, v90
	v_mul_lo_u32 v0, v0, s2
	v_mul_lo_u32 v1, v1, s21
	v_add_f32_e32 v2, v2, v5
	v_add3_u32 v0, v3, v1, v0
	v_mov_b32_e32 v1, 0
	s_waitcnt lgkmcnt(1)
	v_add_f32_e32 v2, v2, v6
	v_lshlrev_b64 v[0:1], 2, v[0:1]
	v_readlane_b32 s1, v101, 3
	v_add_f32_e32 v2, v2, v7
	v_mov_b32_e32 v3, s1
	v_add_co_u32_e32 v0, vcc, s0, v0
	s_waitcnt lgkmcnt(0)
	v_add_f32_e32 v2, v2, v8
	v_addc_co_u32_e32 v1, vcc, v3, v1, vcc
	global_store_dword v[0:1], v2, off
.LBB141_55:
	s_endpgm
	.section	.rodata,"a",@progbits
	.p2align	6, 0x0
	.amdhsa_kernel _ZL13mul_mat_f_idsI15__hip_bfloat162Li64ELi4ELi7EEvPKT_PKfPKiS7_S7_Pfiiiiiiiiiiiiii15HIP_vector_typeIjLj3EESA_
		.amdhsa_group_segment_fixed_size 0
		.amdhsa_private_segment_fixed_size 0
		.amdhsa_kernarg_size 128
		.amdhsa_user_sgpr_count 6
		.amdhsa_user_sgpr_private_segment_buffer 1
		.amdhsa_user_sgpr_dispatch_ptr 0
		.amdhsa_user_sgpr_queue_ptr 0
		.amdhsa_user_sgpr_kernarg_segment_ptr 1
		.amdhsa_user_sgpr_dispatch_id 0
		.amdhsa_user_sgpr_flat_scratch_init 0
		.amdhsa_user_sgpr_kernarg_preload_length 0
		.amdhsa_user_sgpr_kernarg_preload_offset 0
		.amdhsa_user_sgpr_private_segment_size 0
		.amdhsa_uses_dynamic_stack 0
		.amdhsa_system_sgpr_private_segment_wavefront_offset 0
		.amdhsa_system_sgpr_workgroup_id_x 1
		.amdhsa_system_sgpr_workgroup_id_y 1
		.amdhsa_system_sgpr_workgroup_id_z 1
		.amdhsa_system_sgpr_workgroup_info 0
		.amdhsa_system_vgpr_workitem_id 1
		.amdhsa_next_free_vgpr 102
		.amdhsa_next_free_sgpr 96
		.amdhsa_accum_offset 104
		.amdhsa_reserve_vcc 1
		.amdhsa_reserve_flat_scratch 0
		.amdhsa_float_round_mode_32 0
		.amdhsa_float_round_mode_16_64 0
		.amdhsa_float_denorm_mode_32 3
		.amdhsa_float_denorm_mode_16_64 3
		.amdhsa_dx10_clamp 1
		.amdhsa_ieee_mode 1
		.amdhsa_fp16_overflow 0
		.amdhsa_tg_split 0
		.amdhsa_exception_fp_ieee_invalid_op 0
		.amdhsa_exception_fp_denorm_src 0
		.amdhsa_exception_fp_ieee_div_zero 0
		.amdhsa_exception_fp_ieee_overflow 0
		.amdhsa_exception_fp_ieee_underflow 0
		.amdhsa_exception_fp_ieee_inexact 0
		.amdhsa_exception_int_div_zero 0
	.end_amdhsa_kernel
	.section	.text._ZL13mul_mat_f_idsI15__hip_bfloat162Li64ELi4ELi7EEvPKT_PKfPKiS7_S7_Pfiiiiiiiiiiiiii15HIP_vector_typeIjLj3EESA_,"axG",@progbits,_ZL13mul_mat_f_idsI15__hip_bfloat162Li64ELi4ELi7EEvPKT_PKfPKiS7_S7_Pfiiiiiiiiiiiiii15HIP_vector_typeIjLj3EESA_,comdat
.Lfunc_end141:
	.size	_ZL13mul_mat_f_idsI15__hip_bfloat162Li64ELi4ELi7EEvPKT_PKfPKiS7_S7_Pfiiiiiiiiiiiiii15HIP_vector_typeIjLj3EESA_, .Lfunc_end141-_ZL13mul_mat_f_idsI15__hip_bfloat162Li64ELi4ELi7EEvPKT_PKfPKiS7_S7_Pfiiiiiiiiiiiiii15HIP_vector_typeIjLj3EESA_
                                        ; -- End function
	.section	.AMDGPU.csdata,"",@progbits
; Kernel info:
; codeLenInByte = 6100
; NumSgprs: 100
; NumVgprs: 102
; NumAgprs: 0
; TotalNumVgprs: 102
; ScratchSize: 0
; MemoryBound: 0
; FloatMode: 240
; IeeeMode: 1
; LDSByteSize: 0 bytes/workgroup (compile time only)
; SGPRBlocks: 12
; VGPRBlocks: 12
; NumSGPRsForWavesPerEU: 100
; NumVGPRsForWavesPerEU: 102
; AccumOffset: 104
; Occupancy: 4
; WaveLimiterHint : 1
; COMPUTE_PGM_RSRC2:SCRATCH_EN: 0
; COMPUTE_PGM_RSRC2:USER_SGPR: 6
; COMPUTE_PGM_RSRC2:TRAP_HANDLER: 0
; COMPUTE_PGM_RSRC2:TGID_X_EN: 1
; COMPUTE_PGM_RSRC2:TGID_Y_EN: 1
; COMPUTE_PGM_RSRC2:TGID_Z_EN: 1
; COMPUTE_PGM_RSRC2:TIDIG_COMP_CNT: 1
; COMPUTE_PGM_RSRC3_GFX90A:ACCUM_OFFSET: 25
; COMPUTE_PGM_RSRC3_GFX90A:TG_SPLIT: 0
	.section	.text._ZL9mul_mat_fI15__hip_bfloat162Li64ELi4ELi7ELb1EEvPKT_PKfPKiPfiiiiiiiiiiiiiiii,"axG",@progbits,_ZL9mul_mat_fI15__hip_bfloat162Li64ELi4ELi7ELb1EEvPKT_PKfPKiPfiiiiiiiiiiiiiiii,comdat
	.globl	_ZL9mul_mat_fI15__hip_bfloat162Li64ELi4ELi7ELb1EEvPKT_PKfPKiPfiiiiiiiiiiiiiiii ; -- Begin function _ZL9mul_mat_fI15__hip_bfloat162Li64ELi4ELi7ELb1EEvPKT_PKfPKiPfiiiiiiiiiiiiiiii
	.p2align	8
	.type	_ZL9mul_mat_fI15__hip_bfloat162Li64ELi4ELi7ELb1EEvPKT_PKfPKiPfiiiiiiiiiiiiiiii,@function
_ZL9mul_mat_fI15__hip_bfloat162Li64ELi4ELi7ELb1EEvPKT_PKfPKiPfiiiiiiiiiiiiiiii: ; @_ZL9mul_mat_fI15__hip_bfloat162Li64ELi4ELi7ELb1EEvPKT_PKfPKiPfiiiiiiiiiiiiiiii
; %bb.0:
	s_load_dwordx8 s[12:19], s[4:5], 0x20
	v_and_b32_e32 v16, 0x3ff, v0
	v_bfe_u32 v17, v0, 10, 10
	v_cmp_eq_u32_e32 vcc, 0, v16
	s_waitcnt lgkmcnt(0)
	s_add_i32 s0, s13, 3
	s_ashr_i32 s1, s0, 31
	s_lshr_b32 s1, s1, 30
	s_add_i32 s0, s0, s1
	s_ashr_i32 s0, s0, 2
	v_cvt_f32_u32_e32 v1, s0
	s_load_dwordx4 s[20:23], s[4:5], 0x44
	s_load_dword s1, s[4:5], 0x64
	s_sub_i32 s2, 0, s0
	s_add_u32 s10, s4, 0x60
	v_rcp_iflag_f32_e32 v1, v1
	s_addc_u32 s11, s5, 0
	v_mul_f32_e32 v1, 0x4f7ffffe, v1
	v_cvt_u32_f32_e32 v1, v1
	v_readfirstlane_b32 s3, v1
	s_mul_i32 s2, s2, s3
	s_mul_hi_u32 s2, s3, s2
	s_add_i32 s3, s3, s2
	s_waitcnt lgkmcnt(0)
	s_mul_hi_u32 s2, s1, s3
	s_mul_i32 s3, s2, s0
	s_sub_i32 s1, s1, s3
	s_add_i32 s9, s2, 1
	s_sub_i32 s3, s1, s0
	s_cmp_ge_u32 s1, s0
	s_cselect_b32 s2, s9, s2
	s_cselect_b32 s1, s3, s1
	s_add_i32 s3, s2, 1
	s_cmp_ge_u32 s1, s0
	s_cselect_b32 s2, s3, s2
	v_cvt_f32_u32_e32 v1, s2
	s_abs_i32 s33, s23
	v_cvt_f32_u32_e32 v2, s33
	s_sub_i32 s0, 0, s2
	v_rcp_iflag_f32_e32 v1, v1
	s_sub_i32 s1, 0, s33
	v_rcp_iflag_f32_e32 v2, v2
	v_mul_f32_e32 v1, 0x4f7ffffe, v1
	v_cvt_u32_f32_e32 v1, v1
	v_mul_f32_e32 v2, 0x4f7ffffe, v2
	v_cvt_u32_f32_e32 v2, v2
	v_readfirstlane_b32 s3, v1
	s_mul_i32 s0, s0, s3
	v_readfirstlane_b32 s34, v2
	s_mul_hi_u32 s0, s3, s0
	s_mul_i32 s1, s1, s34
	s_add_i32 s3, s3, s0
	s_mul_hi_u32 s9, s34, s1
	s_mul_hi_u32 s3, s7, s3
	s_and_saveexec_b64 s[0:1], vcc
	s_cbranch_execz .LBB142_2
; %bb.1:
	v_mov_b32_e32 v1, 0x100
	v_lshl_add_u32 v1, v17, 2, v1
	v_mov_b32_e32 v2, -1
	ds_write_b32 v1, v2
.LBB142_2:
	s_or_b64 exec, exec, s[0:1]
	s_mul_i32 s0, s3, s2
	s_load_dwordx4 s[24:27], s[4:5], 0x54
	s_sub_i32 s0, s7, s0
	s_waitcnt lgkmcnt(0)
	s_abs_i32 s27, s8
	s_add_i32 s34, s34, s9
	s_add_i32 s1, s3, 1
	s_sub_i32 s9, s0, s2
	s_cmp_ge_u32 s0, s2
	s_cselect_b32 s1, s1, s3
	s_cselect_b32 s0, s9, s0
	s_add_i32 s3, s1, 1
	s_cmp_ge_u32 s0, s2
	s_cselect_b32 s0, s3, s1
	s_lshl_b32 s9, s0, 2
	s_mul_i32 s1, s0, s2
	v_add_u32_e32 v1, s9, v17
	s_sub_i32 s7, s7, s1
	v_cmp_gt_i32_e32 vcc, s13, v1
	v_mov_b32_e32 v1, 0
	s_and_saveexec_b64 s[2:3], vcc
	s_cbranch_execz .LBB142_10
; %bb.3:
	v_cmp_gt_i32_e32 vcc, s14, v16
	v_mov_b32_e32 v1, 0
	s_and_saveexec_b64 s[28:29], vcc
	s_cbranch_execz .LBB142_9
; %bb.4:
	s_load_dwordx2 s[0:1], s[4:5], 0x10
	s_mul_hi_i32 s31, s9, s19
	s_mul_i32 s30, s9, s19
	v_mul_lo_u32 v2, v17, s19
	s_lshl_b64 s[30:31], s[30:31], 2
	s_waitcnt lgkmcnt(0)
	s_add_u32 s0, s0, s30
	v_ashrrev_i32_e32 v3, 31, v2
	s_addc_u32 s1, s1, s31
	v_lshlrev_b64 v[2:3], 2, v[2:3]
	v_mov_b32_e32 v4, s1
	v_add_co_u32_e32 v1, vcc, s0, v2
	v_mov_b32_e32 v2, 0x100
	v_addc_co_u32_e32 v4, vcc, v4, v3, vcc
	v_lshl_add_u32 v5, v17, 2, v2
	v_mul_lo_u32 v2, v16, s18
	s_lshl_b32 s35, s18, 6
	s_mov_b64 s[18:19], 0
	v_mov_b32_e32 v6, 0
	v_mov_b32_e32 v7, v16
	s_branch .LBB142_6
.LBB142_5:                              ;   in Loop: Header=BB142_6 Depth=1
	s_or_b64 exec, exec, s[30:31]
	v_add_u32_e32 v7, 64, v7
	v_cmp_le_i32_e64 s[0:1], s14, v7
	s_xor_b64 s[30:31], vcc, -1
	s_or_b64 s[0:1], s[30:31], s[0:1]
	s_and_b64 s[0:1], exec, s[0:1]
	s_or_b64 s[18:19], s[0:1], s[18:19]
	v_add_u32_e32 v2, s35, v2
	s_andn2_b64 exec, exec, s[18:19]
	s_cbranch_execz .LBB142_8
.LBB142_6:                              ; =>This Inner Loop Header: Depth=1
	v_ashrrev_i32_e32 v3, 31, v2
	v_lshlrev_b64 v[8:9], 2, v[2:3]
	v_add_co_u32_e32 v8, vcc, v1, v8
	v_addc_co_u32_e32 v9, vcc, v4, v9, vcc
	global_load_dword v3, v[8:9], off
	s_waitcnt vmcnt(0)
	v_cmp_ne_u32_e32 vcc, s7, v3
	v_cmp_eq_u32_e64 s[0:1], s7, v3
	s_and_saveexec_b64 s[30:31], s[0:1]
	s_cbranch_execz .LBB142_5
; %bb.7:                                ;   in Loop: Header=BB142_6 Depth=1
	v_mov_b32_e32 v6, 1
	ds_write_b32 v5, v7
	s_branch .LBB142_5
.LBB142_8:
	s_or_b64 exec, exec, s[18:19]
	v_cmp_ne_u32_e32 vcc, 0, v6
	v_cndmask_b32_e64 v1, 0, 1, vcc
.LBB142_9:
	s_or_b64 exec, exec, s[28:29]
.LBB142_10:
	s_or_b64 exec, exec, s[2:3]
	s_load_dwordx2 s[0:1], s[10:11], 0xc
	s_load_dwordx4 s[28:31], s[4:5], 0x0
	s_load_dwordx2 s[18:19], s[4:5], 0x18
	v_or_b32_dpp v1, v1, v1 row_shl:1 row_mask:0xf bank_mask:0xf bound_ctrl:1
	s_mul_hi_u32 s2, s27, s34
	s_waitcnt lgkmcnt(0)
	s_and_b32 s3, s1, 0xffff
	s_lshr_b32 s1, s0, 16
	s_and_b32 s0, s0, 0xffff
	v_or_b32_dpp v1, v1, v1 row_shl:2 row_mask:0xf bank_mask:0xf bound_ctrl:1
	s_mul_i32 s4, s1, s0
	s_bfe_i32 s4, s4, 0x180000
	v_or_b32_dpp v1, v1, v1 row_shl:4 row_mask:0xf bank_mask:0xf bound_ctrl:1
	s_mul_i32 s3, s4, s3
	s_add_i32 s4, s3, 63
	v_or_b32_dpp v1, v1, v1 row_shl:8 row_mask:0xf bank_mask:0xf bound_ctrl:1
	s_bitcmp1_b32 exec_hi, 0
	s_nop 0
	v_mov_b32_dpp v2, v1 wave_shl:1 row_mask:0xf bank_mask:0xf bound_ctrl:1
	s_nop 1
	v_or_b32_dpp v1, v2, v1 row_mirror row_mask:0xf bank_mask:0xf bound_ctrl:1
	v_readlane_b32 s3, v1, 32
	s_cselect_b32 s3, s3, 0
	v_readlane_b32 s5, v1, 0
	s_or_b32 s3, s3, s5
	s_andn2_b32 s4, s4, 63
	s_cmp_lg_u32 s4, 64
	v_mov_b32_e32 v1, s3
	s_cbranch_scc0 .LBB142_17
; %bb.11:
	v_bfe_u32 v0, v0, 20, 10
	v_mbcnt_lo_u32_b32 v1, -1, 0
	v_mad_u32_u24 v0, v0, s1, v17
	v_mbcnt_hi_u32_b32 v2, -1, v1
	v_mad_u64_u32 v[0:1], s[0:1], v0, s0, v[16:17]
	v_lshrrev_b32_e32 v1, 6, v0
	v_or_b32_e32 v1, v2, v1
	v_cmp_eq_u32_e32 vcc, 0, v1
	s_and_saveexec_b64 s[0:1], vcc
	s_cbranch_execz .LBB142_13
; %bb.12:
	v_mov_b32_e32 v1, 0
	v_mov_b32_e32 v3, s3
	ds_write_b32 v1, v3
.LBB142_13:
	s_or_b64 exec, exec, s[0:1]
	v_cmp_eq_u32_e32 vcc, 0, v2
	v_cmp_lt_u32_e64 s[0:1], 63, v0
	s_and_b64 s[4:5], s[0:1], vcc
	s_waitcnt lgkmcnt(0)
	s_barrier
	s_and_saveexec_b64 s[0:1], s[4:5]
	s_cbranch_execz .LBB142_16
; %bb.14:
	v_mbcnt_lo_u32_b32 v0, exec_lo, 0
	v_mbcnt_hi_u32_b32 v0, exec_hi, v0
	v_cmp_eq_u32_e32 vcc, 0, v0
	s_and_b64 exec, exec, vcc
	s_cbranch_execz .LBB142_16
; %bb.15:
	v_mov_b32_e32 v0, 0
	v_mov_b32_e32 v1, s3
	ds_or_b32 v0, v1
.LBB142_16:
	s_or_b64 exec, exec, s[0:1]
	v_mov_b32_e32 v0, 0
	s_waitcnt lgkmcnt(0)
	s_barrier
	ds_read_b32 v1, v0
	s_waitcnt lgkmcnt(0)
	s_barrier
.LBB142_17:
	v_cmp_ne_u32_e32 vcc, 0, v1
	s_ashr_i32 s3, s8, 31
	s_ashr_i32 s4, s23, 31
	s_cbranch_vccz .LBB142_71
; %bb.18:
	v_lshlrev_b32_e32 v86, 6, v17
	v_add_u32_e32 v88, v86, v16
	v_cmp_le_i32_e32 vcc, s12, v88
	v_and_b32_e32 v87, 15, v16
                                        ; implicit-def: $sgpr5
	s_and_saveexec_b64 s[0:1], vcc
	s_xor_b64 s[0:1], exec, s[0:1]
; %bb.19:
	v_and_b32_e32 v87, 15, v16
	s_mov_b32 s5, 0
                                        ; implicit-def: $vgpr88
; %bb.20:
	s_or_saveexec_b64 s[0:1], s[0:1]
	s_lshl_b32 s23, s6, 6
	v_mov_b32_e32 v11, s5
	v_mov_b32_e32 v10, s5
	;; [unrolled: 1-line block ×16, first 2 shown]
	s_xor_b64 exec, exec, s[0:1]
	s_cbranch_execz .LBB142_68
; %bb.21:
	s_xor_b32 s3, s3, s4
	s_mul_i32 s4, s2, s33
	s_sub_i32 s4, s27, s4
	s_add_i32 s5, s2, 1
	s_sub_i32 s6, s4, s33
	s_cmp_ge_u32 s4, s33
	s_cselect_b32 s2, s5, s2
	s_cselect_b32 s4, s6, s4
	s_add_i32 s5, s2, 1
	s_cmp_ge_u32 s4, s33
	s_cselect_b32 s2, s5, s2
	s_xor_b32 s2, s2, s3
	s_sub_i32 s2, s2, s3
	s_mul_hi_i32 s3, s2, s24
	s_mul_i32 s2, s2, s24
	s_mul_i32 s4, s7, s20
	s_ashr_i32 s5, s4, 31
	s_lshl_b64 s[2:3], s[2:3], 2
	s_add_u32 s7, s28, s2
	s_addc_u32 s10, s29, s3
	s_lshl_b64 s[34:35], s[4:5], 2
	s_mul_i32 s6, s23, s15
	s_add_u32 s4, s7, s34
	s_addc_u32 s5, s10, s35
	s_ashr_i32 s7, s6, 31
	s_lshl_b64 s[36:37], s[6:7], 2
	s_add_u32 s20, s4, s36
	s_movk_i32 s4, 0x1080
	v_mov_b32_e32 v89, 0x100
	s_addc_u32 s14, s5, s37
	v_mad_u32_u24 v0, v17, s4, v89
	s_mul_hi_i32 s5, s25, s8
	s_mul_i32 s4, s25, s8
	s_mul_hi_i32 s7, s16, s9
	s_mul_i32 s6, s16, s9
	s_lshl_b64 s[6:7], s[6:7], 3
	s_lshl_b64 s[4:5], s[4:5], 2
	s_add_u32 s4, s30, s4
	s_addc_u32 s5, s31, s5
	s_add_u32 s27, s4, s6
	s_addc_u32 s30, s5, s7
	s_cmp_lt_i32 s9, s13
	s_cselect_b64 s[4:5], -1, 0
	s_or_b32 s6, s9, 1
	s_cmp_lt_i32 s6, s13
                                        ; implicit-def: $vgpr102 : SGPR spill to VGPR lane
	s_cselect_b64 s[6:7], -1, 0
	s_or_b32 s10, s9, 2
	v_writelane_b32 v102, s18, 0
	s_cmp_lt_i32 s10, s13
	v_writelane_b32 v102, s19, 1
	s_cselect_b64 s[10:11], -1, 0
	s_lshl_b32 s31, s16, 2
	s_or_b32 s18, s9, 3
	s_cmp_lt_i32 s18, s13
	s_cselect_b64 s[18:19], -1, 0
	s_ashr_i32 s25, s15, 31
	s_mov_b32 s24, s15
	s_lshl_b64 s[24:25], s[24:25], 2
	s_add_u32 s2, s2, s36
	s_addc_u32 s3, s3, s37
	v_lshrrev_b32_e32 v2, 1, v16
	s_add_u32 s2, s2, s34
	v_mul_u32_u24_e32 v1, 0x108, v87
	v_and_b32_e32 v2, 0x1f8, v2
	s_addc_u32 s3, s3, s35
	v_lshl_add_u32 v90, v16, 2, v0
	v_add3_u32 v91, v0, v1, v2
	v_lshlrev_b32_e32 v0, 1, v16
	s_add_u32 s2, s28, s2
	v_lshl_add_u32 v92, v17, 7, v0
	v_lshlrev_b32_e32 v0, 2, v88
	s_addc_u32 s3, s29, s3
	v_mov_b32_e32 v1, s3
	v_add_co_u32_e32 v18, vcc, s2, v0
	v_mov_b32_e32 v94, 0
	v_addc_co_u32_e32 v19, vcc, 0, v1, vcc
	s_mul_i32 s33, s16, 6
	s_lshl_b32 s16, s16, 1
	s_lshl_b32 s34, s15, 1
	s_mul_i32 s35, s15, 3
	s_lshl_b32 s36, s15, 2
	s_mul_i32 s37, s15, 5
	s_mul_i32 s38, s15, 6
	;; [unrolled: 1-line block ×3, first 2 shown]
	s_lshl_b32 s40, s15, 3
	s_mul_i32 s41, s15, 9
	s_mul_i32 s42, s15, 10
	;; [unrolled: 1-line block ×7, first 2 shown]
	s_lshl_b32 s48, s15, 4
	s_mul_i32 s49, s15, 17
	s_mul_i32 s50, s15, 18
	s_mul_i32 s51, s15, 19
	s_mul_i32 s52, s15, 20
	s_mul_i32 s53, s15, 21
	s_mul_i32 s54, s15, 22
	s_mul_i32 s55, s15, 23
	s_mul_i32 s56, s15, 24
	s_mul_i32 s57, s15, 25
	s_mul_i32 s58, s15, 26
	s_mul_i32 s59, s15, 27
	s_mul_i32 s60, s15, 28
	s_mul_i32 s61, s15, 29
	s_mul_i32 s62, s15, 30
	s_mul_i32 s63, s15, 31
	s_lshl_b32 s64, s15, 5
	s_mul_i32 s65, s15, 33
	s_mul_i32 s66, s15, 34
	;; [unrolled: 1-line block ×26, first 2 shown]
	v_mov_b32_e32 v93, s14
	s_mul_i32 s91, s15, 59
	v_mov_b32_e32 v95, s25
	v_mov_b32_e32 v12, 0
	;; [unrolled: 1-line block ×17, first 2 shown]
	s_mul_i32 s25, s15, 60
	s_mul_i32 s92, s15, 61
	;; [unrolled: 1-line block ×4, first 2 shown]
	s_mov_b32 s95, 0x7f800000
	s_movk_i32 s2, 0x7fff
	s_mov_b32 s3, 0x7060302
	s_mov_b64 s[14:15], 0
	s_branch .LBB142_23
.LBB142_22:                             ;   in Loop: Header=BB142_23 Depth=1
	s_or_b64 exec, exec, s[28:29]
	v_perm_b32 v84, v84, v96, s3
	v_add_u32_e32 v85, 0x200, v90
	ds_write2_b32 v85, v84, v94 offset0:86 offset1:152
	v_add_u32_e32 v84, 0x400, v90
	ds_write2_b32 v84, v94, v94 offset0:90 offset1:156
	;; [unrolled: 2-line block ×6, first 2 shown]
	ds_write_b32 v90, v94 offset:4024
	ds_read2_b64 v[96:99], v91 offset0:8 offset1:12
	s_waitcnt lgkmcnt(0)
	v_mfma_f32_16x16x16bf16_1k v[8:11], v[36:37], v[96:97], v[8:11]
	v_add_co_u32_e32 v18, vcc, 0x700, v18
	v_add_u32_e32 v88, 0x1c0, v88
	v_addc_co_u32_e32 v19, vcc, 0, v19, vcc
	v_cmp_le_i32_e32 vcc, s12, v88
	v_add_u32_e32 v92, 0x380, v92
	v_mfma_f32_16x16x16bf16_1k v[4:7], v[52:53], v[96:97], v[4:7]
	s_or_b64 s[14:15], vcc, s[14:15]
	v_mfma_f32_16x16x16bf16_1k v[0:3], v[66:67], v[96:97], v[0:3]
	v_mfma_f32_16x16x16bf16_1k v[12:15], v[82:83], v[96:97], v[12:15]
	;; [unrolled: 1-line block ×4, first 2 shown]
	ds_read2_b64 v[50:53], v91 offset0:16 offset1:20
	v_mfma_f32_16x16x16bf16_1k v[0:3], v[64:65], v[98:99], v[0:3]
	v_mfma_f32_16x16x16bf16_1k v[12:15], v[80:81], v[98:99], v[12:15]
	s_waitcnt lgkmcnt(0)
	v_mfma_f32_16x16x16bf16_1k v[8:11], v[30:31], v[50:51], v[8:11]
	v_mfma_f32_16x16x16bf16_1k v[4:7], v[46:47], v[50:51], v[4:7]
	;; [unrolled: 1-line block ×5, first 2 shown]
	ds_read2_b64 v[28:31], v91 offset0:24 offset1:28
	v_mfma_f32_16x16x16bf16_1k v[4:7], v[44:45], v[52:53], v[4:7]
	v_mfma_f32_16x16x16bf16_1k v[0:3], v[60:61], v[52:53], v[0:3]
	;; [unrolled: 1-line block ×3, first 2 shown]
	s_waitcnt lgkmcnt(0)
	v_mfma_f32_16x16x16bf16_1k v[8:11], v[26:27], v[28:29], v[8:11]
	v_mfma_f32_16x16x16bf16_1k v[4:7], v[42:43], v[28:29], v[4:7]
	;; [unrolled: 1-line block ×5, first 2 shown]
	ds_read2_b64 v[24:27], v91 offset0:32 offset1:36
	v_mfma_f32_16x16x16bf16_1k v[4:7], v[40:41], v[30:31], v[4:7]
	v_mfma_f32_16x16x16bf16_1k v[0:3], v[56:57], v[30:31], v[0:3]
	;; [unrolled: 1-line block ×3, first 2 shown]
	s_waitcnt lgkmcnt(0)
	v_mfma_f32_16x16x16bf16_1k v[8:11], v[22:23], v[24:25], v[8:11]
	v_mfma_f32_16x16x16bf16_1k v[4:7], v[38:39], v[24:25], v[4:7]
	;; [unrolled: 1-line block ×8, first 2 shown]
	s_andn2_b64 exec, exec, s[14:15]
	s_cbranch_execz .LBB142_67
.LBB142_23:                             ; =>This Inner Loop Header: Depth=1
	v_add_co_u32_e32 v20, vcc, s24, v18
	v_addc_co_u32_e32 v21, vcc, v19, v95, vcc
	global_load_dword v32, v[18:19], off
	global_load_dword v33, v[20:21], off
	v_add_u32_e32 v20, s34, v88
	v_ashrrev_i32_e32 v21, 31, v20
	v_lshlrev_b64 v[20:21], 2, v[20:21]
	v_add_u32_e32 v22, s35, v88
	v_add_co_u32_e32 v20, vcc, s20, v20
	v_ashrrev_i32_e32 v23, 31, v22
	v_addc_co_u32_e32 v21, vcc, v93, v21, vcc
	v_lshlrev_b64 v[22:23], 2, v[22:23]
	v_add_u32_e32 v24, s36, v88
	v_add_co_u32_e32 v22, vcc, s20, v22
	v_ashrrev_i32_e32 v25, 31, v24
	v_addc_co_u32_e32 v23, vcc, v93, v23, vcc
	v_lshlrev_b64 v[24:25], 2, v[24:25]
	v_add_u32_e32 v26, s37, v88
	v_add_co_u32_e32 v24, vcc, s20, v24
	v_ashrrev_i32_e32 v27, 31, v26
	v_addc_co_u32_e32 v25, vcc, v93, v25, vcc
	v_lshlrev_b64 v[26:27], 2, v[26:27]
	v_add_u32_e32 v28, s38, v88
	v_add_co_u32_e32 v26, vcc, s20, v26
	v_ashrrev_i32_e32 v29, 31, v28
	v_addc_co_u32_e32 v27, vcc, v93, v27, vcc
	v_lshlrev_b64 v[28:29], 2, v[28:29]
	v_add_u32_e32 v30, s39, v88
	v_add_co_u32_e32 v28, vcc, s20, v28
	v_ashrrev_i32_e32 v31, 31, v30
	v_addc_co_u32_e32 v29, vcc, v93, v29, vcc
	v_lshlrev_b64 v[30:31], 2, v[30:31]
	v_add_co_u32_e32 v30, vcc, s20, v30
	v_addc_co_u32_e32 v31, vcc, v93, v31, vcc
	global_load_dword v34, v[20:21], off
	global_load_dword v35, v[22:23], off
	;; [unrolled: 1-line block ×3, first 2 shown]
	s_nop 0
	global_load_dword v26, v[26:27], off
	s_nop 0
	global_load_dword v27, v[28:29], off
	;; [unrolled: 2-line block ×3, first 2 shown]
	v_add_u32_e32 v20, s40, v88
	v_ashrrev_i32_e32 v21, 31, v20
	v_add_u32_e32 v22, s41, v88
	v_lshlrev_b64 v[20:21], 2, v[20:21]
	v_ashrrev_i32_e32 v23, 31, v22
	v_add_co_u32_e32 v20, vcc, s20, v20
	v_add_u32_e32 v24, s42, v88
	v_lshlrev_b64 v[22:23], 2, v[22:23]
	v_addc_co_u32_e32 v21, vcc, v93, v21, vcc
	v_ashrrev_i32_e32 v25, 31, v24
	v_add_co_u32_e32 v22, vcc, s20, v22
	v_lshlrev_b64 v[24:25], 2, v[24:25]
	v_addc_co_u32_e32 v23, vcc, v93, v23, vcc
	global_load_dword v20, v[20:21], off
	s_nop 0
	global_load_dword v21, v[22:23], off
	v_add_u32_e32 v22, s43, v88
	v_add_co_u32_e32 v24, vcc, s20, v24
	v_ashrrev_i32_e32 v23, 31, v22
	v_addc_co_u32_e32 v25, vcc, v93, v25, vcc
	v_lshlrev_b64 v[22:23], 2, v[22:23]
	v_add_u32_e32 v60, s73, v88
	v_ashrrev_i32_e32 v61, 31, v60
	v_lshlrev_b64 v[60:61], 2, v[60:61]
	s_waitcnt vmcnt(9)
	ds_write_b32 v90, v32 offset:64
	s_waitcnt vmcnt(8)
	ds_write_b32 v90, v33 offset:328
	;; [unrolled: 2-line block ×8, first 2 shown]
	v_add_co_u32_e32 v26, vcc, s20, v22
	v_add_u32_e32 v22, s44, v88
	v_addc_co_u32_e32 v27, vcc, v93, v23, vcc
	v_ashrrev_i32_e32 v23, 31, v22
	v_lshlrev_b64 v[22:23], 2, v[22:23]
	v_add_co_u32_e32 v28, vcc, s20, v22
	v_add_u32_e32 v22, s45, v88
	v_addc_co_u32_e32 v29, vcc, v93, v23, vcc
	v_ashrrev_i32_e32 v23, 31, v22
	v_lshlrev_b64 v[22:23], 2, v[22:23]
	;; [unrolled: 5-line block ×6, first 2 shown]
	v_add_co_u32_e32 v38, vcc, s20, v22
	v_addc_co_u32_e32 v39, vcc, v93, v23, vcc
	global_load_dword v22, v[24:25], off
	global_load_dword v23, v[26:27], off
	s_nop 0
	global_load_dword v24, v[28:29], off
	global_load_dword v25, v[30:31], off
	;; [unrolled: 1-line block ×4, first 2 shown]
	s_nop 0
	global_load_dword v34, v[36:37], off
	global_load_dword v35, v[38:39], off
	v_add_u32_e32 v28, s50, v88
	v_ashrrev_i32_e32 v29, 31, v28
	v_lshlrev_b64 v[28:29], 2, v[28:29]
	v_add_u32_e32 v30, s51, v88
	v_add_co_u32_e32 v28, vcc, s20, v28
	v_ashrrev_i32_e32 v31, 31, v30
	v_addc_co_u32_e32 v29, vcc, v93, v29, vcc
	v_lshlrev_b64 v[30:31], 2, v[30:31]
	v_add_u32_e32 v32, s52, v88
	v_add_co_u32_e32 v30, vcc, s20, v30
	v_ashrrev_i32_e32 v33, 31, v32
	v_addc_co_u32_e32 v31, vcc, v93, v31, vcc
	;; [unrolled: 5-line block ×4, first 2 shown]
	v_lshlrev_b64 v[38:39], 2, v[38:39]
	v_add_co_u32_e32 v42, vcc, s20, v38
	v_add_u32_e32 v38, s55, v88
	v_addc_co_u32_e32 v43, vcc, v93, v39, vcc
	v_ashrrev_i32_e32 v39, 31, v38
	v_lshlrev_b64 v[38:39], 2, v[38:39]
	v_add_co_u32_e32 v44, vcc, s20, v38
	v_add_u32_e32 v38, s56, v88
	v_addc_co_u32_e32 v45, vcc, v93, v39, vcc
	v_ashrrev_i32_e32 v39, 31, v38
	;; [unrolled: 5-line block ×3, first 2 shown]
	v_lshlrev_b64 v[38:39], 2, v[38:39]
	v_add_co_u32_e32 v48, vcc, s20, v38
	v_addc_co_u32_e32 v49, vcc, v93, v39, vcc
	global_load_dword v38, v[28:29], off
	global_load_dword v39, v[30:31], off
	;; [unrolled: 1-line block ×4, first 2 shown]
	s_nop 0
	global_load_dword v42, v[42:43], off
	s_nop 0
	global_load_dword v43, v[44:45], off
	;; [unrolled: 2-line block ×3, first 2 shown]
	global_load_dword v45, v[48:49], off
	v_add_u32_e32 v28, s58, v88
	v_ashrrev_i32_e32 v29, 31, v28
	v_lshlrev_b64 v[28:29], 2, v[28:29]
	v_add_u32_e32 v30, s59, v88
	v_add_co_u32_e32 v28, vcc, s20, v28
	v_ashrrev_i32_e32 v31, 31, v30
	v_addc_co_u32_e32 v29, vcc, v93, v29, vcc
	v_lshlrev_b64 v[30:31], 2, v[30:31]
	v_add_u32_e32 v32, s60, v88
	v_add_co_u32_e32 v30, vcc, s20, v30
	v_ashrrev_i32_e32 v33, 31, v32
	v_addc_co_u32_e32 v31, vcc, v93, v31, vcc
	;; [unrolled: 5-line block ×4, first 2 shown]
	v_lshlrev_b64 v[46:47], 2, v[46:47]
	v_add_co_u32_e32 v48, vcc, s20, v46
	v_add_u32_e32 v46, s63, v88
	v_addc_co_u32_e32 v49, vcc, v93, v47, vcc
	v_ashrrev_i32_e32 v47, 31, v46
	v_lshlrev_b64 v[46:47], 2, v[46:47]
	v_add_co_u32_e32 v54, vcc, s20, v46
	v_add_u32_e32 v46, s64, v88
	v_addc_co_u32_e32 v55, vcc, v93, v47, vcc
	v_ashrrev_i32_e32 v47, 31, v46
	;; [unrolled: 5-line block ×3, first 2 shown]
	v_lshlrev_b64 v[46:47], 2, v[46:47]
	v_add_co_u32_e32 v58, vcc, s20, v46
	v_addc_co_u32_e32 v59, vcc, v93, v47, vcc
	global_load_dword v46, v[28:29], off
	global_load_dword v47, v[30:31], off
	;; [unrolled: 1-line block ×6, first 2 shown]
	s_nop 0
	global_load_dword v48, v[56:57], off
	global_load_dword v49, v[58:59], off
	v_add_u32_e32 v28, s66, v88
	v_ashrrev_i32_e32 v29, 31, v28
	v_lshlrev_b64 v[28:29], 2, v[28:29]
	v_add_u32_e32 v30, s67, v88
	v_add_co_u32_e32 v28, vcc, s20, v28
	v_ashrrev_i32_e32 v31, 31, v30
	v_addc_co_u32_e32 v29, vcc, v93, v29, vcc
	v_lshlrev_b64 v[30:31], 2, v[30:31]
	v_add_u32_e32 v32, s68, v88
	v_add_co_u32_e32 v30, vcc, s20, v30
	v_ashrrev_i32_e32 v33, 31, v32
	v_addc_co_u32_e32 v31, vcc, v93, v31, vcc
	;; [unrolled: 5-line block ×6, first 2 shown]
	v_lshlrev_b64 v[58:59], 2, v[58:59]
	v_add_co_u32_e32 v58, vcc, s20, v58
	v_addc_co_u32_e32 v59, vcc, v93, v59, vcc
	v_add_co_u32_e32 v60, vcc, s20, v60
	v_addc_co_u32_e32 v61, vcc, v93, v61, vcc
	global_load_dword v62, v[28:29], off
	global_load_dword v63, v[30:31], off
	;; [unrolled: 1-line block ×8, first 2 shown]
	v_add_u32_e32 v28, s74, v88
	v_ashrrev_i32_e32 v29, 31, v28
	v_lshlrev_b64 v[28:29], 2, v[28:29]
	v_add_u32_e32 v30, s75, v88
	v_add_co_u32_e32 v28, vcc, s20, v28
	v_ashrrev_i32_e32 v31, 31, v30
	v_addc_co_u32_e32 v29, vcc, v93, v29, vcc
	v_lshlrev_b64 v[30:31], 2, v[30:31]
	v_add_u32_e32 v32, s76, v88
	v_add_co_u32_e32 v30, vcc, s20, v30
	v_ashrrev_i32_e32 v33, 31, v32
	v_addc_co_u32_e32 v31, vcc, v93, v31, vcc
	;; [unrolled: 5-line block ×7, first 2 shown]
	v_lshlrev_b64 v[60:61], 2, v[60:61]
	v_add_co_u32_e32 v60, vcc, s20, v60
	v_addc_co_u32_e32 v61, vcc, v93, v61, vcc
	global_load_dword v70, v[28:29], off
	global_load_dword v71, v[30:31], off
	;; [unrolled: 1-line block ×8, first 2 shown]
	v_add_u32_e32 v28, s82, v88
	v_ashrrev_i32_e32 v29, 31, v28
	v_lshlrev_b64 v[28:29], 2, v[28:29]
	v_add_u32_e32 v30, s83, v88
	v_add_co_u32_e32 v28, vcc, s20, v28
	v_ashrrev_i32_e32 v31, 31, v30
	v_addc_co_u32_e32 v29, vcc, v93, v29, vcc
	v_lshlrev_b64 v[30:31], 2, v[30:31]
	v_add_u32_e32 v32, s84, v88
	v_add_co_u32_e32 v30, vcc, s20, v30
	v_ashrrev_i32_e32 v33, 31, v32
	v_addc_co_u32_e32 v31, vcc, v93, v31, vcc
	v_lshlrev_b64 v[32:33], 2, v[32:33]
	v_add_u32_e32 v36, s85, v88
	v_add_co_u32_e32 v32, vcc, s20, v32
	v_ashrrev_i32_e32 v37, 31, v36
	v_addc_co_u32_e32 v33, vcc, v93, v33, vcc
	v_lshlrev_b64 v[36:37], 2, v[36:37]
	v_add_u32_e32 v54, s86, v88
	v_add_co_u32_e32 v36, vcc, s20, v36
	v_ashrrev_i32_e32 v55, 31, v54
	v_addc_co_u32_e32 v37, vcc, v93, v37, vcc
	v_lshlrev_b64 v[54:55], 2, v[54:55]
	v_add_u32_e32 v56, s87, v88
	v_add_co_u32_e32 v54, vcc, s20, v54
	v_ashrrev_i32_e32 v57, 31, v56
	v_addc_co_u32_e32 v55, vcc, v93, v55, vcc
	v_lshlrev_b64 v[56:57], 2, v[56:57]
	v_add_u32_e32 v58, s88, v88
	v_add_co_u32_e32 v56, vcc, s20, v56
	v_ashrrev_i32_e32 v59, 31, v58
	v_addc_co_u32_e32 v57, vcc, v93, v57, vcc
	v_lshlrev_b64 v[58:59], 2, v[58:59]
	v_add_u32_e32 v60, s89, v88
	v_add_co_u32_e32 v58, vcc, s20, v58
	v_ashrrev_i32_e32 v61, 31, v60
	v_addc_co_u32_e32 v59, vcc, v93, v59, vcc
	v_lshlrev_b64 v[60:61], 2, v[60:61]
	v_add_co_u32_e32 v60, vcc, s20, v60
	v_addc_co_u32_e32 v61, vcc, v93, v61, vcc
	global_load_dword v78, v[28:29], off
	global_load_dword v79, v[30:31], off
	;; [unrolled: 1-line block ×8, first 2 shown]
	v_add_u32_e32 v28, s90, v88
	v_ashrrev_i32_e32 v29, 31, v28
	v_lshlrev_b64 v[28:29], 2, v[28:29]
	v_add_u32_e32 v30, s91, v88
	v_add_co_u32_e32 v28, vcc, s20, v28
	v_ashrrev_i32_e32 v31, 31, v30
	v_addc_co_u32_e32 v29, vcc, v93, v29, vcc
	v_lshlrev_b64 v[30:31], 2, v[30:31]
	v_add_u32_e32 v32, s25, v88
	v_add_co_u32_e32 v30, vcc, s20, v30
	v_ashrrev_i32_e32 v33, 31, v32
	v_addc_co_u32_e32 v31, vcc, v93, v31, vcc
	;; [unrolled: 5-line block ×5, first 2 shown]
	v_lshlrev_b64 v[56:57], 2, v[56:57]
	v_add_co_u32_e32 v56, vcc, s20, v56
	v_addc_co_u32_e32 v57, vcc, v93, v57, vcc
	global_load_dword v96, v[28:29], off
	global_load_dword v97, v[30:31], off
	;; [unrolled: 1-line block ×6, first 2 shown]
	s_waitcnt vmcnt(55)
	ds_write_b32 v90, v20 offset:2176
	s_waitcnt vmcnt(54)
	ds_write_b32 v90, v21 offset:2440
	s_waitcnt vmcnt(53)
	ds_write_b32 v90, v22 offset:2704
	s_waitcnt vmcnt(52)
	ds_write_b32 v90, v23 offset:2968
	s_waitcnt vmcnt(51)
	ds_write_b32 v90, v24 offset:3232
	s_waitcnt vmcnt(50)
	ds_write_b32 v90, v25 offset:3496
	s_waitcnt vmcnt(49)
	ds_write_b32 v90, v26 offset:3760
	s_waitcnt vmcnt(48)
	ds_write_b32 v90, v27 offset:4024
	ds_read_b64 v[36:37], v91 offset:64
	ds_read_b64 v[32:33], v91 offset:96
	ds_read_b64 v[30:31], v91 offset:128
	ds_read_b64 v[28:29], v91 offset:160
	ds_read_b64 v[26:27], v91 offset:192
	ds_read_b64 v[24:25], v91 offset:224
	ds_read_b64 v[22:23], v91 offset:256
	ds_read_b64 v[20:21], v91 offset:288
	s_waitcnt vmcnt(47)
	ds_write_b32 v90, v34 offset:64
	s_waitcnt vmcnt(46)
	ds_write_b32 v90, v35 offset:328
	s_waitcnt vmcnt(45)
	ds_write_b32 v90, v38 offset:592
	s_waitcnt vmcnt(44)
	ds_write_b32 v90, v39 offset:856
	s_waitcnt vmcnt(43)
	ds_write_b32 v90, v40 offset:1120
	s_waitcnt vmcnt(42)
	ds_write_b32 v90, v41 offset:1384
	s_waitcnt vmcnt(41)
	ds_write_b32 v90, v42 offset:1648
	s_waitcnt vmcnt(40)
	ds_write_b32 v90, v43 offset:1912
	s_waitcnt vmcnt(39)
	ds_write_b32 v90, v44 offset:2176
	s_waitcnt vmcnt(38)
	ds_write_b32 v90, v45 offset:2440
	s_waitcnt vmcnt(37)
	ds_write_b32 v90, v46 offset:2704
	s_waitcnt vmcnt(36)
	ds_write_b32 v90, v47 offset:2968
	s_waitcnt vmcnt(35)
	ds_write_b32 v90, v50 offset:3232
	s_waitcnt vmcnt(34)
	ds_write_b32 v90, v51 offset:3496
	s_waitcnt vmcnt(33)
	ds_write_b32 v90, v52 offset:3760
	s_waitcnt vmcnt(32)
	ds_write_b32 v90, v53 offset:4024
	ds_read_b64 v[52:53], v91 offset:64
	ds_read_b64 v[50:51], v91 offset:96
	ds_read_b64 v[46:47], v91 offset:128
	ds_read_b64 v[44:45], v91 offset:160
	ds_read_b64 v[42:43], v91 offset:192
	ds_read_b64 v[40:41], v91 offset:224
	ds_read_b64 v[38:39], v91 offset:256
	ds_read_b64 v[34:35], v91 offset:288
	s_waitcnt vmcnt(31)
	ds_write_b32 v90, v48 offset:64
	s_waitcnt vmcnt(30)
	ds_write_b32 v90, v49 offset:328
	s_waitcnt vmcnt(29)
	ds_write_b32 v90, v62 offset:592
	s_waitcnt vmcnt(28)
	ds_write_b32 v90, v63 offset:856
	s_waitcnt vmcnt(27)
	ds_write_b32 v90, v64 offset:1120
	s_waitcnt vmcnt(26)
	ds_write_b32 v90, v65 offset:1384
	s_waitcnt vmcnt(25)
	ds_write_b32 v90, v66 offset:1648
	s_waitcnt vmcnt(24)
	ds_write_b32 v90, v67 offset:1912
	;; [unrolled: 40-line block ×3, first 2 shown]
	s_waitcnt vmcnt(7)
	ds_write_b32 v90, v84 offset:2176
	s_waitcnt vmcnt(6)
	ds_write_b32 v90, v85 offset:2440
	;; [unrolled: 2-line block ×8, first 2 shown]
	ds_read_b64 v[82:83], v91 offset:64
	ds_read_b64 v[80:81], v91 offset:96
	;; [unrolled: 1-line block ×8, first 2 shown]
	s_andn2_b64 vcc, exec, s[4:5]
	v_mov_b32_e32 v84, 0
	v_mov_b32_e32 v85, 0
	s_cbranch_vccnz .LBB142_26
; %bb.24:                               ;   in Loop: Header=BB142_23 Depth=1
	ds_read_b32 v96, v89
	v_mov_b32_e32 v85, 0
	v_mov_b32_e32 v84, 0
	s_waitcnt lgkmcnt(0)
	v_cmp_gt_i32_e32 vcc, 0, v96
	s_cbranch_vccnz .LBB142_26
; %bb.25:                               ;   in Loop: Header=BB142_23 Depth=1
	v_mul_lo_u32 v84, v96, s21
	v_add_u32_e32 v84, v92, v84
	v_ashrrev_i32_e32 v85, 31, v84
	v_lshlrev_b64 v[84:85], 2, v[84:85]
	v_mov_b32_e32 v96, s30
	v_add_co_u32_e32 v84, vcc, s27, v84
	v_addc_co_u32_e32 v85, vcc, v96, v85, vcc
	global_load_dwordx2 v[84:85], v[84:85], off
.LBB142_26:                             ;   in Loop: Header=BB142_23 Depth=1
	s_waitcnt vmcnt(0)
	v_and_b32_e32 v96, 0x7f800000, v84
	v_cmp_ne_u32_e32 vcc, s95, v96
                                        ; implicit-def: $vgpr96
	s_and_saveexec_b64 s[28:29], vcc
	s_xor_b64 s[28:29], exec, s[28:29]
; %bb.27:                               ;   in Loop: Header=BB142_23 Depth=1
	v_bfe_u32 v96, v84, 16, 1
	v_add3_u32 v96, v84, v96, s2
; %bb.28:                               ;   in Loop: Header=BB142_23 Depth=1
	s_andn2_saveexec_b64 s[28:29], s[28:29]
; %bb.29:                               ;   in Loop: Header=BB142_23 Depth=1
	v_or_b32_e32 v96, 0x10000, v84
	v_cmp_eq_u32_sdwa vcc, v84, v94 src0_sel:WORD_0 src1_sel:DWORD
	v_cndmask_b32_e32 v96, v96, v84, vcc
; %bb.30:                               ;   in Loop: Header=BB142_23 Depth=1
	s_or_b64 exec, exec, s[28:29]
	v_and_b32_e32 v84, 0x7f800000, v85
	v_cmp_ne_u32_e32 vcc, s95, v84
                                        ; implicit-def: $vgpr84
	s_and_saveexec_b64 s[28:29], vcc
	s_xor_b64 s[28:29], exec, s[28:29]
; %bb.31:                               ;   in Loop: Header=BB142_23 Depth=1
	v_bfe_u32 v84, v85, 16, 1
	v_add3_u32 v84, v85, v84, s2
                                        ; implicit-def: $vgpr85
; %bb.32:                               ;   in Loop: Header=BB142_23 Depth=1
	s_andn2_saveexec_b64 s[28:29], s[28:29]
; %bb.33:                               ;   in Loop: Header=BB142_23 Depth=1
	v_or_b32_e32 v84, 0x10000, v85
	v_cmp_eq_u32_sdwa vcc, v85, v94 src0_sel:WORD_0 src1_sel:DWORD
	v_cndmask_b32_e32 v84, v84, v85, vcc
; %bb.34:                               ;   in Loop: Header=BB142_23 Depth=1
	s_or_b64 exec, exec, s[28:29]
	v_perm_b32 v84, v84, v96, s3
	ds_write_b32 v90, v84 offset:64
	s_andn2_b64 vcc, exec, s[6:7]
	v_mov_b32_e32 v84, 0
	v_mov_b32_e32 v85, 0
	s_cbranch_vccnz .LBB142_37
; %bb.35:                               ;   in Loop: Header=BB142_23 Depth=1
	ds_read_b32 v96, v89 offset:4
	v_mov_b32_e32 v85, 0
	v_mov_b32_e32 v84, 0
	s_waitcnt lgkmcnt(0)
	v_cmp_gt_i32_e32 vcc, 0, v96
	s_cbranch_vccnz .LBB142_37
; %bb.36:                               ;   in Loop: Header=BB142_23 Depth=1
	v_mul_lo_u32 v84, v96, s21
	v_add_u32_e32 v84, s16, v84
	v_add_u32_e32 v84, v84, v92
	v_ashrrev_i32_e32 v85, 31, v84
	v_lshlrev_b64 v[84:85], 2, v[84:85]
	v_mov_b32_e32 v96, s30
	v_add_co_u32_e32 v84, vcc, s27, v84
	v_addc_co_u32_e32 v85, vcc, v96, v85, vcc
	global_load_dwordx2 v[84:85], v[84:85], off
.LBB142_37:                             ;   in Loop: Header=BB142_23 Depth=1
	s_waitcnt vmcnt(0)
	v_and_b32_e32 v96, 0x7f800000, v84
	v_cmp_ne_u32_e32 vcc, s95, v96
                                        ; implicit-def: $vgpr96
	s_and_saveexec_b64 s[28:29], vcc
	s_xor_b64 s[28:29], exec, s[28:29]
; %bb.38:                               ;   in Loop: Header=BB142_23 Depth=1
	v_bfe_u32 v96, v84, 16, 1
	v_add3_u32 v96, v84, v96, s2
; %bb.39:                               ;   in Loop: Header=BB142_23 Depth=1
	s_andn2_saveexec_b64 s[28:29], s[28:29]
; %bb.40:                               ;   in Loop: Header=BB142_23 Depth=1
	v_or_b32_e32 v96, 0x10000, v84
	v_cmp_eq_u32_sdwa vcc, v84, v94 src0_sel:WORD_0 src1_sel:DWORD
	v_cndmask_b32_e32 v96, v96, v84, vcc
; %bb.41:                               ;   in Loop: Header=BB142_23 Depth=1
	s_or_b64 exec, exec, s[28:29]
	v_and_b32_e32 v84, 0x7f800000, v85
	v_cmp_ne_u32_e32 vcc, s95, v84
                                        ; implicit-def: $vgpr84
	s_and_saveexec_b64 s[28:29], vcc
	s_xor_b64 s[28:29], exec, s[28:29]
; %bb.42:                               ;   in Loop: Header=BB142_23 Depth=1
	v_bfe_u32 v84, v85, 16, 1
	v_add3_u32 v84, v85, v84, s2
                                        ; implicit-def: $vgpr85
; %bb.43:                               ;   in Loop: Header=BB142_23 Depth=1
	s_andn2_saveexec_b64 s[28:29], s[28:29]
; %bb.44:                               ;   in Loop: Header=BB142_23 Depth=1
	v_or_b32_e32 v84, 0x10000, v85
	v_cmp_eq_u32_sdwa vcc, v85, v94 src0_sel:WORD_0 src1_sel:DWORD
	v_cndmask_b32_e32 v84, v84, v85, vcc
; %bb.45:                               ;   in Loop: Header=BB142_23 Depth=1
	s_or_b64 exec, exec, s[28:29]
	v_perm_b32 v84, v84, v96, s3
	ds_write_b32 v90, v84 offset:328
	s_andn2_b64 vcc, exec, s[10:11]
	v_mov_b32_e32 v84, 0
	v_mov_b32_e32 v85, 0
	s_cbranch_vccnz .LBB142_48
; %bb.46:                               ;   in Loop: Header=BB142_23 Depth=1
	ds_read_b32 v96, v89 offset:8
	v_mov_b32_e32 v85, 0
	v_mov_b32_e32 v84, 0
	s_waitcnt lgkmcnt(0)
	v_cmp_gt_i32_e32 vcc, 0, v96
	s_cbranch_vccnz .LBB142_48
; %bb.47:                               ;   in Loop: Header=BB142_23 Depth=1
	v_mul_lo_u32 v84, v96, s21
	v_add_u32_e32 v84, s31, v84
	v_add_u32_e32 v84, v84, v92
	v_ashrrev_i32_e32 v85, 31, v84
	v_lshlrev_b64 v[84:85], 2, v[84:85]
	v_mov_b32_e32 v96, s30
	v_add_co_u32_e32 v84, vcc, s27, v84
	v_addc_co_u32_e32 v85, vcc, v96, v85, vcc
	global_load_dwordx2 v[84:85], v[84:85], off
.LBB142_48:                             ;   in Loop: Header=BB142_23 Depth=1
	;; [unrolled: 58-line block ×3, first 2 shown]
	s_waitcnt vmcnt(0)
	v_and_b32_e32 v96, 0x7f800000, v84
	v_cmp_ne_u32_e32 vcc, s95, v96
                                        ; implicit-def: $vgpr96
	s_and_saveexec_b64 s[28:29], vcc
	s_xor_b64 s[28:29], exec, s[28:29]
; %bb.60:                               ;   in Loop: Header=BB142_23 Depth=1
	v_bfe_u32 v96, v84, 16, 1
	v_add3_u32 v96, v84, v96, s2
; %bb.61:                               ;   in Loop: Header=BB142_23 Depth=1
	s_andn2_saveexec_b64 s[28:29], s[28:29]
; %bb.62:                               ;   in Loop: Header=BB142_23 Depth=1
	v_or_b32_e32 v96, 0x10000, v84
	v_cmp_eq_u32_sdwa vcc, v84, v94 src0_sel:WORD_0 src1_sel:DWORD
	v_cndmask_b32_e32 v96, v96, v84, vcc
; %bb.63:                               ;   in Loop: Header=BB142_23 Depth=1
	s_or_b64 exec, exec, s[28:29]
	v_and_b32_e32 v84, 0x7f800000, v85
	v_cmp_ne_u32_e32 vcc, s95, v84
                                        ; implicit-def: $vgpr84
	s_and_saveexec_b64 s[28:29], vcc
	s_xor_b64 s[28:29], exec, s[28:29]
; %bb.64:                               ;   in Loop: Header=BB142_23 Depth=1
	v_bfe_u32 v84, v85, 16, 1
	v_add3_u32 v84, v85, v84, s2
                                        ; implicit-def: $vgpr85
; %bb.65:                               ;   in Loop: Header=BB142_23 Depth=1
	s_andn2_saveexec_b64 s[28:29], s[28:29]
	s_cbranch_execz .LBB142_22
; %bb.66:                               ;   in Loop: Header=BB142_23 Depth=1
	v_or_b32_e32 v84, 0x10000, v85
	v_cmp_eq_u32_sdwa vcc, v85, v94 src0_sel:WORD_0 src1_sel:DWORD
	v_cndmask_b32_e32 v84, v84, v85, vcc
	s_branch .LBB142_22
.LBB142_67:
	s_or_b64 exec, exec, s[14:15]
	v_readlane_b32 s18, v102, 0
	v_readlane_b32 s19, v102, 1
.LBB142_68:
	s_or_b64 exec, exec, s[0:1]
	v_mul_u32_u24_e32 v18, 0x708, v87
	s_movk_i32 s2, 0x100
	v_lshlrev_b32_e32 v19, 2, v86
	v_add3_u32 v18, s2, v18, v19
	v_and_b32_e32 v20, 0x3f0, v16
	v_add_u32_e32 v21, v18, v20
	s_barrier
	v_add_u32_e32 v19, 64, v18
	ds_write2_b32 v21, v8, v9 offset0:16 offset1:17
	v_or_b32_e32 v9, 12, v16
	v_add_u32_e32 v8, v19, v20
	v_and_b32_e32 v9, 0x3fc, v9
	ds_write_b32 v8, v10 offset:8
	v_add_u32_e32 v10, v18, v9
	ds_write_b32 v10, v11 offset:64
	ds_write2_b32 v8, v4, v5 offset0:16 offset1:17
	ds_write_b32 v8, v6 offset:72
	v_add_u32_e32 v4, v19, v9
	v_cmp_gt_u32_e32 vcc, 4, v17
	ds_write_b32 v4, v7 offset:64
	ds_write2_b32 v8, v0, v1 offset0:32 offset1:33
	ds_write_b32 v8, v2 offset:136
	ds_write_b32 v4, v3 offset:128
	ds_write2_b32 v8, v12, v13 offset0:48 offset1:49
	ds_write_b32 v8, v14 offset:200
	ds_write_b32 v4, v15 offset:192
	s_waitcnt lgkmcnt(0)
	s_barrier
	s_and_saveexec_b64 s[0:1], vcc
	s_cbranch_execz .LBB142_71
; %bb.69:
	v_mov_b32_e32 v0, 0x100
	v_lshl_add_u32 v0, v17, 2, v0
	ds_read_b32 v0, v0
	v_or_b32_e32 v1, s9, v17
	v_cmp_gt_i32_e64 s[0:1], s13, v1
	s_waitcnt lgkmcnt(0)
	v_cmp_lt_i32_e32 vcc, -1, v0
	s_and_b64 s[0:1], vcc, s[0:1]
	s_and_b64 exec, exec, s[0:1]
	s_cbranch_execz .LBB142_71
; %bb.70:
	v_lshlrev_b32_e32 v2, 2, v16
	v_mul_u32_u24_e32 v3, 0x708, v17
	v_add3_u32 v8, s2, v2, v3
	ds_read2_b32 v[2:3], v8 offset0:16 offset1:80
	ds_read2_b32 v[4:5], v8 offset0:144 offset1:208
	v_add_u32_e32 v6, 64, v8
	ds_read2st64_b32 v[6:7], v6 offset0:4 offset1:5
	s_mul_hi_i32 s1, s26, s8
	s_waitcnt lgkmcnt(2)
	v_add_f32_e32 v2, 0, v2
	v_add_f32_e32 v2, v2, v3
	ds_read_b32 v3, v8 offset:1600
	s_waitcnt lgkmcnt(2)
	v_add_f32_e32 v2, v2, v4
	s_mul_i32 s0, s26, s8
	v_add_f32_e32 v2, v2, v5
	s_lshl_b64 s[0:1], s[0:1], 2
	s_waitcnt lgkmcnt(1)
	v_add_f32_e32 v2, v2, v6
	s_mul_hi_i32 s5, s9, s17
	s_mul_i32 s4, s9, s17
	s_add_u32 s3, s18, s0
	v_add_f32_e32 v2, v2, v7
	v_add_u32_e32 v1, s23, v16
	s_addc_u32 s2, s19, s1
	s_lshl_b64 s[0:1], s[4:5], 2
	s_waitcnt lgkmcnt(0)
	v_add_f32_e32 v2, v2, v3
	v_mul_lo_u32 v0, v0, s22
	v_mul_lo_u32 v3, v17, s17
	s_add_u32 s0, s3, s0
	v_add3_u32 v0, v1, v3, v0
	v_mov_b32_e32 v1, 0
	s_addc_u32 s1, s2, s1
	v_lshlrev_b64 v[0:1], 2, v[0:1]
	v_mov_b32_e32 v3, s1
	v_add_co_u32_e32 v0, vcc, s0, v0
	v_addc_co_u32_e32 v1, vcc, v3, v1, vcc
	global_store_dword v[0:1], v2, off
.LBB142_71:
	s_endpgm
	.section	.rodata,"a",@progbits
	.p2align	6, 0x0
	.amdhsa_kernel _ZL9mul_mat_fI15__hip_bfloat162Li64ELi4ELi7ELb1EEvPKT_PKfPKiPfiiiiiiiiiiiiiiii
		.amdhsa_group_segment_fixed_size 256
		.amdhsa_private_segment_fixed_size 0
		.amdhsa_kernarg_size 352
		.amdhsa_user_sgpr_count 6
		.amdhsa_user_sgpr_private_segment_buffer 1
		.amdhsa_user_sgpr_dispatch_ptr 0
		.amdhsa_user_sgpr_queue_ptr 0
		.amdhsa_user_sgpr_kernarg_segment_ptr 1
		.amdhsa_user_sgpr_dispatch_id 0
		.amdhsa_user_sgpr_flat_scratch_init 0
		.amdhsa_user_sgpr_kernarg_preload_length 0
		.amdhsa_user_sgpr_kernarg_preload_offset 0
		.amdhsa_user_sgpr_private_segment_size 0
		.amdhsa_uses_dynamic_stack 0
		.amdhsa_system_sgpr_private_segment_wavefront_offset 0
		.amdhsa_system_sgpr_workgroup_id_x 1
		.amdhsa_system_sgpr_workgroup_id_y 1
		.amdhsa_system_sgpr_workgroup_id_z 1
		.amdhsa_system_sgpr_workgroup_info 0
		.amdhsa_system_vgpr_workitem_id 2
		.amdhsa_next_free_vgpr 103
		.amdhsa_next_free_sgpr 96
		.amdhsa_accum_offset 104
		.amdhsa_reserve_vcc 1
		.amdhsa_reserve_flat_scratch 0
		.amdhsa_float_round_mode_32 0
		.amdhsa_float_round_mode_16_64 0
		.amdhsa_float_denorm_mode_32 3
		.amdhsa_float_denorm_mode_16_64 3
		.amdhsa_dx10_clamp 1
		.amdhsa_ieee_mode 1
		.amdhsa_fp16_overflow 0
		.amdhsa_tg_split 0
		.amdhsa_exception_fp_ieee_invalid_op 0
		.amdhsa_exception_fp_denorm_src 0
		.amdhsa_exception_fp_ieee_div_zero 0
		.amdhsa_exception_fp_ieee_overflow 0
		.amdhsa_exception_fp_ieee_underflow 0
		.amdhsa_exception_fp_ieee_inexact 0
		.amdhsa_exception_int_div_zero 0
	.end_amdhsa_kernel
	.section	.text._ZL9mul_mat_fI15__hip_bfloat162Li64ELi4ELi7ELb1EEvPKT_PKfPKiPfiiiiiiiiiiiiiiii,"axG",@progbits,_ZL9mul_mat_fI15__hip_bfloat162Li64ELi4ELi7ELb1EEvPKT_PKfPKiPfiiiiiiiiiiiiiiii,comdat
.Lfunc_end142:
	.size	_ZL9mul_mat_fI15__hip_bfloat162Li64ELi4ELi7ELb1EEvPKT_PKfPKiPfiiiiiiiiiiiiiiii, .Lfunc_end142-_ZL9mul_mat_fI15__hip_bfloat162Li64ELi4ELi7ELb1EEvPKT_PKfPKiPfiiiiiiiiiiiiiiii
                                        ; -- End function
	.section	.AMDGPU.csdata,"",@progbits
; Kernel info:
; codeLenInByte = 6776
; NumSgprs: 100
; NumVgprs: 103
; NumAgprs: 0
; TotalNumVgprs: 103
; ScratchSize: 0
; MemoryBound: 0
; FloatMode: 240
; IeeeMode: 1
; LDSByteSize: 256 bytes/workgroup (compile time only)
; SGPRBlocks: 12
; VGPRBlocks: 12
; NumSGPRsForWavesPerEU: 100
; NumVGPRsForWavesPerEU: 103
; AccumOffset: 104
; Occupancy: 4
; WaveLimiterHint : 0
; COMPUTE_PGM_RSRC2:SCRATCH_EN: 0
; COMPUTE_PGM_RSRC2:USER_SGPR: 6
; COMPUTE_PGM_RSRC2:TRAP_HANDLER: 0
; COMPUTE_PGM_RSRC2:TGID_X_EN: 1
; COMPUTE_PGM_RSRC2:TGID_Y_EN: 1
; COMPUTE_PGM_RSRC2:TGID_Z_EN: 1
; COMPUTE_PGM_RSRC2:TIDIG_COMP_CNT: 2
; COMPUTE_PGM_RSRC3_GFX90A:ACCUM_OFFSET: 25
; COMPUTE_PGM_RSRC3_GFX90A:TG_SPLIT: 0
	.section	.text._ZL9mul_mat_fI15__hip_bfloat162Li64ELi4ELi7ELb0EEvPKT_PKfPKiPfiiiiiiiiiiiiiiii,"axG",@progbits,_ZL9mul_mat_fI15__hip_bfloat162Li64ELi4ELi7ELb0EEvPKT_PKfPKiPfiiiiiiiiiiiiiiii,comdat
	.globl	_ZL9mul_mat_fI15__hip_bfloat162Li64ELi4ELi7ELb0EEvPKT_PKfPKiPfiiiiiiiiiiiiiiii ; -- Begin function _ZL9mul_mat_fI15__hip_bfloat162Li64ELi4ELi7ELb0EEvPKT_PKfPKiPfiiiiiiiiiiiiiiii
	.p2align	8
	.type	_ZL9mul_mat_fI15__hip_bfloat162Li64ELi4ELi7ELb0EEvPKT_PKfPKiPfiiiiiiiiiiiiiiii,@function
_ZL9mul_mat_fI15__hip_bfloat162Li64ELi4ELi7ELb0EEvPKT_PKfPKiPfiiiiiiiiiiiiiiii: ; @_ZL9mul_mat_fI15__hip_bfloat162Li64ELi4ELi7ELb0EEvPKT_PKfPKiPfiiiiiiiiiiiiiiii
; %bb.0:
	s_load_dwordx8 s[12:19], s[4:5], 0x40
	s_load_dword s9, s[4:5], 0x20
	s_load_dwordx4 s[0:3], s[4:5], 0x2c
	v_bfe_u32 v86, v0, 10, 10
	v_lshlrev_b32_e32 v89, 6, v86
	v_and_b32_e32 v87, 0x3ff, v0
	s_waitcnt lgkmcnt(0)
	s_abs_i32 s27, s12
	s_abs_i32 s26, s16
	v_cvt_f32_u32_e32 v1, s27
	v_cvt_f32_u32_e32 v2, s26
	v_add_u32_e32 v91, v89, v87
	s_mov_b32 s22, 0
	v_rcp_iflag_f32_e32 v1, v1
	v_rcp_iflag_f32_e32 v2, v2
	s_ashr_i32 s28, s8, 31
	v_cmp_le_i32_e32 vcc, s9, v91
	v_mul_f32_e32 v1, 0x4f7ffffe, v1
	v_mul_f32_e32 v2, 0x4f7ffffe, v2
	v_cvt_u32_f32_e32 v1, v1
	v_cvt_u32_f32_e32 v2, v2
	v_and_b32_e32 v90, 15, v87
	v_readfirstlane_b32 s21, v1
	v_readfirstlane_b32 s20, v2
	s_and_saveexec_b64 s[10:11], vcc
	s_xor_b64 s[10:11], exec, s[10:11]
; %bb.1:
	v_and_b32_e32 v90, 15, v87
                                        ; implicit-def: $vgpr91
; %bb.2:
	s_or_saveexec_b64 s[24:25], s[10:11]
	s_load_dwordx2 s[10:11], s[4:5], 0x18
	s_lshl_b32 s3, s6, 6
	v_mov_b32_e32 v7, s22
	v_lshlrev_b32_e32 v88, 2, v87
	v_mov_b32_e32 v6, s22
	v_mov_b32_e32 v5, s22
	;; [unrolled: 1-line block ×15, first 2 shown]
	s_xor_b64 exec, exec, s[24:25]
	s_cbranch_execz .LBB143_38
; %bb.3:
	s_sub_i32 s6, 0, s27
	s_sub_i32 s22, 0, s26
	s_mul_i32 s6, s6, s21
	s_mul_i32 s22, s22, s20
	s_mul_hi_u32 s6, s21, s6
	s_mul_hi_u32 s22, s20, s22
	s_abs_i32 s29, s7
	s_add_i32 s6, s21, s6
	s_add_i32 s31, s20, s22
	s_load_dwordx4 s[20:23], s[4:5], 0x0
	s_mul_hi_u32 s4, s29, s6
	s_ashr_i32 s6, s7, 31
	s_ashr_i32 s12, s12, 31
	s_xor_b32 s6, s6, s12
	s_mul_i32 s12, s4, s27
	s_abs_i32 s30, s8
	s_sub_i32 s12, s29, s12
	s_mul_hi_u32 s5, s30, s31
	s_ashr_i32 s16, s16, 31
	s_add_i32 s29, s4, 1
	s_sub_i32 s31, s12, s27
	s_cmp_ge_u32 s12, s27
	s_cselect_b32 s4, s29, s4
	s_cselect_b32 s12, s31, s12
	s_add_i32 s29, s4, 1
	s_cmp_ge_u32 s12, s27
	s_cselect_b32 s4, s29, s4
	s_mul_i32 s12, s5, s26
	s_xor_b32 s4, s4, s6
	s_sub_i32 s12, s30, s12
	s_sub_i32 s6, s4, s6
	s_xor_b32 s4, s28, s16
	s_add_i32 s16, s5, 1
	s_sub_i32 s27, s12, s26
	s_cmp_ge_u32 s12, s26
	s_cselect_b32 s5, s16, s5
	s_cselect_b32 s12, s27, s12
	s_add_i32 s16, s5, 1
	s_cmp_ge_u32 s12, s26
	s_cselect_b32 s5, s16, s5
	s_xor_b32 s5, s5, s4
	s_sub_i32 s4, s5, s4
	s_mul_hi_i32 s5, s4, s17
	s_mul_i32 s4, s4, s17
	s_mul_i32 s12, s6, s13
	s_ashr_i32 s13, s12, 31
	s_lshl_b64 s[26:27], s[4:5], 2
	s_mul_i32 s16, s3, s0
	s_waitcnt lgkmcnt(0)
	s_add_u32 s6, s20, s26
	s_addc_u32 s29, s21, s27
	s_ashr_i32 s17, s16, 31
	s_lshl_b64 s[16:17], s[16:17], 2
	s_lshl_b64 s[12:13], s[12:13], 2
	s_add_u32 s30, s12, s16
	s_addc_u32 s31, s13, s17
	s_mul_i32 s28, s7, s14
	s_add_u32 s6, s30, s6
	s_mul_hi_i32 s5, s18, s8
	s_mul_i32 s4, s18, s8
	s_addc_u32 s88, s31, s29
	s_ashr_i32 s29, s28, 31
	s_lshl_b64 s[16:17], s[4:5], 2
	s_lshl_b64 s[4:5], s[28:29], 2
	s_add_u32 s22, s22, s4
	s_addc_u32 s23, s23, s5
	s_add_u32 s14, s22, s16
	s_movk_i32 s4, 0x1080
	s_addc_u32 s18, s23, s17
	v_mad_u32_u24 v0, v86, s4, 0
	s_ashr_i32 s5, s0, 31
	s_mov_b32 s4, s0
	v_lshrrev_b32_e32 v2, 1, v87
	s_ashr_i32 s13, s1, 31
	s_lshl_b64 s[4:5], s[4:5], 2
	v_mul_u32_u24_e32 v1, 0x108, v90
	v_and_b32_e32 v2, 0x1f8, v2
	s_add_u32 s26, s30, s26
	v_add_u32_e32 v92, v0, v88
	v_add3_u32 v93, v0, v1, v2
	v_lshlrev_b32_e32 v0, 8, v86
	s_addc_u32 s27, s31, s27
	v_mov_b32_e32 v1, s27
	v_add_co_u32_e32 v0, vcc, s26, v0
	v_addc_co_u32_e32 v1, vcc, 0, v1, vcc
	v_add_co_u32_e32 v0, vcc, v0, v88
	v_addc_co_u32_e32 v1, vcc, 0, v1, vcc
	v_mov_b32_e32 v2, s21
	v_add_co_u32_e32 v16, vcc, s20, v0
	v_addc_co_u32_e32 v17, vcc, v2, v1, vcc
	v_lshlrev_b32_e32 v0, 9, v86
	v_mov_b32_e32 v1, s17
	v_add_co_u32_e32 v0, vcc, s16, v0
	v_addc_co_u32_e32 v1, vcc, 0, v1, vcc
	v_lshlrev_b32_e32 v2, 3, v87
	v_add_co_u32_e32 v0, vcc, v0, v2
	v_addc_co_u32_e32 v1, vcc, 0, v1, vcc
	s_mov_b32 s12, s1
	v_mov_b32_e32 v2, s23
	v_add_co_u32_e32 v18, vcc, s22, v0
	v_mov_b32_e32 v94, 0
	s_lshl_b64 s[12:13], s[12:13], 3
	v_addc_co_u32_e32 v19, vcc, v2, v1, vcc
	s_mul_i32 s20, s0, 63
	s_lshl_b32 s21, s1, 1
	s_mul_i32 s22, s1, 3
	s_lshl_b32 s23, s0, 1
	;; [unrolled: 2-line block ×3, first 2 shown]
	s_mul_i32 s28, s0, 5
	s_mul_i32 s29, s0, 6
	;; [unrolled: 1-line block ×3, first 2 shown]
	s_lshl_b32 s31, s0, 3
	s_mul_i32 s33, s0, 9
	s_mul_i32 s34, s0, 10
	;; [unrolled: 1-line block ×7, first 2 shown]
	s_lshl_b32 s40, s0, 4
	s_mul_i32 s41, s0, 17
	s_mul_i32 s42, s0, 18
	;; [unrolled: 1-line block ×15, first 2 shown]
	s_lshl_b32 s56, s0, 5
	s_mul_i32 s57, s0, 33
	s_mul_i32 s58, s0, 34
	;; [unrolled: 1-line block ×30, first 2 shown]
	s_mov_b64 s[0:1], 0
	v_mov_b32_e32 v95, s5
	s_mov_b32 s5, 0x7f800000
	s_movk_i32 s87, 0x7fff
	v_mov_b32_e32 v96, s88
	s_mov_b32 s88, 0x7060302
	v_mov_b32_e32 v12, 0
	v_mov_b32_e32 v13, v94
	;; [unrolled: 1-line block ×16, first 2 shown]
	s_branch .LBB143_5
.LBB143_4:                              ;   in Loop: Header=BB143_5 Depth=1
	s_or_b64 exec, exec, s[16:17]
	v_perm_b32 v84, v98, v97, s88
	v_add_u32_e32 v85, 0x200, v92
	ds_write2_b32 v85, v84, v94 offset0:70 offset1:136
	v_add_u32_e32 v84, 0x400, v92
	ds_write2_b32 v84, v94, v94 offset0:74 offset1:140
	;; [unrolled: 2-line block ×6, first 2 shown]
	ds_write_b32 v92, v94 offset:3960
	ds_read2_b64 v[98:101], v93 offset1:4
	s_waitcnt lgkmcnt(0)
	v_mfma_f32_16x16x16bf16_1k v[4:7], v[36:37], v[98:99], v[4:7]
	v_add_co_u32_e32 v16, vcc, 0x700, v16
	v_addc_co_u32_e32 v17, vcc, 0, v17, vcc
	v_add_co_u32_e32 v18, vcc, 0xe00, v18
	v_add_u32_e32 v91, 0x1c0, v91
	v_mfma_f32_16x16x16bf16_1k v[0:3], v[54:55], v[98:99], v[0:3]
	v_addc_co_u32_e32 v19, vcc, 0, v19, vcc
	v_cmp_le_i32_e32 vcc, s9, v91
	s_or_b64 s[0:1], vcc, s[0:1]
	v_mfma_f32_16x16x16bf16_1k v[8:11], v[68:69], v[98:99], v[8:11]
	v_mfma_f32_16x16x16bf16_1k v[12:15], v[82:83], v[98:99], v[12:15]
	;; [unrolled: 1-line block ×4, first 2 shown]
	ds_read2_b64 v[52:55], v93 offset0:8 offset1:12
	v_mfma_f32_16x16x16bf16_1k v[8:11], v[66:67], v[100:101], v[8:11]
	v_mfma_f32_16x16x16bf16_1k v[12:15], v[80:81], v[100:101], v[12:15]
	s_waitcnt lgkmcnt(0)
	v_mfma_f32_16x16x16bf16_1k v[4:7], v[30:31], v[52:53], v[4:7]
	v_mfma_f32_16x16x16bf16_1k v[0:3], v[50:51], v[52:53], v[0:3]
	;; [unrolled: 1-line block ×5, first 2 shown]
	ds_read2_b64 v[28:31], v93 offset0:16 offset1:20
	v_mfma_f32_16x16x16bf16_1k v[0:3], v[48:49], v[54:55], v[0:3]
	v_mfma_f32_16x16x16bf16_1k v[8:11], v[62:63], v[54:55], v[8:11]
	;; [unrolled: 1-line block ×3, first 2 shown]
	s_waitcnt lgkmcnt(0)
	v_mfma_f32_16x16x16bf16_1k v[4:7], v[26:27], v[28:29], v[4:7]
	v_mfma_f32_16x16x16bf16_1k v[0:3], v[44:45], v[28:29], v[0:3]
	;; [unrolled: 1-line block ×5, first 2 shown]
	ds_read2_b64 v[24:27], v93 offset0:24 offset1:28
	v_mfma_f32_16x16x16bf16_1k v[0:3], v[42:43], v[30:31], v[0:3]
	v_mfma_f32_16x16x16bf16_1k v[8:11], v[58:59], v[30:31], v[8:11]
	;; [unrolled: 1-line block ×3, first 2 shown]
	s_waitcnt lgkmcnt(0)
	v_mfma_f32_16x16x16bf16_1k v[4:7], v[22:23], v[24:25], v[4:7]
	v_mfma_f32_16x16x16bf16_1k v[0:3], v[40:41], v[24:25], v[0:3]
	;; [unrolled: 1-line block ×8, first 2 shown]
	s_andn2_b64 exec, exec, s[0:1]
	s_cbranch_execz .LBB143_37
.LBB143_5:                              ; =>This Inner Loop Header: Depth=1
	v_add_co_u32_e32 v20, vcc, s4, v16
	v_addc_co_u32_e32 v21, vcc, v17, v95, vcc
	global_load_dword v34, v[16:17], off
	global_load_dword v35, v[20:21], off
	v_add_u32_e32 v20, s23, v91
	v_ashrrev_i32_e32 v21, 31, v20
	v_lshlrev_b64 v[20:21], 2, v[20:21]
	v_add_u32_e32 v22, s26, v91
	v_add_co_u32_e32 v20, vcc, s6, v20
	v_ashrrev_i32_e32 v23, 31, v22
	v_addc_co_u32_e32 v21, vcc, v96, v21, vcc
	v_lshlrev_b64 v[22:23], 2, v[22:23]
	v_add_u32_e32 v24, s27, v91
	v_add_co_u32_e32 v22, vcc, s6, v22
	v_ashrrev_i32_e32 v25, 31, v24
	v_addc_co_u32_e32 v23, vcc, v96, v23, vcc
	v_lshlrev_b64 v[24:25], 2, v[24:25]
	v_add_u32_e32 v26, s28, v91
	v_add_co_u32_e32 v24, vcc, s6, v24
	v_ashrrev_i32_e32 v27, 31, v26
	v_addc_co_u32_e32 v25, vcc, v96, v25, vcc
	v_lshlrev_b64 v[26:27], 2, v[26:27]
	v_add_u32_e32 v28, s29, v91
	v_add_co_u32_e32 v26, vcc, s6, v26
	v_ashrrev_i32_e32 v29, 31, v28
	v_addc_co_u32_e32 v27, vcc, v96, v27, vcc
	v_lshlrev_b64 v[28:29], 2, v[28:29]
	v_add_u32_e32 v30, s30, v91
	v_add_co_u32_e32 v28, vcc, s6, v28
	v_ashrrev_i32_e32 v31, 31, v30
	v_addc_co_u32_e32 v29, vcc, v96, v29, vcc
	v_lshlrev_b64 v[30:31], 2, v[30:31]
	v_add_u32_e32 v32, s31, v91
	v_add_co_u32_e32 v30, vcc, s6, v30
	v_ashrrev_i32_e32 v33, 31, v32
	v_addc_co_u32_e32 v31, vcc, v96, v31, vcc
	v_lshlrev_b64 v[32:33], 2, v[32:33]
	v_add_co_u32_e32 v32, vcc, s6, v32
	v_addc_co_u32_e32 v33, vcc, v96, v33, vcc
	global_load_dword v36, v[20:21], off
	global_load_dword v37, v[22:23], off
	s_nop 0
	global_load_dword v24, v[24:25], off
	s_nop 0
	;; [unrolled: 2-line block ×3, first 2 shown]
	global_load_dword v26, v[28:29], off
	global_load_dword v27, v[30:31], off
	s_nop 0
	global_load_dword v28, v[32:33], off
	v_add_u32_e32 v20, s33, v91
	v_ashrrev_i32_e32 v21, 31, v20
	v_lshlrev_b64 v[20:21], 2, v[20:21]
	v_add_u32_e32 v22, s34, v91
	v_add_co_u32_e32 v20, vcc, s6, v20
	v_ashrrev_i32_e32 v23, 31, v22
	v_addc_co_u32_e32 v21, vcc, v96, v21, vcc
	v_lshlrev_b64 v[22:23], 2, v[22:23]
	global_load_dword v20, v[20:21], off
	v_add_co_u32_e32 v22, vcc, s6, v22
	v_addc_co_u32_e32 v23, vcc, v96, v23, vcc
	v_add_u32_e32 v30, s38, v91
	v_ashrrev_i32_e32 v31, 31, v30
	v_lshlrev_b64 v[30:31], 2, v[30:31]
	v_add_u32_e32 v32, s39, v91
	v_ashrrev_i32_e32 v33, 31, v32
	v_lshlrev_b64 v[32:33], 2, v[32:33]
	;; [unrolled: 3-line block ×6, first 2 shown]
	s_waitcnt vmcnt(9)
	ds_write_b32 v92, v34
	s_waitcnt vmcnt(8)
	ds_write_b32 v92, v35 offset:264
	s_waitcnt vmcnt(7)
	ds_write_b32 v92, v36 offset:528
	;; [unrolled: 2-line block ×8, first 2 shown]
	v_add_u32_e32 v24, s35, v91
	v_ashrrev_i32_e32 v25, 31, v24
	v_lshlrev_b64 v[24:25], 2, v[24:25]
	v_add_u32_e32 v26, s36, v91
	v_add_co_u32_e32 v24, vcc, s6, v24
	v_ashrrev_i32_e32 v27, 31, v26
	v_addc_co_u32_e32 v25, vcc, v96, v25, vcc
	v_lshlrev_b64 v[26:27], 2, v[26:27]
	v_add_u32_e32 v28, s37, v91
	v_add_co_u32_e32 v26, vcc, s6, v26
	v_ashrrev_i32_e32 v29, 31, v28
	v_addc_co_u32_e32 v27, vcc, v96, v27, vcc
	v_lshlrev_b64 v[28:29], 2, v[28:29]
	v_add_co_u32_e32 v28, vcc, s6, v28
	v_addc_co_u32_e32 v29, vcc, v96, v29, vcc
	v_add_co_u32_e32 v30, vcc, s6, v30
	v_addc_co_u32_e32 v31, vcc, v96, v31, vcc
	v_add_u32_e32 v34, s40, v91
	v_add_co_u32_e32 v32, vcc, s6, v32
	v_ashrrev_i32_e32 v35, 31, v34
	v_addc_co_u32_e32 v33, vcc, v96, v33, vcc
	v_lshlrev_b64 v[34:35], 2, v[34:35]
	v_add_u32_e32 v36, s41, v91
	v_add_co_u32_e32 v34, vcc, s6, v34
	v_ashrrev_i32_e32 v37, 31, v36
	v_addc_co_u32_e32 v35, vcc, v96, v35, vcc
	v_lshlrev_b64 v[36:37], 2, v[36:37]
	v_add_co_u32_e32 v36, vcc, s6, v36
	v_addc_co_u32_e32 v37, vcc, v96, v37, vcc
	global_load_dword v21, v[22:23], off
	s_nop 0
	global_load_dword v22, v[24:25], off
	global_load_dword v23, v[26:27], off
	s_nop 0
	global_load_dword v24, v[28:29], off
	global_load_dword v25, v[30:31], off
	;; [unrolled: 1-line block ×3, first 2 shown]
	s_nop 0
	global_load_dword v34, v[34:35], off
	s_nop 0
	global_load_dword v35, v[36:37], off
	v_add_u32_e32 v28, s42, v91
	v_ashrrev_i32_e32 v29, 31, v28
	v_lshlrev_b64 v[28:29], 2, v[28:29]
	v_add_u32_e32 v30, s43, v91
	v_add_co_u32_e32 v28, vcc, s6, v28
	v_ashrrev_i32_e32 v31, 31, v30
	v_addc_co_u32_e32 v29, vcc, v96, v29, vcc
	v_lshlrev_b64 v[30:31], 2, v[30:31]
	v_add_u32_e32 v32, s44, v91
	v_add_co_u32_e32 v30, vcc, s6, v30
	v_ashrrev_i32_e32 v33, 31, v32
	v_addc_co_u32_e32 v31, vcc, v96, v31, vcc
	;; [unrolled: 5-line block ×3, first 2 shown]
	v_lshlrev_b64 v[36:37], 2, v[36:37]
	v_add_co_u32_e32 v36, vcc, s6, v36
	v_addc_co_u32_e32 v37, vcc, v96, v37, vcc
	v_add_co_u32_e32 v38, vcc, s6, v38
	v_addc_co_u32_e32 v39, vcc, v96, v39, vcc
	;; [unrolled: 2-line block ×5, first 2 shown]
	global_load_dword v46, v[28:29], off
	global_load_dword v47, v[30:31], off
	global_load_dword v48, v[32:33], off
	global_load_dword v49, v[36:37], off
	global_load_dword v50, v[38:39], off
	global_load_dword v51, v[40:41], off
	global_load_dword v52, v[42:43], off
	global_load_dword v53, v[44:45], off
	v_add_u32_e32 v28, s50, v91
	v_ashrrev_i32_e32 v29, 31, v28
	v_lshlrev_b64 v[28:29], 2, v[28:29]
	v_add_u32_e32 v30, s51, v91
	v_add_co_u32_e32 v28, vcc, s6, v28
	v_ashrrev_i32_e32 v31, 31, v30
	v_addc_co_u32_e32 v29, vcc, v96, v29, vcc
	v_lshlrev_b64 v[30:31], 2, v[30:31]
	v_add_u32_e32 v32, s52, v91
	v_add_co_u32_e32 v30, vcc, s6, v30
	v_ashrrev_i32_e32 v33, 31, v32
	v_addc_co_u32_e32 v31, vcc, v96, v31, vcc
	v_lshlrev_b64 v[32:33], 2, v[32:33]
	v_add_u32_e32 v36, s53, v91
	v_add_co_u32_e32 v32, vcc, s6, v32
	v_ashrrev_i32_e32 v37, 31, v36
	v_addc_co_u32_e32 v33, vcc, v96, v33, vcc
	v_lshlrev_b64 v[36:37], 2, v[36:37]
	v_add_u32_e32 v38, s54, v91
	v_add_co_u32_e32 v36, vcc, s6, v36
	v_ashrrev_i32_e32 v39, 31, v38
	v_addc_co_u32_e32 v37, vcc, v96, v37, vcc
	v_lshlrev_b64 v[38:39], 2, v[38:39]
	v_add_u32_e32 v40, s55, v91
	v_add_co_u32_e32 v38, vcc, s6, v38
	v_ashrrev_i32_e32 v41, 31, v40
	v_addc_co_u32_e32 v39, vcc, v96, v39, vcc
	v_lshlrev_b64 v[40:41], 2, v[40:41]
	v_add_u32_e32 v42, s56, v91
	v_add_co_u32_e32 v40, vcc, s6, v40
	v_ashrrev_i32_e32 v43, 31, v42
	v_addc_co_u32_e32 v41, vcc, v96, v41, vcc
	v_lshlrev_b64 v[42:43], 2, v[42:43]
	v_add_u32_e32 v44, s57, v91
	v_add_co_u32_e32 v42, vcc, s6, v42
	v_ashrrev_i32_e32 v45, 31, v44
	v_addc_co_u32_e32 v43, vcc, v96, v43, vcc
	v_lshlrev_b64 v[44:45], 2, v[44:45]
	v_add_co_u32_e32 v44, vcc, s6, v44
	v_addc_co_u32_e32 v45, vcc, v96, v45, vcc
	global_load_dword v54, v[28:29], off
	global_load_dword v55, v[30:31], off
	global_load_dword v56, v[32:33], off
	global_load_dword v57, v[36:37], off
	global_load_dword v58, v[38:39], off
	global_load_dword v59, v[40:41], off
	global_load_dword v60, v[42:43], off
	global_load_dword v61, v[44:45], off
	v_add_u32_e32 v28, s58, v91
	v_ashrrev_i32_e32 v29, 31, v28
	v_lshlrev_b64 v[28:29], 2, v[28:29]
	v_add_u32_e32 v30, s59, v91
	v_add_co_u32_e32 v28, vcc, s6, v28
	v_ashrrev_i32_e32 v31, 31, v30
	v_addc_co_u32_e32 v29, vcc, v96, v29, vcc
	v_lshlrev_b64 v[30:31], 2, v[30:31]
	v_add_u32_e32 v32, s60, v91
	v_add_co_u32_e32 v30, vcc, s6, v30
	v_ashrrev_i32_e32 v33, 31, v32
	v_addc_co_u32_e32 v31, vcc, v96, v31, vcc
	v_lshlrev_b64 v[32:33], 2, v[32:33]
	v_add_u32_e32 v36, s61, v91
	v_add_co_u32_e32 v32, vcc, s6, v32
	v_ashrrev_i32_e32 v37, 31, v36
	v_addc_co_u32_e32 v33, vcc, v96, v33, vcc
	v_lshlrev_b64 v[36:37], 2, v[36:37]
	v_add_u32_e32 v38, s62, v91
	v_add_co_u32_e32 v36, vcc, s6, v36
	v_ashrrev_i32_e32 v39, 31, v38
	v_addc_co_u32_e32 v37, vcc, v96, v37, vcc
	v_lshlrev_b64 v[38:39], 2, v[38:39]
	v_add_u32_e32 v40, s63, v91
	v_add_co_u32_e32 v38, vcc, s6, v38
	v_ashrrev_i32_e32 v41, 31, v40
	v_addc_co_u32_e32 v39, vcc, v96, v39, vcc
	v_lshlrev_b64 v[40:41], 2, v[40:41]
	v_add_u32_e32 v42, s64, v91
	v_add_co_u32_e32 v40, vcc, s6, v40
	v_ashrrev_i32_e32 v43, 31, v42
	v_addc_co_u32_e32 v41, vcc, v96, v41, vcc
	v_lshlrev_b64 v[42:43], 2, v[42:43]
	v_add_u32_e32 v44, s65, v91
	v_add_co_u32_e32 v42, vcc, s6, v42
	v_ashrrev_i32_e32 v45, 31, v44
	v_addc_co_u32_e32 v43, vcc, v96, v43, vcc
	v_lshlrev_b64 v[44:45], 2, v[44:45]
	v_add_co_u32_e32 v44, vcc, s6, v44
	v_addc_co_u32_e32 v45, vcc, v96, v45, vcc
	;; [unrolled: 48-line block ×4, first 2 shown]
	global_load_dword v78, v[28:29], off
	global_load_dword v79, v[30:31], off
	;; [unrolled: 1-line block ×8, first 2 shown]
	v_add_u32_e32 v28, s82, v91
	v_ashrrev_i32_e32 v29, 31, v28
	v_lshlrev_b64 v[28:29], 2, v[28:29]
	v_add_u32_e32 v30, s83, v91
	v_add_co_u32_e32 v28, vcc, s6, v28
	v_ashrrev_i32_e32 v31, 31, v30
	v_addc_co_u32_e32 v29, vcc, v96, v29, vcc
	v_lshlrev_b64 v[30:31], 2, v[30:31]
	v_add_u32_e32 v32, s84, v91
	v_add_co_u32_e32 v30, vcc, s6, v30
	v_ashrrev_i32_e32 v33, 31, v32
	v_addc_co_u32_e32 v31, vcc, v96, v31, vcc
	;; [unrolled: 5-line block ×5, first 2 shown]
	v_lshlrev_b64 v[40:41], 2, v[40:41]
	v_add_co_u32_e32 v40, vcc, s6, v40
	v_addc_co_u32_e32 v41, vcc, v96, v41, vcc
	global_load_dword v99, v[28:29], off
	global_load_dword v100, v[30:31], off
	;; [unrolled: 1-line block ×6, first 2 shown]
	s_waitcnt vmcnt(54)
	ds_write_b32 v92, v20 offset:2376
	s_waitcnt vmcnt(53)
	ds_write_b32 v92, v21 offset:2640
	;; [unrolled: 2-line block ×7, first 2 shown]
	global_load_dwordx2 v[84:85], v[18:19], off
	ds_read_b64 v[36:37], v93
	ds_read_b64 v[32:33], v93 offset:32
	ds_read_b64 v[30:31], v93 offset:64
	ds_read_b64 v[28:29], v93 offset:96
	ds_read_b64 v[26:27], v93 offset:128
	ds_read_b64 v[24:25], v93 offset:160
	ds_read_b64 v[22:23], v93 offset:192
	ds_read_b64 v[20:21], v93 offset:224
	s_waitcnt vmcnt(48)
	ds_write_b32 v92, v34
	s_waitcnt vmcnt(47)
	ds_write_b32 v92, v35 offset:264
	s_waitcnt vmcnt(46)
	ds_write_b32 v92, v46 offset:528
	s_waitcnt vmcnt(45)
	ds_write_b32 v92, v47 offset:792
	s_waitcnt vmcnt(44)
	ds_write_b32 v92, v48 offset:1056
	s_waitcnt vmcnt(43)
	ds_write_b32 v92, v49 offset:1320
	s_waitcnt vmcnt(42)
	ds_write_b32 v92, v50 offset:1584
	s_waitcnt vmcnt(41)
	ds_write_b32 v92, v51 offset:1848
	s_waitcnt vmcnt(40)
	ds_write_b32 v92, v52 offset:2112
	s_waitcnt vmcnt(39)
	ds_write_b32 v92, v53 offset:2376
	s_waitcnt vmcnt(38)
	ds_write_b32 v92, v54 offset:2640
	s_waitcnt vmcnt(37)
	ds_write_b32 v92, v55 offset:2904
	s_waitcnt vmcnt(36)
	ds_write_b32 v92, v56 offset:3168
	s_waitcnt vmcnt(35)
	ds_write_b32 v92, v57 offset:3432
	s_waitcnt vmcnt(34)
	ds_write_b32 v92, v58 offset:3696
	s_waitcnt vmcnt(33)
	ds_write_b32 v92, v59 offset:3960
	ds_read_b64 v[54:55], v93
	ds_read_b64 v[52:53], v93 offset:32
	ds_read_b64 v[50:51], v93 offset:64
	ds_read_b64 v[48:49], v93 offset:96
	ds_read_b64 v[44:45], v93 offset:128
	ds_read_b64 v[42:43], v93 offset:160
	ds_read_b64 v[40:41], v93 offset:192
	ds_read_b64 v[34:35], v93 offset:224
	s_waitcnt vmcnt(32)
	ds_write_b32 v92, v60
	s_waitcnt vmcnt(31)
	ds_write_b32 v92, v61 offset:264
	s_waitcnt vmcnt(30)
	ds_write_b32 v92, v62 offset:528
	s_waitcnt vmcnt(29)
	ds_write_b32 v92, v63 offset:792
	s_waitcnt vmcnt(28)
	ds_write_b32 v92, v64 offset:1056
	s_waitcnt vmcnt(27)
	ds_write_b32 v92, v65 offset:1320
	s_waitcnt vmcnt(26)
	ds_write_b32 v92, v66 offset:1584
	s_waitcnt vmcnt(25)
	ds_write_b32 v92, v67 offset:1848
	s_waitcnt vmcnt(24)
	ds_write_b32 v92, v68 offset:2112
	s_waitcnt vmcnt(23)
	ds_write_b32 v92, v69 offset:2376
	s_waitcnt vmcnt(22)
	ds_write_b32 v92, v70 offset:2640
	s_waitcnt vmcnt(21)
	ds_write_b32 v92, v71 offset:2904
	s_waitcnt vmcnt(20)
	ds_write_b32 v92, v72 offset:3168
	s_waitcnt vmcnt(19)
	ds_write_b32 v92, v73 offset:3432
	s_waitcnt vmcnt(18)
	ds_write_b32 v92, v74 offset:3696
	s_waitcnt vmcnt(17)
	ds_write_b32 v92, v75 offset:3960
	;; [unrolled: 40-line block ×3, first 2 shown]
	ds_read_b64 v[82:83], v93
	ds_read_b64 v[80:81], v93 offset:32
	ds_read_b64 v[78:79], v93 offset:64
	;; [unrolled: 1-line block ×7, first 2 shown]
	s_waitcnt vmcnt(0)
	v_and_b32_e32 v97, 0x7f800000, v84
	v_cmp_ne_u32_e32 vcc, s5, v97
                                        ; implicit-def: $vgpr97
	s_and_saveexec_b64 s[16:17], vcc
	s_xor_b64 s[16:17], exec, s[16:17]
; %bb.6:                                ;   in Loop: Header=BB143_5 Depth=1
	v_bfe_u32 v97, v84, 16, 1
	v_add3_u32 v97, v84, v97, s87
; %bb.7:                                ;   in Loop: Header=BB143_5 Depth=1
	s_andn2_saveexec_b64 s[16:17], s[16:17]
; %bb.8:                                ;   in Loop: Header=BB143_5 Depth=1
	v_or_b32_e32 v97, 0x10000, v84
	v_cmp_eq_u32_sdwa vcc, v84, v94 src0_sel:WORD_0 src1_sel:DWORD
	v_cndmask_b32_e32 v97, v97, v84, vcc
; %bb.9:                                ;   in Loop: Header=BB143_5 Depth=1
	s_or_b64 exec, exec, s[16:17]
	v_and_b32_e32 v84, 0x7f800000, v85
	v_cmp_ne_u32_e32 vcc, s5, v84
                                        ; implicit-def: $vgpr98
	s_and_saveexec_b64 s[16:17], vcc
	s_xor_b64 s[16:17], exec, s[16:17]
; %bb.10:                               ;   in Loop: Header=BB143_5 Depth=1
	v_bfe_u32 v84, v85, 16, 1
	v_add3_u32 v98, v85, v84, s87
                                        ; implicit-def: $vgpr84_vgpr85
; %bb.11:                               ;   in Loop: Header=BB143_5 Depth=1
	s_andn2_saveexec_b64 s[16:17], s[16:17]
; %bb.12:                               ;   in Loop: Header=BB143_5 Depth=1
	v_or_b32_e32 v84, 0x10000, v85
	v_cmp_eq_u32_sdwa vcc, v85, v94 src0_sel:WORD_0 src1_sel:DWORD
	v_cndmask_b32_e32 v98, v84, v85, vcc
; %bb.13:                               ;   in Loop: Header=BB143_5 Depth=1
	s_or_b64 exec, exec, s[16:17]
	v_mov_b32_e32 v85, s13
	v_add_co_u32_e32 v84, vcc, s12, v18
	v_addc_co_u32_e32 v85, vcc, v19, v85, vcc
	global_load_dwordx2 v[84:85], v[84:85], off
	v_perm_b32 v97, v98, v97, s88
	ds_write_b32 v92, v97
	s_waitcnt vmcnt(0)
	v_and_b32_e32 v97, 0x7f800000, v84
	v_cmp_ne_u32_e32 vcc, s5, v97
                                        ; implicit-def: $vgpr97
	s_and_saveexec_b64 s[16:17], vcc
	s_xor_b64 s[16:17], exec, s[16:17]
; %bb.14:                               ;   in Loop: Header=BB143_5 Depth=1
	v_bfe_u32 v97, v84, 16, 1
	v_add3_u32 v97, v84, v97, s87
; %bb.15:                               ;   in Loop: Header=BB143_5 Depth=1
	s_andn2_saveexec_b64 s[16:17], s[16:17]
; %bb.16:                               ;   in Loop: Header=BB143_5 Depth=1
	v_or_b32_e32 v97, 0x10000, v84
	v_cmp_eq_u32_sdwa vcc, v84, v94 src0_sel:WORD_0 src1_sel:DWORD
	v_cndmask_b32_e32 v97, v97, v84, vcc
; %bb.17:                               ;   in Loop: Header=BB143_5 Depth=1
	s_or_b64 exec, exec, s[16:17]
	v_and_b32_e32 v84, 0x7f800000, v85
	v_cmp_ne_u32_e32 vcc, s5, v84
                                        ; implicit-def: $vgpr98
	s_and_saveexec_b64 s[16:17], vcc
	s_xor_b64 s[16:17], exec, s[16:17]
; %bb.18:                               ;   in Loop: Header=BB143_5 Depth=1
	v_bfe_u32 v84, v85, 16, 1
	v_add3_u32 v98, v85, v84, s87
                                        ; implicit-def: $vgpr84_vgpr85
; %bb.19:                               ;   in Loop: Header=BB143_5 Depth=1
	s_andn2_saveexec_b64 s[16:17], s[16:17]
; %bb.20:                               ;   in Loop: Header=BB143_5 Depth=1
	v_or_b32_e32 v84, 0x10000, v85
	v_cmp_eq_u32_sdwa vcc, v85, v94 src0_sel:WORD_0 src1_sel:DWORD
	v_cndmask_b32_e32 v98, v84, v85, vcc
; %bb.21:                               ;   in Loop: Header=BB143_5 Depth=1
	s_or_b64 exec, exec, s[16:17]
	v_add_u32_e32 v84, s21, v91
	v_ashrrev_i32_e32 v85, 31, v84
	v_lshlrev_b64 v[84:85], 3, v[84:85]
	v_mov_b32_e32 v99, s18
	v_add_co_u32_e32 v84, vcc, s14, v84
	v_addc_co_u32_e32 v85, vcc, v99, v85, vcc
	global_load_dwordx2 v[84:85], v[84:85], off
	v_perm_b32 v97, v98, v97, s88
	ds_write_b32 v92, v97 offset:264
	s_waitcnt vmcnt(0)
	v_and_b32_e32 v97, 0x7f800000, v84
	v_cmp_ne_u32_e32 vcc, s5, v97
                                        ; implicit-def: $vgpr97
	s_and_saveexec_b64 s[16:17], vcc
	s_xor_b64 s[16:17], exec, s[16:17]
; %bb.22:                               ;   in Loop: Header=BB143_5 Depth=1
	v_bfe_u32 v97, v84, 16, 1
	v_add3_u32 v97, v84, v97, s87
; %bb.23:                               ;   in Loop: Header=BB143_5 Depth=1
	s_andn2_saveexec_b64 s[16:17], s[16:17]
; %bb.24:                               ;   in Loop: Header=BB143_5 Depth=1
	v_or_b32_e32 v97, 0x10000, v84
	v_cmp_eq_u32_sdwa vcc, v84, v94 src0_sel:WORD_0 src1_sel:DWORD
	v_cndmask_b32_e32 v97, v97, v84, vcc
; %bb.25:                               ;   in Loop: Header=BB143_5 Depth=1
	s_or_b64 exec, exec, s[16:17]
	v_and_b32_e32 v84, 0x7f800000, v85
	v_cmp_ne_u32_e32 vcc, s5, v84
                                        ; implicit-def: $vgpr98
	s_and_saveexec_b64 s[16:17], vcc
	s_xor_b64 s[16:17], exec, s[16:17]
; %bb.26:                               ;   in Loop: Header=BB143_5 Depth=1
	v_bfe_u32 v84, v85, 16, 1
	v_add3_u32 v98, v85, v84, s87
                                        ; implicit-def: $vgpr84_vgpr85
; %bb.27:                               ;   in Loop: Header=BB143_5 Depth=1
	s_andn2_saveexec_b64 s[16:17], s[16:17]
; %bb.28:                               ;   in Loop: Header=BB143_5 Depth=1
	v_or_b32_e32 v84, 0x10000, v85
	v_cmp_eq_u32_sdwa vcc, v85, v94 src0_sel:WORD_0 src1_sel:DWORD
	v_cndmask_b32_e32 v98, v84, v85, vcc
; %bb.29:                               ;   in Loop: Header=BB143_5 Depth=1
	s_or_b64 exec, exec, s[16:17]
	v_add_u32_e32 v84, s22, v91
	v_ashrrev_i32_e32 v85, 31, v84
	v_lshlrev_b64 v[84:85], 3, v[84:85]
	v_mov_b32_e32 v99, s18
	v_add_co_u32_e32 v84, vcc, s14, v84
	v_addc_co_u32_e32 v85, vcc, v99, v85, vcc
	global_load_dwordx2 v[84:85], v[84:85], off
	v_perm_b32 v97, v98, v97, s88
	ds_write_b32 v92, v97 offset:528
	s_waitcnt vmcnt(0)
	v_and_b32_e32 v97, 0x7f800000, v84
	v_cmp_ne_u32_e32 vcc, s5, v97
                                        ; implicit-def: $vgpr97
	s_and_saveexec_b64 s[16:17], vcc
	s_xor_b64 s[16:17], exec, s[16:17]
; %bb.30:                               ;   in Loop: Header=BB143_5 Depth=1
	v_bfe_u32 v97, v84, 16, 1
	v_add3_u32 v97, v84, v97, s87
; %bb.31:                               ;   in Loop: Header=BB143_5 Depth=1
	s_andn2_saveexec_b64 s[16:17], s[16:17]
; %bb.32:                               ;   in Loop: Header=BB143_5 Depth=1
	v_or_b32_e32 v97, 0x10000, v84
	v_cmp_eq_u32_sdwa vcc, v84, v94 src0_sel:WORD_0 src1_sel:DWORD
	v_cndmask_b32_e32 v97, v97, v84, vcc
; %bb.33:                               ;   in Loop: Header=BB143_5 Depth=1
	s_or_b64 exec, exec, s[16:17]
	v_and_b32_e32 v84, 0x7f800000, v85
	v_cmp_ne_u32_e32 vcc, s5, v84
                                        ; implicit-def: $vgpr98
	s_and_saveexec_b64 s[16:17], vcc
	s_xor_b64 s[16:17], exec, s[16:17]
; %bb.34:                               ;   in Loop: Header=BB143_5 Depth=1
	v_bfe_u32 v84, v85, 16, 1
	v_add3_u32 v98, v85, v84, s87
                                        ; implicit-def: $vgpr84_vgpr85
; %bb.35:                               ;   in Loop: Header=BB143_5 Depth=1
	s_andn2_saveexec_b64 s[16:17], s[16:17]
	s_cbranch_execz .LBB143_4
; %bb.36:                               ;   in Loop: Header=BB143_5 Depth=1
	v_or_b32_e32 v84, 0x10000, v85
	v_cmp_eq_u32_sdwa vcc, v85, v94 src0_sel:WORD_0 src1_sel:DWORD
	v_cndmask_b32_e32 v98, v84, v85, vcc
	s_branch .LBB143_4
.LBB143_37:
	s_or_b64 exec, exec, s[0:1]
.LBB143_38:
	s_or_b64 exec, exec, s[24:25]
	v_mul_u32_u24_e32 v16, 0x708, v90
	v_lshlrev_b32_e32 v17, 2, v89
	v_add3_u32 v16, 0, v16, v17
	v_and_b32_e32 v17, 0x3f0, v87
	v_add_u32_e32 v17, v16, v17
	s_waitcnt lgkmcnt(0)
	s_barrier
	ds_write2_b32 v17, v4, v5 offset1:1
	ds_write_b32 v17, v6 offset:8
	v_or_b32_e32 v4, 12, v87
	v_and_b32_e32 v4, 0x3fc, v4
	v_add_u32_e32 v4, v16, v4
	v_cmp_gt_u32_e32 vcc, 4, v86
	ds_write_b32 v4, v7
	ds_write2_b32 v17, v0, v1 offset0:16 offset1:17
	ds_write_b32 v17, v2 offset:72
	ds_write_b32 v4, v3 offset:64
	ds_write2_b32 v17, v8, v9 offset0:32 offset1:33
	ds_write_b32 v17, v10 offset:136
	ds_write_b32 v4, v11 offset:128
	;; [unrolled: 3-line block ×3, first 2 shown]
	s_waitcnt lgkmcnt(0)
	s_barrier
	s_and_saveexec_b64 s[0:1], vcc
	s_cbranch_execz .LBB143_40
; %bb.39:
	v_mul_u32_u24_e32 v0, 0x708, v86
	v_add3_u32 v6, 0, v88, v0
	ds_read2st64_b32 v[0:1], v6 offset1:1
	ds_read2st64_b32 v[2:3], v6 offset0:2 offset1:3
	ds_read2st64_b32 v[4:5], v6 offset0:4 offset1:5
	ds_read_b32 v6, v6 offset:1536
	s_mul_hi_i32 s1, s19, s8
	s_mul_i32 s0, s19, s8
	s_lshl_b64 s[0:1], s[0:1], 2
	s_waitcnt lgkmcnt(3)
	v_add_f32_e32 v0, 0, v0
	v_add_f32_e32 v0, v0, v1
	s_waitcnt lgkmcnt(2)
	v_add_f32_e32 v0, v0, v2
	v_add_f32_e32 v0, v0, v3
	s_mul_i32 s4, s7, s15
	s_add_u32 s6, s10, s0
	s_waitcnt lgkmcnt(1)
	v_add_f32_e32 v0, v0, v4
	s_addc_u32 s7, s11, s1
	s_ashr_i32 s5, s4, 31
	v_add_f32_e32 v0, v0, v5
	s_lshl_b64 s[0:1], s[4:5], 2
	s_waitcnt lgkmcnt(0)
	v_add_f32_e32 v2, v0, v6
	v_mul_lo_u32 v0, v86, s2
	s_add_u32 s0, s6, s0
	v_add3_u32 v0, s3, v87, v0
	v_mov_b32_e32 v1, 0
	s_addc_u32 s1, s7, s1
	v_lshlrev_b64 v[0:1], 2, v[0:1]
	v_mov_b32_e32 v3, s1
	v_add_co_u32_e32 v0, vcc, s0, v0
	v_addc_co_u32_e32 v1, vcc, v3, v1, vcc
	global_store_dword v[0:1], v2, off
.LBB143_40:
	s_endpgm
	.section	.rodata,"a",@progbits
	.p2align	6, 0x0
	.amdhsa_kernel _ZL9mul_mat_fI15__hip_bfloat162Li64ELi4ELi7ELb0EEvPKT_PKfPKiPfiiiiiiiiiiiiiiii
		.amdhsa_group_segment_fixed_size 0
		.amdhsa_private_segment_fixed_size 0
		.amdhsa_kernarg_size 96
		.amdhsa_user_sgpr_count 6
		.amdhsa_user_sgpr_private_segment_buffer 1
		.amdhsa_user_sgpr_dispatch_ptr 0
		.amdhsa_user_sgpr_queue_ptr 0
		.amdhsa_user_sgpr_kernarg_segment_ptr 1
		.amdhsa_user_sgpr_dispatch_id 0
		.amdhsa_user_sgpr_flat_scratch_init 0
		.amdhsa_user_sgpr_kernarg_preload_length 0
		.amdhsa_user_sgpr_kernarg_preload_offset 0
		.amdhsa_user_sgpr_private_segment_size 0
		.amdhsa_uses_dynamic_stack 0
		.amdhsa_system_sgpr_private_segment_wavefront_offset 0
		.amdhsa_system_sgpr_workgroup_id_x 1
		.amdhsa_system_sgpr_workgroup_id_y 1
		.amdhsa_system_sgpr_workgroup_id_z 1
		.amdhsa_system_sgpr_workgroup_info 0
		.amdhsa_system_vgpr_workitem_id 1
		.amdhsa_next_free_vgpr 105
		.amdhsa_next_free_sgpr 89
		.amdhsa_accum_offset 108
		.amdhsa_reserve_vcc 1
		.amdhsa_reserve_flat_scratch 0
		.amdhsa_float_round_mode_32 0
		.amdhsa_float_round_mode_16_64 0
		.amdhsa_float_denorm_mode_32 3
		.amdhsa_float_denorm_mode_16_64 3
		.amdhsa_dx10_clamp 1
		.amdhsa_ieee_mode 1
		.amdhsa_fp16_overflow 0
		.amdhsa_tg_split 0
		.amdhsa_exception_fp_ieee_invalid_op 0
		.amdhsa_exception_fp_denorm_src 0
		.amdhsa_exception_fp_ieee_div_zero 0
		.amdhsa_exception_fp_ieee_overflow 0
		.amdhsa_exception_fp_ieee_underflow 0
		.amdhsa_exception_fp_ieee_inexact 0
		.amdhsa_exception_int_div_zero 0
	.end_amdhsa_kernel
	.section	.text._ZL9mul_mat_fI15__hip_bfloat162Li64ELi4ELi7ELb0EEvPKT_PKfPKiPfiiiiiiiiiiiiiiii,"axG",@progbits,_ZL9mul_mat_fI15__hip_bfloat162Li64ELi4ELi7ELb0EEvPKT_PKfPKiPfiiiiiiiiiiiiiiii,comdat
.Lfunc_end143:
	.size	_ZL9mul_mat_fI15__hip_bfloat162Li64ELi4ELi7ELb0EEvPKT_PKfPKiPfiiiiiiiiiiiiiiii, .Lfunc_end143-_ZL9mul_mat_fI15__hip_bfloat162Li64ELi4ELi7ELb0EEvPKT_PKfPKiPfiiiiiiiiiiiiiiii
                                        ; -- End function
	.section	.AMDGPU.csdata,"",@progbits
; Kernel info:
; codeLenInByte = 5592
; NumSgprs: 93
; NumVgprs: 105
; NumAgprs: 0
; TotalNumVgprs: 105
; ScratchSize: 0
; MemoryBound: 0
; FloatMode: 240
; IeeeMode: 1
; LDSByteSize: 0 bytes/workgroup (compile time only)
; SGPRBlocks: 11
; VGPRBlocks: 13
; NumSGPRsForWavesPerEU: 93
; NumVGPRsForWavesPerEU: 105
; AccumOffset: 108
; Occupancy: 4
; WaveLimiterHint : 0
; COMPUTE_PGM_RSRC2:SCRATCH_EN: 0
; COMPUTE_PGM_RSRC2:USER_SGPR: 6
; COMPUTE_PGM_RSRC2:TRAP_HANDLER: 0
; COMPUTE_PGM_RSRC2:TGID_X_EN: 1
; COMPUTE_PGM_RSRC2:TGID_Y_EN: 1
; COMPUTE_PGM_RSRC2:TGID_Z_EN: 1
; COMPUTE_PGM_RSRC2:TIDIG_COMP_CNT: 1
; COMPUTE_PGM_RSRC3_GFX90A:ACCUM_OFFSET: 26
; COMPUTE_PGM_RSRC3_GFX90A:TG_SPLIT: 0
	.section	.text._ZL13mul_mat_f_idsI15__hip_bfloat162Li64ELi4ELi8EEvPKT_PKfPKiS7_S7_Pfiiiiiiiiiiiiii15HIP_vector_typeIjLj3EESA_,"axG",@progbits,_ZL13mul_mat_f_idsI15__hip_bfloat162Li64ELi4ELi8EEvPKT_PKfPKiS7_S7_Pfiiiiiiiiiiiiii15HIP_vector_typeIjLj3EESA_,comdat
	.globl	_ZL13mul_mat_f_idsI15__hip_bfloat162Li64ELi4ELi8EEvPKT_PKfPKiS7_S7_Pfiiiiiiiiiiiiii15HIP_vector_typeIjLj3EESA_ ; -- Begin function _ZL13mul_mat_f_idsI15__hip_bfloat162Li64ELi4ELi8EEvPKT_PKfPKiS7_S7_Pfiiiiiiiiiiiiii15HIP_vector_typeIjLj3EESA_
	.p2align	8
	.type	_ZL13mul_mat_f_idsI15__hip_bfloat162Li64ELi4ELi8EEvPKT_PKfPKiS7_S7_Pfiiiiiiiiiiiiii15HIP_vector_typeIjLj3EESA_,@function
_ZL13mul_mat_f_idsI15__hip_bfloat162Li64ELi4ELi8EEvPKT_PKfPKiS7_S7_Pfiiiiiiiiiiiiii15HIP_vector_typeIjLj3EESA_: ; @_ZL13mul_mat_f_idsI15__hip_bfloat162Li64ELi4ELi8EEvPKT_PKfPKiS7_S7_Pfiiiiiiiiiiiiii15HIP_vector_typeIjLj3EESA_
; %bb.0:
	s_load_dwordx2 s[0:1], s[4:5], 0x20
	s_mov_b32 s34, s7
	s_ashr_i32 s35, s7, 31
	s_lshl_b64 s[2:3], s[34:35], 2
	s_waitcnt lgkmcnt(0)
	s_add_u32 s0, s0, s2
	s_addc_u32 s1, s1, s3
	s_load_dwordx2 s[26:27], s[0:1], 0x0
	s_waitcnt lgkmcnt(0)
	s_sub_i32 s28, s27, s26
	s_add_i32 s0, s28, 3
	s_ashr_i32 s1, s0, 31
	s_lshr_b32 s1, s1, 30
	s_add_i32 s0, s0, s1
	s_ashr_i32 s0, s0, 2
	s_cmp_ge_i32 s8, s0
	s_cbranch_scc1 .LBB144_55
; %bb.1:
	v_bfe_u32 v91, v0, 10, 10
	v_lshlrev_b32_e32 v92, 6, v91
	v_and_b32_e32 v90, 0x3ff, v0
	s_load_dwordx4 s[12:15], s[4:5], 0x30
	s_load_dwordx2 s[20:21], s[4:5], 0x40
	s_load_dwordx4 s[0:3], s[4:5], 0x4c
	s_load_dwordx4 s[16:19], s[4:5], 0x68
	s_load_dwordx2 s[24:25], s[4:5], 0x78
	v_add_u32_e32 v94, v92, v90
	s_ashr_i32 s27, s26, 31
	s_waitcnt lgkmcnt(0)
	v_cmp_le_i32_e32 vcc, s12, v94
	v_and_b32_e32 v93, 15, v90
                                        ; implicit-def: $sgpr3
	s_and_saveexec_b64 s[10:11], vcc
	s_xor_b64 s[10:11], exec, s[10:11]
; %bb.2:
	v_and_b32_e32 v93, 15, v90
	s_mov_b32 s3, 0
                                        ; implicit-def: $vgpr94
; %bb.3:
	s_or_saveexec_b64 s[36:37], s[10:11]
	s_load_dwordx2 s[10:11], s[4:5], 0x18
                                        ; implicit-def: $vgpr101 : SGPR spill to VGPR lane
	s_lshl_b32 s22, s6, 6
	s_lshl_b32 s30, s8, 2
	v_mov_b32_e32 v15, s3
	v_mov_b32_e32 v14, s3
	s_waitcnt lgkmcnt(0)
	v_writelane_b32 v101, s10, 0
	v_writelane_b32 v101, s11, 1
	s_load_dwordx2 s[10:11], s[4:5], 0x28
	v_mov_b32_e32 v13, s3
	v_mov_b32_e32 v12, s3
	;; [unrolled: 1-line block ×4, first 2 shown]
	s_waitcnt lgkmcnt(0)
	v_writelane_b32 v101, s10, 2
	v_writelane_b32 v101, s11, 3
	v_mov_b32_e32 v1, s3
	v_mov_b32_e32 v0, s3
	;; [unrolled: 1-line block ×10, first 2 shown]
	v_writelane_b32 v101, s36, 4
	v_writelane_b32 v101, s37, 5
	s_xor_b64 exec, exec, s[36:37]
	s_cbranch_execz .LBB144_51
; %bb.4:
	v_writelane_b32 v101, s24, 6
	v_writelane_b32 v101, s25, 7
	s_load_dwordx4 s[8:11], s[4:5], 0x0
	s_load_dwordx2 s[6:7], s[4:5], 0x10
	s_mul_i32 s4, s34, s0
	v_writelane_b32 v101, s22, 8
	s_mul_i32 s22, s22, s15
	s_ashr_i32 s5, s4, 31
	s_ashr_i32 s23, s22, 31
	s_lshl_b64 s[22:23], s[22:23], 2
	s_lshl_b64 s[4:5], s[4:5], 2
	s_add_u32 s3, s4, s22
	s_addc_u32 s22, s5, s23
	s_waitcnt lgkmcnt(0)
	s_add_u32 s0, s3, s8
	s_addc_u32 s23, s22, s9
	v_writelane_b32 v101, s26, 9
	s_lshl_b64 s[4:5], s[26:27], 2
	s_add_u32 s24, s6, s4
	s_addc_u32 s25, s7, s5
	s_movk_i32 s4, 0x1080
	s_cmp_lt_i32 s30, s28
	v_mad_u32_u24 v0, v91, s4, 0
	s_cselect_b64 s[4:5], -1, 0
	s_ashr_i32 s31, s30, 31
	s_lshl_b64 s[6:7], s[30:31], 2
	s_add_u32 s34, s24, s6
	s_addc_u32 s35, s25, s7
	s_or_b32 s6, s30, 1
	v_lshrrev_b32_e32 v3, 1, v90
	s_cmp_lt_i32 s6, s28
	v_lshlrev_b32_e32 v1, 2, v90
	v_mul_u32_u24_e32 v2, 0x108, v93
	v_and_b32_e32 v3, 0x1f8, v3
	s_cselect_b64 s[36:37], -1, 0
	s_or_b32 s6, s30, 2
	v_writelane_b32 v101, s27, 10
	v_add_u32_e32 v95, v0, v1
	v_add3_u32 v96, v0, v2, v3
	s_cmp_lt_i32 s6, s28
	s_mov_b32 s6, s30
	v_lshlrev_b32_e32 v0, 8, v91
	v_writelane_b32 v101, s6, 11
	v_mov_b32_e32 v2, s22
	v_add_co_u32_e32 v0, vcc, s3, v0
	s_cselect_b64 s[38:39], -1, 0
	v_writelane_b32 v101, s7, 12
	s_or_b32 s6, s30, 3
	v_addc_co_u32_e32 v2, vcc, 0, v2, vcc
	s_cmp_lt_i32 s6, s28
	v_add_co_u32_e32 v0, vcc, v0, v1
	s_cselect_b64 s[40:41], -1, 0
	s_ashr_i32 s7, s15, 31
	s_mov_b32 s6, s15
	v_addc_co_u32_e32 v1, vcc, 0, v2, vcc
	s_lshl_b64 s[42:43], s[6:7], 2
	v_mov_b32_e32 v2, s9
	v_add_co_u32_e32 v16, vcc, s8, v0
	v_mov_b32_e32 v98, 0
	v_writelane_b32 v101, s28, 13
	v_addc_co_u32_e32 v17, vcc, v2, v1, vcc
	s_lshl_b32 s7, s15, 1
	s_mul_i32 s46, s15, 3
	s_lshl_b32 s47, s15, 2
	s_mul_i32 s48, s15, 5
	s_mul_i32 s49, s15, 6
	;; [unrolled: 1-line block ×3, first 2 shown]
	s_lshl_b32 s51, s15, 3
	s_mul_i32 s52, s15, 9
	s_mul_i32 s53, s15, 10
	;; [unrolled: 1-line block ×7, first 2 shown]
	s_lshl_b32 s59, s15, 4
	s_mul_i32 s60, s15, 17
	s_mul_i32 s61, s15, 18
	s_mul_i32 s62, s15, 19
	s_mul_i32 s63, s15, 20
	s_mul_i32 s64, s15, 21
	s_mul_i32 s65, s15, 22
	s_mul_i32 s66, s15, 23
	s_mul_i32 s67, s15, 24
	s_mul_i32 s68, s15, 25
	s_mul_i32 s69, s15, 26
	s_mul_i32 s70, s15, 27
	s_mul_i32 s71, s15, 28
	s_mul_i32 s72, s15, 29
	s_mul_i32 s73, s15, 30
	s_mul_i32 s74, s15, 31
	s_lshl_b32 s75, s15, 5
	s_mul_i32 s76, s15, 33
	s_mul_i32 s77, s15, 34
	;; [unrolled: 1-line block ×15, first 2 shown]
	v_mov_b32_e32 v97, s23
	s_mul_i32 s91, s15, 48
	v_mov_b32_e32 v99, s43
	v_mov_b32_e32 v8, 0
	;; [unrolled: 1-line block ×17, first 2 shown]
	s_mul_i32 s43, s15, 49
	s_mul_i32 s92, s15, 50
	;; [unrolled: 1-line block ×15, first 2 shown]
	s_mov_b32 s6, 0x7f800000
	s_movk_i32 s33, 0x7fff
	s_mov_b32 s26, 0x7060302
	s_mov_b64 s[8:9], 0
	s_branch .LBB144_6
.LBB144_5:                              ;   in Loop: Header=BB144_6 Depth=1
	s_or_b64 exec, exec, s[44:45]
	v_perm_b32 v82, v83, v82, s26
	v_add_u32_e32 v83, 0x200, v95
	ds_write2_b32 v83, v82, v98 offset0:70 offset1:136
	v_add_u32_e32 v82, 0x400, v95
	ds_write2_b32 v82, v98, v98 offset0:74 offset1:140
	;; [unrolled: 2-line block ×6, first 2 shown]
	ds_write_b32 v95, v98 offset:3960
	ds_read2_b64 v[82:85], v96 offset1:4
	s_waitcnt lgkmcnt(0)
	v_mfma_f32_16x16x16bf16_1k v[8:11], v[34:35], v[82:83], v[8:11]
	v_add_co_u32_e32 v16, vcc, 0x800, v16
	v_add_u32_e32 v94, 0x200, v94
	v_addc_co_u32_e32 v17, vcc, 0, v17, vcc
	v_cmp_le_i32_e32 vcc, s12, v94
	s_or_b64 s[8:9], vcc, s[8:9]
	v_mfma_f32_16x16x16bf16_1k v[4:7], v[50:51], v[82:83], v[4:7]
	v_mfma_f32_16x16x16bf16_1k v[0:3], v[64:65], v[82:83], v[0:3]
	;; [unrolled: 1-line block ×6, first 2 shown]
	ds_read2_b64 v[62:65], v96 offset0:8 offset1:12
	v_mfma_f32_16x16x16bf16_1k v[12:15], v[78:79], v[84:85], v[12:15]
	s_waitcnt lgkmcnt(0)
	v_mfma_f32_16x16x16bf16_1k v[8:11], v[28:29], v[62:63], v[8:11]
	v_mfma_f32_16x16x16bf16_1k v[4:7], v[44:45], v[62:63], v[4:7]
	v_mfma_f32_16x16x16bf16_1k v[0:3], v[60:61], v[62:63], v[0:3]
	v_mfma_f32_16x16x16bf16_1k v[12:15], v[76:77], v[62:63], v[12:15]
	v_mfma_f32_16x16x16bf16_1k v[8:11], v[26:27], v[64:65], v[8:11]
	ds_read2_b64 v[26:29], v96 offset0:16 offset1:20
	v_mfma_f32_16x16x16bf16_1k v[4:7], v[42:43], v[64:65], v[4:7]
	v_mfma_f32_16x16x16bf16_1k v[0:3], v[58:59], v[64:65], v[0:3]
	;; [unrolled: 1-line block ×3, first 2 shown]
	s_waitcnt lgkmcnt(0)
	v_mfma_f32_16x16x16bf16_1k v[8:11], v[24:25], v[26:27], v[8:11]
	v_mfma_f32_16x16x16bf16_1k v[4:7], v[40:41], v[26:27], v[4:7]
	;; [unrolled: 1-line block ×5, first 2 shown]
	ds_read2_b64 v[22:25], v96 offset0:24 offset1:28
	v_mfma_f32_16x16x16bf16_1k v[4:7], v[38:39], v[28:29], v[4:7]
	v_mfma_f32_16x16x16bf16_1k v[0:3], v[54:55], v[28:29], v[0:3]
	;; [unrolled: 1-line block ×3, first 2 shown]
	s_waitcnt lgkmcnt(0)
	v_mfma_f32_16x16x16bf16_1k v[8:11], v[20:21], v[22:23], v[8:11]
	v_mfma_f32_16x16x16bf16_1k v[4:7], v[36:37], v[22:23], v[4:7]
	;; [unrolled: 1-line block ×8, first 2 shown]
	s_andn2_b64 exec, exec, s[8:9]
	s_cbranch_execz .LBB144_50
.LBB144_6:                              ; =>This Inner Loop Header: Depth=1
	v_add_co_u32_e32 v18, vcc, s42, v16
	v_addc_co_u32_e32 v19, vcc, v17, v99, vcc
	global_load_dword v30, v[16:17], off
	global_load_dword v31, v[18:19], off
	v_add_u32_e32 v18, s7, v94
	v_ashrrev_i32_e32 v19, 31, v18
	v_lshlrev_b64 v[18:19], 2, v[18:19]
	v_add_u32_e32 v20, s46, v94
	v_add_co_u32_e32 v18, vcc, s0, v18
	v_ashrrev_i32_e32 v21, 31, v20
	v_addc_co_u32_e32 v19, vcc, v97, v19, vcc
	v_lshlrev_b64 v[20:21], 2, v[20:21]
	v_add_u32_e32 v22, s47, v94
	v_add_co_u32_e32 v20, vcc, s0, v20
	v_ashrrev_i32_e32 v23, 31, v22
	v_addc_co_u32_e32 v21, vcc, v97, v21, vcc
	;; [unrolled: 5-line block ×5, first 2 shown]
	v_lshlrev_b64 v[28:29], 2, v[28:29]
	v_add_co_u32_e32 v28, vcc, s0, v28
	v_addc_co_u32_e32 v29, vcc, v97, v29, vcc
	global_load_dword v32, v[18:19], off
	global_load_dword v33, v[20:21], off
	;; [unrolled: 1-line block ×3, first 2 shown]
	s_nop 0
	global_load_dword v24, v[24:25], off
	s_nop 0
	global_load_dword v25, v[26:27], off
	;; [unrolled: 2-line block ×3, first 2 shown]
	v_add_u32_e32 v18, s51, v94
	v_ashrrev_i32_e32 v19, 31, v18
	v_add_u32_e32 v20, s52, v94
	v_lshlrev_b64 v[18:19], 2, v[18:19]
	v_ashrrev_i32_e32 v21, 31, v20
	v_add_co_u32_e32 v18, vcc, s0, v18
	v_add_u32_e32 v22, s53, v94
	v_lshlrev_b64 v[20:21], 2, v[20:21]
	v_addc_co_u32_e32 v19, vcc, v97, v19, vcc
	v_ashrrev_i32_e32 v23, 31, v22
	v_add_co_u32_e32 v20, vcc, s0, v20
	v_lshlrev_b64 v[22:23], 2, v[22:23]
	v_addc_co_u32_e32 v21, vcc, v97, v21, vcc
	global_load_dword v18, v[18:19], off
	s_nop 0
	global_load_dword v19, v[20:21], off
	v_add_u32_e32 v20, s54, v94
	v_add_co_u32_e32 v22, vcc, s0, v22
	v_ashrrev_i32_e32 v21, 31, v20
	v_addc_co_u32_e32 v23, vcc, v97, v23, vcc
	v_lshlrev_b64 v[20:21], 2, v[20:21]
	v_add_u32_e32 v58, s84, v94
	v_ashrrev_i32_e32 v59, 31, v58
	v_lshlrev_b64 v[58:59], 2, v[58:59]
	s_waitcnt vmcnt(9)
	ds_write_b32 v95, v30
	s_waitcnt vmcnt(8)
	ds_write_b32 v95, v31 offset:264
	s_waitcnt vmcnt(7)
	ds_write_b32 v95, v32 offset:528
	;; [unrolled: 2-line block ×7, first 2 shown]
	v_add_co_u32_e32 v24, vcc, s0, v20
	v_add_u32_e32 v20, s55, v94
	v_addc_co_u32_e32 v25, vcc, v97, v21, vcc
	v_ashrrev_i32_e32 v21, 31, v20
	v_lshlrev_b64 v[20:21], 2, v[20:21]
	v_add_co_u32_e32 v26, vcc, s0, v20
	v_add_u32_e32 v20, s56, v94
	v_addc_co_u32_e32 v27, vcc, v97, v21, vcc
	v_ashrrev_i32_e32 v21, 31, v20
	v_lshlrev_b64 v[20:21], 2, v[20:21]
	;; [unrolled: 5-line block ×6, first 2 shown]
	v_add_co_u32_e32 v36, vcc, s0, v20
	v_addc_co_u32_e32 v37, vcc, v97, v21, vcc
	global_load_dword v20, v[22:23], off
	global_load_dword v21, v[24:25], off
	s_nop 0
	global_load_dword v22, v[26:27], off
	global_load_dword v23, v[28:29], off
	;; [unrolled: 1-line block ×4, first 2 shown]
	s_nop 0
	global_load_dword v32, v[34:35], off
	global_load_dword v33, v[36:37], off
	v_add_u32_e32 v26, s61, v94
	v_ashrrev_i32_e32 v27, 31, v26
	v_lshlrev_b64 v[26:27], 2, v[26:27]
	v_add_u32_e32 v28, s62, v94
	v_add_co_u32_e32 v26, vcc, s0, v26
	v_ashrrev_i32_e32 v29, 31, v28
	v_addc_co_u32_e32 v27, vcc, v97, v27, vcc
	v_lshlrev_b64 v[28:29], 2, v[28:29]
	v_add_u32_e32 v30, s63, v94
	v_add_co_u32_e32 v28, vcc, s0, v28
	v_ashrrev_i32_e32 v31, 31, v30
	v_addc_co_u32_e32 v29, vcc, v97, v29, vcc
	;; [unrolled: 5-line block ×4, first 2 shown]
	v_lshlrev_b64 v[36:37], 2, v[36:37]
	v_add_co_u32_e32 v40, vcc, s0, v36
	v_add_u32_e32 v36, s66, v94
	v_addc_co_u32_e32 v41, vcc, v97, v37, vcc
	v_ashrrev_i32_e32 v37, 31, v36
	v_lshlrev_b64 v[36:37], 2, v[36:37]
	v_add_co_u32_e32 v42, vcc, s0, v36
	v_add_u32_e32 v36, s67, v94
	v_addc_co_u32_e32 v43, vcc, v97, v37, vcc
	v_ashrrev_i32_e32 v37, 31, v36
	;; [unrolled: 5-line block ×3, first 2 shown]
	v_lshlrev_b64 v[36:37], 2, v[36:37]
	v_add_co_u32_e32 v46, vcc, s0, v36
	v_addc_co_u32_e32 v47, vcc, v97, v37, vcc
	global_load_dword v36, v[26:27], off
	global_load_dword v37, v[28:29], off
	;; [unrolled: 1-line block ×4, first 2 shown]
	s_nop 0
	global_load_dword v40, v[40:41], off
	s_nop 0
	global_load_dword v41, v[42:43], off
	;; [unrolled: 2-line block ×3, first 2 shown]
	global_load_dword v43, v[46:47], off
	v_add_u32_e32 v26, s69, v94
	v_ashrrev_i32_e32 v27, 31, v26
	v_lshlrev_b64 v[26:27], 2, v[26:27]
	v_add_u32_e32 v28, s70, v94
	v_add_co_u32_e32 v26, vcc, s0, v26
	v_ashrrev_i32_e32 v29, 31, v28
	v_addc_co_u32_e32 v27, vcc, v97, v27, vcc
	v_lshlrev_b64 v[28:29], 2, v[28:29]
	v_add_u32_e32 v30, s71, v94
	v_add_co_u32_e32 v28, vcc, s0, v28
	v_ashrrev_i32_e32 v31, 31, v30
	v_addc_co_u32_e32 v29, vcc, v97, v29, vcc
	;; [unrolled: 5-line block ×4, first 2 shown]
	v_lshlrev_b64 v[44:45], 2, v[44:45]
	v_add_co_u32_e32 v48, vcc, s0, v44
	v_add_u32_e32 v44, s74, v94
	v_addc_co_u32_e32 v49, vcc, v97, v45, vcc
	v_ashrrev_i32_e32 v45, 31, v44
	v_lshlrev_b64 v[44:45], 2, v[44:45]
	v_add_co_u32_e32 v52, vcc, s0, v44
	v_add_u32_e32 v44, s75, v94
	v_addc_co_u32_e32 v53, vcc, v97, v45, vcc
	v_ashrrev_i32_e32 v45, 31, v44
	;; [unrolled: 5-line block ×3, first 2 shown]
	v_lshlrev_b64 v[44:45], 2, v[44:45]
	v_add_co_u32_e32 v56, vcc, s0, v44
	v_addc_co_u32_e32 v57, vcc, v97, v45, vcc
	global_load_dword v44, v[26:27], off
	global_load_dword v45, v[28:29], off
	;; [unrolled: 1-line block ×6, first 2 shown]
	s_nop 0
	global_load_dword v48, v[54:55], off
	global_load_dword v49, v[56:57], off
	v_add_u32_e32 v26, s77, v94
	v_ashrrev_i32_e32 v27, 31, v26
	v_lshlrev_b64 v[26:27], 2, v[26:27]
	v_add_u32_e32 v28, s78, v94
	v_add_co_u32_e32 v26, vcc, s0, v26
	v_ashrrev_i32_e32 v29, 31, v28
	v_addc_co_u32_e32 v27, vcc, v97, v27, vcc
	v_lshlrev_b64 v[28:29], 2, v[28:29]
	v_add_u32_e32 v30, s79, v94
	v_add_co_u32_e32 v28, vcc, s0, v28
	v_ashrrev_i32_e32 v31, 31, v30
	v_addc_co_u32_e32 v29, vcc, v97, v29, vcc
	;; [unrolled: 5-line block ×6, first 2 shown]
	v_lshlrev_b64 v[56:57], 2, v[56:57]
	v_add_co_u32_e32 v56, vcc, s0, v56
	v_addc_co_u32_e32 v57, vcc, v97, v57, vcc
	v_add_co_u32_e32 v58, vcc, s0, v58
	v_addc_co_u32_e32 v59, vcc, v97, v59, vcc
	global_load_dword v60, v[26:27], off
	global_load_dword v61, v[28:29], off
	;; [unrolled: 1-line block ×8, first 2 shown]
	v_add_u32_e32 v26, s85, v94
	v_ashrrev_i32_e32 v27, 31, v26
	v_lshlrev_b64 v[26:27], 2, v[26:27]
	v_add_u32_e32 v28, s86, v94
	v_add_co_u32_e32 v26, vcc, s0, v26
	v_ashrrev_i32_e32 v29, 31, v28
	v_addc_co_u32_e32 v27, vcc, v97, v27, vcc
	v_lshlrev_b64 v[28:29], 2, v[28:29]
	v_add_u32_e32 v30, s87, v94
	v_add_co_u32_e32 v28, vcc, s0, v28
	v_ashrrev_i32_e32 v31, 31, v30
	v_addc_co_u32_e32 v29, vcc, v97, v29, vcc
	v_lshlrev_b64 v[30:31], 2, v[30:31]
	v_add_u32_e32 v34, s88, v94
	v_add_co_u32_e32 v30, vcc, s0, v30
	v_ashrrev_i32_e32 v35, 31, v34
	v_addc_co_u32_e32 v31, vcc, v97, v31, vcc
	v_lshlrev_b64 v[34:35], 2, v[34:35]
	v_add_u32_e32 v52, s89, v94
	v_add_co_u32_e32 v34, vcc, s0, v34
	v_ashrrev_i32_e32 v53, 31, v52
	v_addc_co_u32_e32 v35, vcc, v97, v35, vcc
	v_lshlrev_b64 v[52:53], 2, v[52:53]
	v_add_u32_e32 v54, s90, v94
	v_add_co_u32_e32 v52, vcc, s0, v52
	v_ashrrev_i32_e32 v55, 31, v54
	v_addc_co_u32_e32 v53, vcc, v97, v53, vcc
	v_lshlrev_b64 v[54:55], 2, v[54:55]
	v_add_u32_e32 v56, s91, v94
	v_add_co_u32_e32 v54, vcc, s0, v54
	v_ashrrev_i32_e32 v57, 31, v56
	v_addc_co_u32_e32 v55, vcc, v97, v55, vcc
	v_lshlrev_b64 v[56:57], 2, v[56:57]
	v_add_u32_e32 v58, s43, v94
	v_add_co_u32_e32 v56, vcc, s0, v56
	v_ashrrev_i32_e32 v59, 31, v58
	v_addc_co_u32_e32 v57, vcc, v97, v57, vcc
	v_lshlrev_b64 v[58:59], 2, v[58:59]
	v_add_co_u32_e32 v58, vcc, s0, v58
	v_addc_co_u32_e32 v59, vcc, v97, v59, vcc
	global_load_dword v68, v[26:27], off
	global_load_dword v69, v[28:29], off
	;; [unrolled: 1-line block ×8, first 2 shown]
	v_add_u32_e32 v26, s92, v94
	v_ashrrev_i32_e32 v27, 31, v26
	v_lshlrev_b64 v[26:27], 2, v[26:27]
	v_add_u32_e32 v28, s93, v94
	v_add_co_u32_e32 v26, vcc, s0, v26
	v_ashrrev_i32_e32 v29, 31, v28
	v_addc_co_u32_e32 v27, vcc, v97, v27, vcc
	v_lshlrev_b64 v[28:29], 2, v[28:29]
	v_add_u32_e32 v30, s94, v94
	v_add_co_u32_e32 v28, vcc, s0, v28
	v_ashrrev_i32_e32 v31, 31, v30
	v_addc_co_u32_e32 v29, vcc, v97, v29, vcc
	;; [unrolled: 5-line block ×7, first 2 shown]
	v_lshlrev_b64 v[58:59], 2, v[58:59]
	v_add_co_u32_e32 v58, vcc, s0, v58
	v_addc_co_u32_e32 v59, vcc, v97, v59, vcc
	global_load_dword v76, v[26:27], off
	global_load_dword v77, v[28:29], off
	;; [unrolled: 1-line block ×8, first 2 shown]
	v_add_u32_e32 v26, s28, v94
	v_ashrrev_i32_e32 v27, 31, v26
	v_lshlrev_b64 v[26:27], 2, v[26:27]
	v_add_u32_e32 v28, s29, v94
	v_add_co_u32_e32 v26, vcc, s0, v26
	v_ashrrev_i32_e32 v29, 31, v28
	v_addc_co_u32_e32 v27, vcc, v97, v27, vcc
	v_lshlrev_b64 v[28:29], 2, v[28:29]
	v_add_u32_e32 v30, s3, v94
	v_add_co_u32_e32 v28, vcc, s0, v28
	v_ashrrev_i32_e32 v31, 31, v30
	v_addc_co_u32_e32 v29, vcc, v97, v29, vcc
	;; [unrolled: 5-line block ×5, first 2 shown]
	v_lshlrev_b64 v[54:55], 2, v[54:55]
	v_add_co_u32_e32 v54, vcc, s0, v54
	v_addc_co_u32_e32 v55, vcc, v97, v55, vcc
	global_load_dword v84, v[26:27], off
	global_load_dword v85, v[28:29], off
	;; [unrolled: 1-line block ×6, first 2 shown]
	s_waitcnt vmcnt(55)
	ds_write_b32 v95, v18 offset:2112
	s_waitcnt vmcnt(54)
	ds_write_b32 v95, v19 offset:2376
	s_waitcnt vmcnt(53)
	ds_write_b32 v95, v20 offset:2640
	s_waitcnt vmcnt(52)
	ds_write_b32 v95, v21 offset:2904
	s_waitcnt vmcnt(51)
	ds_write_b32 v95, v22 offset:3168
	s_waitcnt vmcnt(50)
	ds_write_b32 v95, v23 offset:3432
	s_waitcnt vmcnt(49)
	ds_write_b32 v95, v24 offset:3696
	s_waitcnt vmcnt(48)
	ds_write_b32 v95, v25 offset:3960
	ds_read_b64 v[34:35], v96
	ds_read_b64 v[30:31], v96 offset:32
	ds_read_b64 v[28:29], v96 offset:64
	ds_read_b64 v[26:27], v96 offset:96
	ds_read_b64 v[24:25], v96 offset:128
	ds_read_b64 v[22:23], v96 offset:160
	ds_read_b64 v[20:21], v96 offset:192
	ds_read_b64 v[18:19], v96 offset:224
	s_waitcnt vmcnt(47)
	ds_write_b32 v95, v32
	s_waitcnt vmcnt(46)
	ds_write_b32 v95, v33 offset:264
	s_waitcnt vmcnt(45)
	ds_write_b32 v95, v36 offset:528
	s_waitcnt vmcnt(44)
	ds_write_b32 v95, v37 offset:792
	s_waitcnt vmcnt(43)
	ds_write_b32 v95, v38 offset:1056
	s_waitcnt vmcnt(42)
	ds_write_b32 v95, v39 offset:1320
	s_waitcnt vmcnt(41)
	ds_write_b32 v95, v40 offset:1584
	s_waitcnt vmcnt(40)
	ds_write_b32 v95, v41 offset:1848
	s_waitcnt vmcnt(39)
	ds_write_b32 v95, v42 offset:2112
	s_waitcnt vmcnt(38)
	ds_write_b32 v95, v43 offset:2376
	s_waitcnt vmcnt(37)
	ds_write_b32 v95, v44 offset:2640
	s_waitcnt vmcnt(36)
	ds_write_b32 v95, v45 offset:2904
	s_waitcnt vmcnt(35)
	ds_write_b32 v95, v46 offset:3168
	s_waitcnt vmcnt(34)
	ds_write_b32 v95, v47 offset:3432
	s_waitcnt vmcnt(33)
	ds_write_b32 v95, v50 offset:3696
	s_waitcnt vmcnt(32)
	ds_write_b32 v95, v51 offset:3960
	ds_read_b64 v[50:51], v96
	ds_read_b64 v[46:47], v96 offset:32
	ds_read_b64 v[44:45], v96 offset:64
	ds_read_b64 v[42:43], v96 offset:96
	ds_read_b64 v[40:41], v96 offset:128
	ds_read_b64 v[38:39], v96 offset:160
	ds_read_b64 v[36:37], v96 offset:192
	ds_read_b64 v[32:33], v96 offset:224
	s_waitcnt vmcnt(31)
	ds_write_b32 v95, v48
	s_waitcnt vmcnt(30)
	ds_write_b32 v95, v49 offset:264
	s_waitcnt vmcnt(29)
	ds_write_b32 v95, v60 offset:528
	s_waitcnt vmcnt(28)
	ds_write_b32 v95, v61 offset:792
	s_waitcnt vmcnt(27)
	ds_write_b32 v95, v62 offset:1056
	s_waitcnt vmcnt(26)
	ds_write_b32 v95, v63 offset:1320
	s_waitcnt vmcnt(25)
	ds_write_b32 v95, v64 offset:1584
	s_waitcnt vmcnt(24)
	ds_write_b32 v95, v65 offset:1848
	s_waitcnt vmcnt(23)
	ds_write_b32 v95, v66 offset:2112
	s_waitcnt vmcnt(22)
	ds_write_b32 v95, v67 offset:2376
	s_waitcnt vmcnt(21)
	ds_write_b32 v95, v68 offset:2640
	s_waitcnt vmcnt(20)
	ds_write_b32 v95, v69 offset:2904
	s_waitcnt vmcnt(19)
	ds_write_b32 v95, v70 offset:3168
	s_waitcnt vmcnt(18)
	ds_write_b32 v95, v71 offset:3432
	s_waitcnt vmcnt(17)
	ds_write_b32 v95, v72 offset:3696
	s_waitcnt vmcnt(16)
	ds_write_b32 v95, v73 offset:3960
	ds_read_b64 v[64:65], v96
	ds_read_b64 v[62:63], v96 offset:32
	ds_read_b64 v[60:61], v96 offset:64
	ds_read_b64 v[58:59], v96 offset:96
	ds_read_b64 v[56:57], v96 offset:128
	ds_read_b64 v[54:55], v96 offset:160
	ds_read_b64 v[52:53], v96 offset:192
	ds_read_b64 v[48:49], v96 offset:224
	s_waitcnt vmcnt(15)
	ds_write_b32 v95, v74
	s_waitcnt vmcnt(14)
	ds_write_b32 v95, v75 offset:264
	s_waitcnt vmcnt(13)
	ds_write_b32 v95, v76 offset:528
	s_waitcnt vmcnt(12)
	ds_write_b32 v95, v77 offset:792
	s_waitcnt vmcnt(11)
	ds_write_b32 v95, v78 offset:1056
	s_waitcnt vmcnt(10)
	ds_write_b32 v95, v79 offset:1320
	s_waitcnt vmcnt(9)
	ds_write_b32 v95, v80 offset:1584
	s_waitcnt vmcnt(8)
	ds_write_b32 v95, v81 offset:1848
	s_waitcnt vmcnt(7)
	ds_write_b32 v95, v82 offset:2112
	s_waitcnt vmcnt(6)
	ds_write_b32 v95, v83 offset:2376
	;; [unrolled: 2-line block ×8, first 2 shown]
	ds_read_b64 v[80:81], v96
	ds_read_b64 v[78:79], v96 offset:32
	ds_read_b64 v[76:77], v96 offset:64
	;; [unrolled: 1-line block ×7, first 2 shown]
	s_andn2_b64 vcc, exec, s[4:5]
	v_mov_b32_e32 v88, 0
	v_mov_b32_e32 v89, 0
	s_cbranch_vccnz .LBB144_9
; %bb.7:                                ;   in Loop: Header=BB144_6 Depth=1
	s_load_dword s27, s[34:35], 0x0
	v_mov_b32_e32 v89, 0
	v_mov_b32_e32 v88, 0
	s_waitcnt lgkmcnt(0)
	s_mul_hi_u32 s44, s27, s16
	s_add_i32 s44, s27, s44
	s_lshr_b32 s44, s44, s17
	s_cmp_ge_i32 s44, s13
	s_cbranch_scc1 .LBB144_9
; %bb.8:                                ;   in Loop: Header=BB144_6 Depth=1
	s_mul_i32 s45, s44, s18
	s_sub_i32 s27, s27, s45
	s_mul_i32 s44, s44, s20
	s_mul_i32 s27, s27, s1
	v_add_u32_e32 v82, s44, v94
	v_lshl_add_u32 v82, v82, 1, s27
	v_ashrrev_i32_e32 v83, 31, v82
	v_lshlrev_b64 v[82:83], 2, v[82:83]
	v_mov_b32_e32 v84, s11
	v_add_co_u32_e32 v82, vcc, s10, v82
	v_addc_co_u32_e32 v83, vcc, v84, v83, vcc
	global_load_dwordx2 v[88:89], v[82:83], off
.LBB144_9:                              ;   in Loop: Header=BB144_6 Depth=1
	s_andn2_b64 vcc, exec, s[36:37]
	v_mov_b32_e32 v82, 0
	v_mov_b32_e32 v86, 0
	;; [unrolled: 1-line block ×3, first 2 shown]
	s_cbranch_vccnz .LBB144_12
; %bb.10:                               ;   in Loop: Header=BB144_6 Depth=1
	s_load_dword s27, s[34:35], 0x4
	v_mov_b32_e32 v87, 0
	v_mov_b32_e32 v86, 0
	s_waitcnt lgkmcnt(0)
	s_mul_hi_u32 s44, s27, s16
	s_add_i32 s44, s27, s44
	s_lshr_b32 s44, s44, s17
	s_cmp_ge_i32 s44, s13
	s_cbranch_scc1 .LBB144_12
; %bb.11:                               ;   in Loop: Header=BB144_6 Depth=1
	s_mul_i32 s45, s44, s18
	s_sub_i32 s27, s27, s45
	s_mul_i32 s44, s44, s20
	s_mul_i32 s27, s27, s1
	v_add_u32_e32 v83, s44, v94
	v_lshl_add_u32 v84, v83, 1, s27
	v_ashrrev_i32_e32 v85, 31, v84
	v_lshlrev_b64 v[84:85], 2, v[84:85]
	v_mov_b32_e32 v83, s11
	v_add_co_u32_e32 v84, vcc, s10, v84
	v_addc_co_u32_e32 v85, vcc, v83, v85, vcc
	global_load_dwordx2 v[86:87], v[84:85], off
.LBB144_12:                             ;   in Loop: Header=BB144_6 Depth=1
	s_andn2_b64 vcc, exec, s[38:39]
	v_mov_b32_e32 v83, 0
	s_cbranch_vccnz .LBB144_15
; %bb.13:                               ;   in Loop: Header=BB144_6 Depth=1
	s_load_dword s27, s[34:35], 0x8
	v_mov_b32_e32 v83, 0
	v_mov_b32_e32 v82, 0
	s_waitcnt lgkmcnt(0)
	s_mul_hi_u32 s44, s27, s16
	s_add_i32 s44, s27, s44
	s_lshr_b32 s44, s44, s17
	s_cmp_ge_i32 s44, s13
	s_cbranch_scc1 .LBB144_15
; %bb.14:                               ;   in Loop: Header=BB144_6 Depth=1
	s_mul_i32 s45, s44, s18
	s_sub_i32 s27, s27, s45
	s_mul_i32 s44, s44, s20
	s_mul_i32 s27, s27, s1
	v_add_u32_e32 v82, s44, v94
	v_lshl_add_u32 v82, v82, 1, s27
	v_ashrrev_i32_e32 v83, 31, v82
	v_lshlrev_b64 v[82:83], 2, v[82:83]
	v_mov_b32_e32 v84, s11
	v_add_co_u32_e32 v82, vcc, s10, v82
	v_addc_co_u32_e32 v83, vcc, v84, v83, vcc
	global_load_dwordx2 v[82:83], v[82:83], off
.LBB144_15:                             ;   in Loop: Header=BB144_6 Depth=1
	s_andn2_b64 vcc, exec, s[40:41]
	v_mov_b32_e32 v84, 0
	v_mov_b32_e32 v85, 0
	s_cbranch_vccnz .LBB144_18
; %bb.16:                               ;   in Loop: Header=BB144_6 Depth=1
	s_load_dword s27, s[34:35], 0xc
	v_mov_b32_e32 v85, 0
	v_mov_b32_e32 v84, 0
	s_waitcnt lgkmcnt(0)
	s_mul_hi_u32 s44, s27, s16
	s_add_i32 s44, s27, s44
	s_lshr_b32 s44, s44, s17
	s_cmp_ge_i32 s44, s13
	s_cbranch_scc1 .LBB144_18
; %bb.17:                               ;   in Loop: Header=BB144_6 Depth=1
	s_mul_i32 s45, s44, s18
	s_sub_i32 s27, s27, s45
	s_mul_i32 s44, s44, s20
	s_mul_i32 s27, s27, s1
	v_add_u32_e32 v84, s44, v94
	v_lshl_add_u32 v84, v84, 1, s27
	v_ashrrev_i32_e32 v85, 31, v84
	v_lshlrev_b64 v[84:85], 2, v[84:85]
	v_mov_b32_e32 v100, s11
	v_add_co_u32_e32 v84, vcc, s10, v84
	v_addc_co_u32_e32 v85, vcc, v100, v85, vcc
	global_load_dwordx2 v[84:85], v[84:85], off
.LBB144_18:                             ;   in Loop: Header=BB144_6 Depth=1
	s_waitcnt vmcnt(0)
	v_and_b32_e32 v100, 0x7f800000, v88
	v_cmp_ne_u32_e32 vcc, s6, v100
                                        ; implicit-def: $vgpr100
	s_and_saveexec_b64 s[44:45], vcc
	s_xor_b64 s[44:45], exec, s[44:45]
; %bb.19:                               ;   in Loop: Header=BB144_6 Depth=1
	v_bfe_u32 v100, v88, 16, 1
	v_add3_u32 v100, v88, v100, s33
; %bb.20:                               ;   in Loop: Header=BB144_6 Depth=1
	s_andn2_saveexec_b64 s[44:45], s[44:45]
; %bb.21:                               ;   in Loop: Header=BB144_6 Depth=1
	v_or_b32_e32 v100, 0x10000, v88
	v_cmp_eq_u32_sdwa vcc, v88, v98 src0_sel:WORD_0 src1_sel:DWORD
	v_cndmask_b32_e32 v100, v100, v88, vcc
; %bb.22:                               ;   in Loop: Header=BB144_6 Depth=1
	s_or_b64 exec, exec, s[44:45]
	v_and_b32_e32 v88, 0x7f800000, v89
	v_cmp_ne_u32_e32 vcc, s6, v88
                                        ; implicit-def: $vgpr88
	s_and_saveexec_b64 s[44:45], vcc
	s_xor_b64 s[44:45], exec, s[44:45]
; %bb.23:                               ;   in Loop: Header=BB144_6 Depth=1
	v_bfe_u32 v88, v89, 16, 1
	v_add3_u32 v88, v89, v88, s33
                                        ; implicit-def: $vgpr89
; %bb.24:                               ;   in Loop: Header=BB144_6 Depth=1
	s_andn2_saveexec_b64 s[44:45], s[44:45]
; %bb.25:                               ;   in Loop: Header=BB144_6 Depth=1
	v_or_b32_e32 v88, 0x10000, v89
	v_cmp_eq_u32_sdwa vcc, v89, v98 src0_sel:WORD_0 src1_sel:DWORD
	v_cndmask_b32_e32 v88, v88, v89, vcc
; %bb.26:                               ;   in Loop: Header=BB144_6 Depth=1
	s_or_b64 exec, exec, s[44:45]
	v_perm_b32 v88, v88, v100, s26
	ds_write_b32 v95, v88
	v_and_b32_e32 v88, 0x7f800000, v86
	v_cmp_ne_u32_e32 vcc, s6, v88
                                        ; implicit-def: $vgpr88
	s_and_saveexec_b64 s[44:45], vcc
	s_xor_b64 s[44:45], exec, s[44:45]
; %bb.27:                               ;   in Loop: Header=BB144_6 Depth=1
	v_bfe_u32 v88, v86, 16, 1
	v_add3_u32 v88, v86, v88, s33
; %bb.28:                               ;   in Loop: Header=BB144_6 Depth=1
	s_andn2_saveexec_b64 s[44:45], s[44:45]
; %bb.29:                               ;   in Loop: Header=BB144_6 Depth=1
	v_or_b32_e32 v88, 0x10000, v86
	v_cmp_eq_u32_sdwa vcc, v86, v98 src0_sel:WORD_0 src1_sel:DWORD
	v_cndmask_b32_e32 v88, v88, v86, vcc
; %bb.30:                               ;   in Loop: Header=BB144_6 Depth=1
	s_or_b64 exec, exec, s[44:45]
	v_and_b32_e32 v86, 0x7f800000, v87
	v_cmp_ne_u32_e32 vcc, s6, v86
                                        ; implicit-def: $vgpr86
	s_and_saveexec_b64 s[44:45], vcc
	s_xor_b64 s[44:45], exec, s[44:45]
; %bb.31:                               ;   in Loop: Header=BB144_6 Depth=1
	v_bfe_u32 v86, v87, 16, 1
	v_add3_u32 v86, v87, v86, s33
                                        ; implicit-def: $vgpr87
; %bb.32:                               ;   in Loop: Header=BB144_6 Depth=1
	s_andn2_saveexec_b64 s[44:45], s[44:45]
; %bb.33:                               ;   in Loop: Header=BB144_6 Depth=1
	v_or_b32_e32 v86, 0x10000, v87
	v_cmp_eq_u32_sdwa vcc, v87, v98 src0_sel:WORD_0 src1_sel:DWORD
	v_cndmask_b32_e32 v86, v86, v87, vcc
; %bb.34:                               ;   in Loop: Header=BB144_6 Depth=1
	s_or_b64 exec, exec, s[44:45]
	v_perm_b32 v86, v86, v88, s26
	ds_write_b32 v95, v86 offset:264
	v_and_b32_e32 v86, 0x7f800000, v82
	v_cmp_ne_u32_e32 vcc, s6, v86
                                        ; implicit-def: $vgpr86
	s_and_saveexec_b64 s[44:45], vcc
	s_xor_b64 s[44:45], exec, s[44:45]
; %bb.35:                               ;   in Loop: Header=BB144_6 Depth=1
	v_bfe_u32 v86, v82, 16, 1
	v_add3_u32 v86, v82, v86, s33
; %bb.36:                               ;   in Loop: Header=BB144_6 Depth=1
	s_andn2_saveexec_b64 s[44:45], s[44:45]
; %bb.37:                               ;   in Loop: Header=BB144_6 Depth=1
	v_or_b32_e32 v86, 0x10000, v82
	v_cmp_eq_u32_sdwa vcc, v82, v98 src0_sel:WORD_0 src1_sel:DWORD
	v_cndmask_b32_e32 v86, v86, v82, vcc
; %bb.38:                               ;   in Loop: Header=BB144_6 Depth=1
	s_or_b64 exec, exec, s[44:45]
	v_and_b32_e32 v82, 0x7f800000, v83
	v_cmp_ne_u32_e32 vcc, s6, v82
                                        ; implicit-def: $vgpr82
	s_and_saveexec_b64 s[44:45], vcc
	s_xor_b64 s[44:45], exec, s[44:45]
; %bb.39:                               ;   in Loop: Header=BB144_6 Depth=1
	v_bfe_u32 v82, v83, 16, 1
	v_add3_u32 v82, v83, v82, s33
                                        ; implicit-def: $vgpr83
; %bb.40:                               ;   in Loop: Header=BB144_6 Depth=1
	s_andn2_saveexec_b64 s[44:45], s[44:45]
; %bb.41:                               ;   in Loop: Header=BB144_6 Depth=1
	v_or_b32_e32 v82, 0x10000, v83
	v_cmp_eq_u32_sdwa vcc, v83, v98 src0_sel:WORD_0 src1_sel:DWORD
	v_cndmask_b32_e32 v82, v82, v83, vcc
; %bb.42:                               ;   in Loop: Header=BB144_6 Depth=1
	s_or_b64 exec, exec, s[44:45]
	v_perm_b32 v82, v82, v86, s26
	ds_write_b32 v95, v82 offset:528
	v_and_b32_e32 v82, 0x7f800000, v84
	v_cmp_ne_u32_e32 vcc, s6, v82
                                        ; implicit-def: $vgpr82
	s_and_saveexec_b64 s[44:45], vcc
	s_xor_b64 s[44:45], exec, s[44:45]
; %bb.43:                               ;   in Loop: Header=BB144_6 Depth=1
	v_bfe_u32 v82, v84, 16, 1
	v_add3_u32 v82, v84, v82, s33
; %bb.44:                               ;   in Loop: Header=BB144_6 Depth=1
	s_andn2_saveexec_b64 s[44:45], s[44:45]
; %bb.45:                               ;   in Loop: Header=BB144_6 Depth=1
	v_or_b32_e32 v82, 0x10000, v84
	v_cmp_eq_u32_sdwa vcc, v84, v98 src0_sel:WORD_0 src1_sel:DWORD
	v_cndmask_b32_e32 v82, v82, v84, vcc
; %bb.46:                               ;   in Loop: Header=BB144_6 Depth=1
	s_or_b64 exec, exec, s[44:45]
	v_and_b32_e32 v83, 0x7f800000, v85
	v_cmp_ne_u32_e32 vcc, s6, v83
                                        ; implicit-def: $vgpr83
	s_and_saveexec_b64 s[44:45], vcc
	s_xor_b64 s[44:45], exec, s[44:45]
; %bb.47:                               ;   in Loop: Header=BB144_6 Depth=1
	v_bfe_u32 v83, v85, 16, 1
	v_add3_u32 v83, v85, v83, s33
                                        ; implicit-def: $vgpr85
; %bb.48:                               ;   in Loop: Header=BB144_6 Depth=1
	s_andn2_saveexec_b64 s[44:45], s[44:45]
	s_cbranch_execz .LBB144_5
; %bb.49:                               ;   in Loop: Header=BB144_6 Depth=1
	v_or_b32_e32 v83, 0x10000, v85
	v_cmp_eq_u32_sdwa vcc, v85, v98 src0_sel:WORD_0 src1_sel:DWORD
	v_cndmask_b32_e32 v83, v83, v85, vcc
	s_branch .LBB144_5
.LBB144_50:
	s_or_b64 exec, exec, s[8:9]
	v_readlane_b32 s24, v101, 6
	v_readlane_b32 s26, v101, 9
	;; [unrolled: 1-line block ×8, first 2 shown]
.LBB144_51:
	v_readlane_b32 s0, v101, 4
	v_readlane_b32 s1, v101, 5
	s_or_b64 exec, exec, s[0:1]
	v_mul_u32_u24_e32 v16, 0x808, v93
	v_lshlrev_b32_e32 v17, 2, v92
	v_add3_u32 v16, 0, v16, v17
	v_and_b32_e32 v17, 0x3f0, v90
	v_add_u32_e32 v17, v16, v17
	s_barrier
	ds_write2_b32 v17, v8, v9 offset1:1
	ds_write_b32 v17, v10 offset:8
	v_or_b32_e32 v8, 12, v90
	v_and_b32_e32 v8, 0x3fc, v8
	v_add_u32_e32 v8, v16, v8
	v_cmp_gt_u32_e32 vcc, 4, v91
	ds_write_b32 v8, v11
	ds_write2_b32 v17, v4, v5 offset0:16 offset1:17
	ds_write_b32 v17, v6 offset:72
	ds_write_b32 v8, v7 offset:64
	ds_write2_b32 v17, v0, v1 offset0:32 offset1:33
	ds_write_b32 v17, v2 offset:136
	ds_write_b32 v8, v3 offset:128
	;; [unrolled: 3-line block ×3, first 2 shown]
	s_waitcnt lgkmcnt(0)
	s_barrier
	s_and_saveexec_b64 s[0:1], vcc
	s_cbranch_execz .LBB144_55
; %bb.52:
	v_or_b32_e32 v0, s30, v91
	s_cmp_gt_i32 s14, 0
	v_cmp_gt_i32_e32 vcc, s28, v0
	s_cselect_b64 s[0:1], -1, 0
	s_and_b64 s[0:1], s[0:1], vcc
	s_and_b64 exec, exec, s[0:1]
	s_cbranch_execz .LBB144_55
; %bb.53:
	s_lshl_b64 s[0:1], s[26:27], 2
	v_readlane_b32 s4, v101, 0
	v_readlane_b32 s5, v101, 1
	s_add_u32 s0, s4, s0
	v_ashrrev_i32_e32 v1, 31, v0
	s_addc_u32 s1, s5, s1
	v_lshlrev_b64 v[0:1], 2, v[0:1]
	v_mov_b32_e32 v2, s1
	v_add_co_u32_e32 v0, vcc, s0, v0
	v_addc_co_u32_e32 v1, vcc, v2, v1, vcc
	global_load_dword v0, v[0:1], off
	s_waitcnt vmcnt(0)
	v_mul_hi_u32 v1, v0, s19
	v_add_u32_e32 v1, v0, v1
	v_lshrrev_b32_e32 v1, s24, v1
	v_cmp_gt_i32_e32 vcc, s13, v1
	s_and_b64 exec, exec, vcc
	s_cbranch_execz .LBB144_55
; %bb.54:
	v_mul_u32_u24_e32 v2, 0x808, v91
	v_lshlrev_b32_e32 v3, 2, v90
	v_add3_u32 v8, 0, v2, v3
	ds_read2st64_b32 v[2:3], v8 offset1:1
	ds_read2st64_b32 v[4:5], v8 offset0:2 offset1:3
	ds_read2st64_b32 v[6:7], v8 offset0:4 offset1:5
	;; [unrolled: 1-line block ×3, first 2 shown]
	v_readlane_b32 s0, v101, 2
	s_waitcnt lgkmcnt(3)
	v_add_f32_e32 v2, 0, v2
	v_add_f32_e32 v2, v2, v3
	v_mul_lo_u32 v3, v1, s25
	s_waitcnt lgkmcnt(2)
	v_add_f32_e32 v2, v2, v4
	v_sub_u32_e32 v0, v0, v3
	v_add_f32_e32 v2, v2, v5
	v_mul_lo_u32 v0, v0, s2
	v_mul_lo_u32 v1, v1, s21
	v_add_u32_e32 v3, s22, v90
	s_waitcnt lgkmcnt(1)
	v_add_f32_e32 v2, v2, v6
	v_add3_u32 v0, v3, v1, v0
	v_mov_b32_e32 v1, 0
	v_add_f32_e32 v2, v2, v7
	v_lshlrev_b64 v[0:1], 2, v[0:1]
	v_readlane_b32 s1, v101, 3
	s_waitcnt lgkmcnt(0)
	v_add_f32_e32 v2, v2, v8
	v_mov_b32_e32 v3, s1
	v_add_co_u32_e32 v0, vcc, s0, v0
	v_add_f32_e32 v2, v2, v9
	v_addc_co_u32_e32 v1, vcc, v3, v1, vcc
	global_store_dword v[0:1], v2, off
.LBB144_55:
	s_endpgm
	.section	.rodata,"a",@progbits
	.p2align	6, 0x0
	.amdhsa_kernel _ZL13mul_mat_f_idsI15__hip_bfloat162Li64ELi4ELi8EEvPKT_PKfPKiS7_S7_Pfiiiiiiiiiiiiii15HIP_vector_typeIjLj3EESA_
		.amdhsa_group_segment_fixed_size 0
		.amdhsa_private_segment_fixed_size 0
		.amdhsa_kernarg_size 128
		.amdhsa_user_sgpr_count 6
		.amdhsa_user_sgpr_private_segment_buffer 1
		.amdhsa_user_sgpr_dispatch_ptr 0
		.amdhsa_user_sgpr_queue_ptr 0
		.amdhsa_user_sgpr_kernarg_segment_ptr 1
		.amdhsa_user_sgpr_dispatch_id 0
		.amdhsa_user_sgpr_flat_scratch_init 0
		.amdhsa_user_sgpr_kernarg_preload_length 0
		.amdhsa_user_sgpr_kernarg_preload_offset 0
		.amdhsa_user_sgpr_private_segment_size 0
		.amdhsa_uses_dynamic_stack 0
		.amdhsa_system_sgpr_private_segment_wavefront_offset 0
		.amdhsa_system_sgpr_workgroup_id_x 1
		.amdhsa_system_sgpr_workgroup_id_y 1
		.amdhsa_system_sgpr_workgroup_id_z 1
		.amdhsa_system_sgpr_workgroup_info 0
		.amdhsa_system_vgpr_workitem_id 1
		.amdhsa_next_free_vgpr 102
		.amdhsa_next_free_sgpr 96
		.amdhsa_accum_offset 104
		.amdhsa_reserve_vcc 1
		.amdhsa_reserve_flat_scratch 0
		.amdhsa_float_round_mode_32 0
		.amdhsa_float_round_mode_16_64 0
		.amdhsa_float_denorm_mode_32 3
		.amdhsa_float_denorm_mode_16_64 3
		.amdhsa_dx10_clamp 1
		.amdhsa_ieee_mode 1
		.amdhsa_fp16_overflow 0
		.amdhsa_tg_split 0
		.amdhsa_exception_fp_ieee_invalid_op 0
		.amdhsa_exception_fp_denorm_src 0
		.amdhsa_exception_fp_ieee_div_zero 0
		.amdhsa_exception_fp_ieee_overflow 0
		.amdhsa_exception_fp_ieee_underflow 0
		.amdhsa_exception_fp_ieee_inexact 0
		.amdhsa_exception_int_div_zero 0
	.end_amdhsa_kernel
	.section	.text._ZL13mul_mat_f_idsI15__hip_bfloat162Li64ELi4ELi8EEvPKT_PKfPKiS7_S7_Pfiiiiiiiiiiiiii15HIP_vector_typeIjLj3EESA_,"axG",@progbits,_ZL13mul_mat_f_idsI15__hip_bfloat162Li64ELi4ELi8EEvPKT_PKfPKiS7_S7_Pfiiiiiiiiiiiiii15HIP_vector_typeIjLj3EESA_,comdat
.Lfunc_end144:
	.size	_ZL13mul_mat_f_idsI15__hip_bfloat162Li64ELi4ELi8EEvPKT_PKfPKiS7_S7_Pfiiiiiiiiiiiiii15HIP_vector_typeIjLj3EESA_, .Lfunc_end144-_ZL13mul_mat_f_idsI15__hip_bfloat162Li64ELi4ELi8EEvPKT_PKfPKiS7_S7_Pfiiiiiiiiiiiiii15HIP_vector_typeIjLj3EESA_
                                        ; -- End function
	.section	.AMDGPU.csdata,"",@progbits
; Kernel info:
; codeLenInByte = 6104
; NumSgprs: 100
; NumVgprs: 102
; NumAgprs: 0
; TotalNumVgprs: 102
; ScratchSize: 0
; MemoryBound: 0
; FloatMode: 240
; IeeeMode: 1
; LDSByteSize: 0 bytes/workgroup (compile time only)
; SGPRBlocks: 12
; VGPRBlocks: 12
; NumSGPRsForWavesPerEU: 100
; NumVGPRsForWavesPerEU: 102
; AccumOffset: 104
; Occupancy: 4
; WaveLimiterHint : 1
; COMPUTE_PGM_RSRC2:SCRATCH_EN: 0
; COMPUTE_PGM_RSRC2:USER_SGPR: 6
; COMPUTE_PGM_RSRC2:TRAP_HANDLER: 0
; COMPUTE_PGM_RSRC2:TGID_X_EN: 1
; COMPUTE_PGM_RSRC2:TGID_Y_EN: 1
; COMPUTE_PGM_RSRC2:TGID_Z_EN: 1
; COMPUTE_PGM_RSRC2:TIDIG_COMP_CNT: 1
; COMPUTE_PGM_RSRC3_GFX90A:ACCUM_OFFSET: 25
; COMPUTE_PGM_RSRC3_GFX90A:TG_SPLIT: 0
	.section	.text._ZL9mul_mat_fI15__hip_bfloat162Li64ELi4ELi8ELb1EEvPKT_PKfPKiPfiiiiiiiiiiiiiiii,"axG",@progbits,_ZL9mul_mat_fI15__hip_bfloat162Li64ELi4ELi8ELb1EEvPKT_PKfPKiPfiiiiiiiiiiiiiiii,comdat
	.globl	_ZL9mul_mat_fI15__hip_bfloat162Li64ELi4ELi8ELb1EEvPKT_PKfPKiPfiiiiiiiiiiiiiiii ; -- Begin function _ZL9mul_mat_fI15__hip_bfloat162Li64ELi4ELi8ELb1EEvPKT_PKfPKiPfiiiiiiiiiiiiiiii
	.p2align	8
	.type	_ZL9mul_mat_fI15__hip_bfloat162Li64ELi4ELi8ELb1EEvPKT_PKfPKiPfiiiiiiiiiiiiiiii,@function
_ZL9mul_mat_fI15__hip_bfloat162Li64ELi4ELi8ELb1EEvPKT_PKfPKiPfiiiiiiiiiiiiiiii: ; @_ZL9mul_mat_fI15__hip_bfloat162Li64ELi4ELi8ELb1EEvPKT_PKfPKiPfiiiiiiiiiiiiiiii
; %bb.0:
	s_load_dwordx8 s[12:19], s[4:5], 0x20
	v_bfe_u32 v17, v0, 10, 10
	v_and_b32_e32 v16, 0x3ff, v0
	v_cmp_eq_u32_e32 vcc, 0, v16
	v_mul_i32_i24_e32 v87, 0xffffef84, v17
	s_waitcnt lgkmcnt(0)
	s_add_i32 s0, s13, 3
	s_ashr_i32 s1, s0, 31
	s_lshr_b32 s1, s1, 30
	s_add_i32 s0, s0, s1
	s_ashr_i32 s0, s0, 2
	v_cvt_f32_u32_e32 v1, s0
	s_load_dwordx8 s[20:27], s[4:5], 0x44
	s_load_dword s1, s[4:5], 0x64
	s_sub_i32 s2, 0, s0
	s_add_u32 s10, s4, 0x60
	v_rcp_iflag_f32_e32 v1, v1
	s_addc_u32 s11, s5, 0
	v_mul_f32_e32 v1, 0x4f7ffffe, v1
	v_cvt_u32_f32_e32 v1, v1
	v_readfirstlane_b32 s3, v1
	s_mul_i32 s2, s2, s3
	s_mul_hi_u32 s2, s3, s2
	s_add_i32 s3, s3, s2
	s_waitcnt lgkmcnt(0)
	s_mul_hi_u32 s2, s1, s3
	s_mul_i32 s3, s2, s0
	s_sub_i32 s1, s1, s3
	s_add_i32 s9, s2, 1
	s_sub_i32 s3, s1, s0
	s_cmp_ge_u32 s1, s0
	s_cselect_b32 s2, s9, s2
	s_cselect_b32 s1, s3, s1
	s_add_i32 s3, s2, 1
	s_cmp_ge_u32 s1, s0
	s_cselect_b32 s9, s3, s2
	s_abs_i32 s2, s23
	v_cvt_f32_u32_e32 v1, s9
	v_cvt_f32_u32_e32 v2, s2
	s_sub_i32 s0, 0, s9
	s_sub_i32 s1, 0, s2
	v_rcp_iflag_f32_e32 v1, v1
	v_rcp_iflag_f32_e32 v2, v2
	s_abs_i32 s3, s8
	v_mul_f32_e32 v1, 0x4f7ffffe, v1
	v_mul_f32_e32 v2, 0x4f7ffffe, v2
	v_cvt_u32_f32_e32 v1, v1
	v_cvt_u32_f32_e32 v2, v2
	v_readfirstlane_b32 s27, v1
	v_readfirstlane_b32 s28, v2
	s_mul_i32 s0, s0, s27
	s_mul_i32 s1, s1, s28
	s_mul_hi_u32 s0, s27, s0
	s_mul_hi_u32 s1, s28, s1
	s_add_i32 s27, s27, s0
	s_movk_i32 s0, 0x1080
	v_mov_b32_e32 v1, 0x100
	s_mul_hi_u32 s33, s7, s27
	s_add_i32 s27, s28, s1
	v_mad_u32_u24 v86, v17, s0, v1
	s_and_saveexec_b64 s[0:1], vcc
	s_cbranch_execz .LBB145_2
; %bb.1:
	v_add_u32_e32 v1, v86, v87
	v_mov_b32_e32 v2, -1
	ds_write_b32 v1, v2
.LBB145_2:
	s_or_b64 exec, exec, s[0:1]
	s_mul_i32 s0, s33, s9
	s_sub_i32 s0, s7, s0
	s_add_i32 s1, s33, 1
	s_sub_i32 s34, s0, s9
	s_cmp_ge_u32 s0, s9
	s_cselect_b32 s1, s1, s33
	s_cselect_b32 s0, s34, s0
	s_add_i32 s33, s1, 1
	s_cmp_ge_u32 s0, s9
	s_load_dwordx4 s[28:31], s[4:5], 0x0
	s_load_dwordx2 s[36:37], s[4:5], 0x18
	s_cselect_b32 s0, s33, s1
	s_mul_i32 s1, s0, s9
	s_lshl_b32 s9, s0, 2
	v_add_u32_e32 v1, s9, v17
	s_sub_i32 s7, s7, s1
	v_cmp_gt_i32_e32 vcc, s13, v1
	v_cmp_gt_i32_e64 s[0:1], s14, v16
	s_mul_hi_u32 s27, s3, s27
	s_and_b64 s[0:1], vcc, s[0:1]
	v_mov_b32_e32 v1, 0
	s_and_saveexec_b64 s[34:35], s[0:1]
	s_cbranch_execz .LBB145_8
; %bb.3:
	s_load_dwordx2 s[0:1], s[4:5], 0x10
	s_mul_hi_i32 s5, s9, s19
	s_mul_i32 s4, s9, s19
	v_mul_lo_u32 v2, v17, s19
	s_lshl_b64 s[4:5], s[4:5], 2
	s_waitcnt lgkmcnt(0)
	s_add_u32 s0, s0, s4
	v_ashrrev_i32_e32 v3, 31, v2
	s_addc_u32 s1, s1, s5
	v_lshlrev_b64 v[2:3], 2, v[2:3]
	v_mov_b32_e32 v4, s1
	v_add_co_u32_e32 v1, vcc, s0, v2
	v_addc_co_u32_e32 v4, vcc, v4, v3, vcc
	v_mul_lo_u32 v2, v16, s18
	s_lshl_b32 s33, s18, 6
	s_mov_b64 s[4:5], 0
	v_mov_b32_e32 v5, 0
	v_add_u32_e32 v6, v86, v87
	v_mov_b32_e32 v7, v16
	s_branch .LBB145_5
.LBB145_4:                              ;   in Loop: Header=BB145_5 Depth=1
	s_or_b64 exec, exec, s[18:19]
	v_add_u32_e32 v7, 64, v7
	v_cmp_le_i32_e64 s[0:1], s14, v7
	s_xor_b64 s[18:19], vcc, -1
	s_or_b64 s[0:1], s[18:19], s[0:1]
	s_and_b64 s[0:1], exec, s[0:1]
	s_or_b64 s[4:5], s[0:1], s[4:5]
	v_add_u32_e32 v2, s33, v2
	s_andn2_b64 exec, exec, s[4:5]
	s_cbranch_execz .LBB145_7
.LBB145_5:                              ; =>This Inner Loop Header: Depth=1
	v_ashrrev_i32_e32 v3, 31, v2
	v_lshlrev_b64 v[8:9], 2, v[2:3]
	v_add_co_u32_e32 v8, vcc, v1, v8
	v_addc_co_u32_e32 v9, vcc, v4, v9, vcc
	global_load_dword v3, v[8:9], off
	s_waitcnt vmcnt(0)
	v_cmp_ne_u32_e32 vcc, s7, v3
	v_cmp_eq_u32_e64 s[0:1], s7, v3
	s_and_saveexec_b64 s[18:19], s[0:1]
	s_cbranch_execz .LBB145_4
; %bb.6:                                ;   in Loop: Header=BB145_5 Depth=1
	v_mov_b32_e32 v5, 1
	ds_write_b32 v6, v7
	s_branch .LBB145_4
.LBB145_7:
	s_or_b64 exec, exec, s[4:5]
	v_cmp_ne_u32_e32 vcc, 0, v5
	v_cndmask_b32_e64 v1, 0, 1, vcc
.LBB145_8:
	s_or_b64 exec, exec, s[34:35]
	s_load_dwordx2 s[0:1], s[10:11], 0xc
	v_or_b32_dpp v1, v1, v1 row_shl:1 row_mask:0xf bank_mask:0xf bound_ctrl:1
	s_ashr_i32 s4, s8, 31
	s_ashr_i32 s5, s23, 31
	v_or_b32_dpp v1, v1, v1 row_shl:2 row_mask:0xf bank_mask:0xf bound_ctrl:1
	s_waitcnt lgkmcnt(0)
	s_and_b32 s10, s1, 0xffff
	s_lshr_b32 s1, s0, 16
	s_and_b32 s0, s0, 0xffff
	s_mul_i32 s11, s1, s0
	v_or_b32_dpp v1, v1, v1 row_shl:4 row_mask:0xf bank_mask:0xf bound_ctrl:1
	s_bfe_i32 s11, s11, 0x180000
	s_mul_i32 s10, s11, s10
	v_or_b32_dpp v1, v1, v1 row_shl:8 row_mask:0xf bank_mask:0xf bound_ctrl:1
	s_add_i32 s11, s10, 63
	s_bitcmp1_b32 exec_hi, 0
	v_mov_b32_dpp v2, v1 wave_shl:1 row_mask:0xf bank_mask:0xf bound_ctrl:1
	s_nop 1
	v_or_b32_dpp v1, v2, v1 row_mirror row_mask:0xf bank_mask:0xf bound_ctrl:1
	v_readlane_b32 s10, v1, 32
	s_cselect_b32 s10, s10, 0
	v_readlane_b32 s14, v1, 0
	s_or_b32 s10, s10, s14
	s_andn2_b32 s11, s11, 63
	s_cmp_lg_u32 s11, 64
	v_mov_b32_e32 v1, s10
	s_cbranch_scc0 .LBB145_15
; %bb.9:
	v_bfe_u32 v0, v0, 20, 10
	v_mbcnt_lo_u32_b32 v1, -1, 0
	v_mad_u32_u24 v0, v0, s1, v17
	v_mbcnt_hi_u32_b32 v2, -1, v1
	v_mad_u64_u32 v[0:1], s[0:1], v0, s0, v[16:17]
	v_lshrrev_b32_e32 v1, 6, v0
	v_or_b32_e32 v1, v2, v1
	v_cmp_eq_u32_e32 vcc, 0, v1
	s_and_saveexec_b64 s[0:1], vcc
	s_cbranch_execz .LBB145_11
; %bb.10:
	v_mov_b32_e32 v1, 0
	v_mov_b32_e32 v3, s10
	ds_write_b32 v1, v3
.LBB145_11:
	s_or_b64 exec, exec, s[0:1]
	v_cmp_eq_u32_e32 vcc, 0, v2
	v_cmp_lt_u32_e64 s[0:1], 63, v0
	s_and_b64 s[18:19], s[0:1], vcc
	s_waitcnt lgkmcnt(0)
	s_barrier
	s_and_saveexec_b64 s[0:1], s[18:19]
	s_cbranch_execz .LBB145_14
; %bb.12:
	v_mbcnt_lo_u32_b32 v0, exec_lo, 0
	v_mbcnt_hi_u32_b32 v0, exec_hi, v0
	v_cmp_eq_u32_e32 vcc, 0, v0
	s_and_b64 exec, exec, vcc
	s_cbranch_execz .LBB145_14
; %bb.13:
	v_mov_b32_e32 v0, 0
	v_mov_b32_e32 v1, s10
	ds_or_b32 v0, v1
.LBB145_14:
	s_or_b64 exec, exec, s[0:1]
	v_mov_b32_e32 v0, 0
	s_waitcnt lgkmcnt(0)
	s_barrier
	ds_read_b32 v1, v0
	s_waitcnt lgkmcnt(0)
	s_barrier
.LBB145_15:
	v_cmp_ne_u32_e32 vcc, 0, v1
	s_cbranch_vccz .LBB145_69
; %bb.16:
	v_lshlrev_b32_e32 v88, 6, v17
	v_add_u32_e32 v90, v88, v16
	v_cmp_le_i32_e32 vcc, s12, v90
	v_and_b32_e32 v89, 15, v16
                                        ; implicit-def: $sgpr10
	s_and_saveexec_b64 s[0:1], vcc
	s_xor_b64 s[0:1], exec, s[0:1]
; %bb.17:
	v_and_b32_e32 v89, 15, v16
	s_mov_b32 s10, 0
                                        ; implicit-def: $vgpr90
; %bb.18:
	s_or_saveexec_b64 s[0:1], s[0:1]
	s_lshl_b32 s23, s6, 6
	v_mov_b32_e32 v11, s10
	v_mov_b32_e32 v10, s10
	;; [unrolled: 1-line block ×16, first 2 shown]
	s_xor_b64 exec, exec, s[0:1]
	s_cbranch_execz .LBB145_66
; %bb.19:
	s_xor_b32 s4, s4, s5
	s_mul_i32 s5, s27, s2
	s_sub_i32 s3, s3, s5
	s_add_i32 s5, s27, 1
	s_sub_i32 s6, s3, s2
	s_cmp_ge_u32 s3, s2
	s_cselect_b32 s5, s5, s27
	s_cselect_b32 s3, s6, s3
	s_add_i32 s6, s5, 1
	s_cmp_ge_u32 s3, s2
	s_cselect_b32 s2, s6, s5
	s_xor_b32 s2, s2, s4
	s_sub_i32 s2, s2, s4
	s_mul_hi_i32 s3, s2, s24
	s_mul_i32 s2, s2, s24
	s_mul_i32 s4, s7, s20
	s_ashr_i32 s5, s4, 31
	s_lshl_b64 s[2:3], s[2:3], 2
	s_add_u32 s7, s28, s2
	s_addc_u32 s10, s29, s3
	s_lshl_b64 s[34:35], s[4:5], 2
                                        ; implicit-def: $vgpr104 : SGPR spill to VGPR lane
	s_mul_i32 s6, s23, s15
	s_add_u32 s14, s7, s34
	v_writelane_b32 v104, s36, 0
	s_addc_u32 s18, s10, s35
	s_mul_hi_i32 s11, s16, s9
	s_mul_i32 s10, s16, s9
	s_ashr_i32 s7, s6, 31
	v_writelane_b32 v104, s37, 1
	s_lshl_b64 s[10:11], s[10:11], 3
	s_lshl_b64 s[36:37], s[6:7], 2
	s_mul_hi_i32 s5, s25, s8
	s_mul_i32 s4, s25, s8
	s_add_u32 s20, s14, s36
	s_addc_u32 s14, s18, s37
	s_lshl_b64 s[4:5], s[4:5], 2
	s_add_u32 s4, s30, s4
	s_addc_u32 s5, s31, s5
	s_add_u32 s27, s4, s10
	s_addc_u32 s30, s5, s11
	s_cmp_lt_i32 s9, s13
	s_cselect_b64 s[4:5], -1, 0
	s_or_b32 s6, s9, 1
	s_cmp_lt_i32 s6, s13
	s_cselect_b64 s[6:7], -1, 0
	s_or_b32 s10, s9, 2
	s_cmp_lt_i32 s10, s13
	s_cselect_b64 s[10:11], -1, 0
	s_lshl_b32 s31, s16, 2
	s_or_b32 s18, s9, 3
	s_cmp_lt_i32 s18, s13
	s_cselect_b64 s[18:19], -1, 0
	s_ashr_i32 s25, s15, 31
	s_mov_b32 s24, s15
	s_lshl_b64 s[24:25], s[24:25], 2
	s_add_u32 s2, s2, s36
	s_addc_u32 s3, s3, s37
	v_lshrrev_b32_e32 v1, 1, v16
	s_add_u32 s2, s2, s34
	v_mul_u32_u24_e32 v0, 0x108, v89
	v_and_b32_e32 v1, 0x1f8, v1
	s_addc_u32 s3, s3, s35
	v_add3_u32 v92, v86, v0, v1
	v_lshlrev_b32_e32 v0, 1, v16
	s_add_u32 s2, s28, s2
	v_lshl_add_u32 v93, v17, 7, v0
	v_lshlrev_b32_e32 v0, 2, v90
	s_addc_u32 s3, s29, s3
	v_mov_b32_e32 v1, s3
	v_add_co_u32_e32 v18, vcc, s2, v0
	v_mov_b32_e32 v95, 0
	v_lshl_add_u32 v91, v16, 2, v86
	v_addc_co_u32_e32 v19, vcc, 0, v1, vcc
	s_mul_i32 s33, s16, 6
	s_lshl_b32 s16, s16, 1
	s_lshl_b32 s34, s15, 1
	s_mul_i32 s35, s15, 3
	s_lshl_b32 s36, s15, 2
	s_mul_i32 s37, s15, 5
	s_mul_i32 s38, s15, 6
	;; [unrolled: 1-line block ×3, first 2 shown]
	s_lshl_b32 s40, s15, 3
	s_mul_i32 s41, s15, 9
	s_mul_i32 s42, s15, 10
	;; [unrolled: 1-line block ×7, first 2 shown]
	s_lshl_b32 s48, s15, 4
	s_mul_i32 s49, s15, 17
	s_mul_i32 s50, s15, 18
	;; [unrolled: 1-line block ×15, first 2 shown]
	s_lshl_b32 s64, s15, 5
	s_mul_i32 s65, s15, 33
	s_mul_i32 s66, s15, 34
	;; [unrolled: 1-line block ×11, first 2 shown]
	v_mov_b32_e32 v94, s14
	s_mul_i32 s76, s15, 44
	v_mov_b32_e32 v96, s25
	v_mov_b32_e32 v97, 0x100
	;; [unrolled: 1-line block ×18, first 2 shown]
	s_mul_i32 s25, s15, 45
	s_mul_i32 s77, s15, 46
	;; [unrolled: 1-line block ×19, first 2 shown]
	s_mov_b32 s95, 0x7f800000
	s_movk_i32 s2, 0x7fff
	s_mov_b32 s3, 0x7060302
	s_mov_b64 s[14:15], 0
	s_branch .LBB145_21
.LBB145_20:                             ;   in Loop: Header=BB145_21 Depth=1
	s_or_b64 exec, exec, s[28:29]
	v_perm_b32 v84, v84, v98, s3
	v_add_u32_e32 v85, 0x200, v91
	ds_write2_b32 v85, v84, v95 offset0:86 offset1:152
	v_add_u32_e32 v84, 0x400, v91
	ds_write2_b32 v84, v95, v95 offset0:90 offset1:156
	;; [unrolled: 2-line block ×6, first 2 shown]
	ds_write_b32 v91, v95 offset:4024
	ds_read2_b64 v[98:101], v92 offset0:8 offset1:12
	s_waitcnt lgkmcnt(0)
	v_mfma_f32_16x16x16bf16_1k v[8:11], v[36:37], v[98:99], v[8:11]
	v_add_co_u32_e32 v18, vcc, 0x800, v18
	v_add_u32_e32 v90, 0x200, v90
	v_addc_co_u32_e32 v19, vcc, 0, v19, vcc
	v_cmp_le_i32_e32 vcc, s12, v90
	v_add_u32_e32 v93, 0x400, v93
	v_mfma_f32_16x16x16bf16_1k v[4:7], v[52:53], v[98:99], v[4:7]
	s_or_b64 s[14:15], vcc, s[14:15]
	v_mfma_f32_16x16x16bf16_1k v[0:3], v[66:67], v[98:99], v[0:3]
	v_mfma_f32_16x16x16bf16_1k v[12:15], v[82:83], v[98:99], v[12:15]
	;; [unrolled: 1-line block ×4, first 2 shown]
	ds_read2_b64 v[50:53], v92 offset0:16 offset1:20
	v_mfma_f32_16x16x16bf16_1k v[0:3], v[64:65], v[100:101], v[0:3]
	v_mfma_f32_16x16x16bf16_1k v[12:15], v[80:81], v[100:101], v[12:15]
	s_waitcnt lgkmcnt(0)
	v_mfma_f32_16x16x16bf16_1k v[8:11], v[30:31], v[50:51], v[8:11]
	v_mfma_f32_16x16x16bf16_1k v[4:7], v[46:47], v[50:51], v[4:7]
	;; [unrolled: 1-line block ×5, first 2 shown]
	ds_read2_b64 v[28:31], v92 offset0:24 offset1:28
	v_mfma_f32_16x16x16bf16_1k v[4:7], v[44:45], v[52:53], v[4:7]
	v_mfma_f32_16x16x16bf16_1k v[0:3], v[60:61], v[52:53], v[0:3]
	;; [unrolled: 1-line block ×3, first 2 shown]
	s_waitcnt lgkmcnt(0)
	v_mfma_f32_16x16x16bf16_1k v[8:11], v[26:27], v[28:29], v[8:11]
	v_mfma_f32_16x16x16bf16_1k v[4:7], v[42:43], v[28:29], v[4:7]
	;; [unrolled: 1-line block ×5, first 2 shown]
	ds_read2_b64 v[24:27], v92 offset0:32 offset1:36
	v_mfma_f32_16x16x16bf16_1k v[4:7], v[40:41], v[30:31], v[4:7]
	v_mfma_f32_16x16x16bf16_1k v[0:3], v[56:57], v[30:31], v[0:3]
	v_mfma_f32_16x16x16bf16_1k v[12:15], v[72:73], v[30:31], v[12:15]
	s_waitcnt lgkmcnt(0)
	v_mfma_f32_16x16x16bf16_1k v[8:11], v[22:23], v[24:25], v[8:11]
	v_mfma_f32_16x16x16bf16_1k v[4:7], v[38:39], v[24:25], v[4:7]
	;; [unrolled: 1-line block ×8, first 2 shown]
	s_andn2_b64 exec, exec, s[14:15]
	s_cbranch_execz .LBB145_65
.LBB145_21:                             ; =>This Inner Loop Header: Depth=1
	v_add_co_u32_e32 v20, vcc, s24, v18
	v_addc_co_u32_e32 v21, vcc, v19, v96, vcc
	global_load_dword v32, v[18:19], off
	global_load_dword v33, v[20:21], off
	v_add_u32_e32 v20, s34, v90
	v_ashrrev_i32_e32 v21, 31, v20
	v_lshlrev_b64 v[20:21], 2, v[20:21]
	v_add_u32_e32 v22, s35, v90
	v_add_co_u32_e32 v20, vcc, s20, v20
	v_ashrrev_i32_e32 v23, 31, v22
	v_addc_co_u32_e32 v21, vcc, v94, v21, vcc
	v_lshlrev_b64 v[22:23], 2, v[22:23]
	v_add_u32_e32 v24, s36, v90
	v_add_co_u32_e32 v22, vcc, s20, v22
	v_ashrrev_i32_e32 v25, 31, v24
	v_addc_co_u32_e32 v23, vcc, v94, v23, vcc
	;; [unrolled: 5-line block ×5, first 2 shown]
	v_lshlrev_b64 v[30:31], 2, v[30:31]
	v_add_co_u32_e32 v30, vcc, s20, v30
	v_addc_co_u32_e32 v31, vcc, v94, v31, vcc
	global_load_dword v34, v[20:21], off
	global_load_dword v35, v[22:23], off
	;; [unrolled: 1-line block ×3, first 2 shown]
	s_nop 0
	global_load_dword v26, v[26:27], off
	s_nop 0
	global_load_dword v27, v[28:29], off
	;; [unrolled: 2-line block ×3, first 2 shown]
	v_add_u32_e32 v20, s40, v90
	v_ashrrev_i32_e32 v21, 31, v20
	v_add_u32_e32 v22, s41, v90
	v_lshlrev_b64 v[20:21], 2, v[20:21]
	v_ashrrev_i32_e32 v23, 31, v22
	v_add_co_u32_e32 v20, vcc, s20, v20
	v_add_u32_e32 v24, s42, v90
	v_lshlrev_b64 v[22:23], 2, v[22:23]
	v_addc_co_u32_e32 v21, vcc, v94, v21, vcc
	v_ashrrev_i32_e32 v25, 31, v24
	v_add_co_u32_e32 v22, vcc, s20, v22
	v_lshlrev_b64 v[24:25], 2, v[24:25]
	v_addc_co_u32_e32 v23, vcc, v94, v23, vcc
	global_load_dword v20, v[20:21], off
	s_nop 0
	global_load_dword v21, v[22:23], off
	v_add_u32_e32 v22, s43, v90
	v_add_co_u32_e32 v24, vcc, s20, v24
	v_ashrrev_i32_e32 v23, 31, v22
	v_addc_co_u32_e32 v25, vcc, v94, v25, vcc
	v_lshlrev_b64 v[22:23], 2, v[22:23]
	v_add_u32_e32 v60, s73, v90
	v_ashrrev_i32_e32 v61, 31, v60
	v_lshlrev_b64 v[60:61], 2, v[60:61]
	s_waitcnt vmcnt(9)
	ds_write_b32 v91, v32 offset:64
	s_waitcnt vmcnt(8)
	ds_write_b32 v91, v33 offset:328
	;; [unrolled: 2-line block ×8, first 2 shown]
	v_add_co_u32_e32 v26, vcc, s20, v22
	v_add_u32_e32 v22, s44, v90
	v_addc_co_u32_e32 v27, vcc, v94, v23, vcc
	v_ashrrev_i32_e32 v23, 31, v22
	v_lshlrev_b64 v[22:23], 2, v[22:23]
	v_add_co_u32_e32 v28, vcc, s20, v22
	v_add_u32_e32 v22, s45, v90
	v_addc_co_u32_e32 v29, vcc, v94, v23, vcc
	v_ashrrev_i32_e32 v23, 31, v22
	v_lshlrev_b64 v[22:23], 2, v[22:23]
	;; [unrolled: 5-line block ×6, first 2 shown]
	v_add_co_u32_e32 v38, vcc, s20, v22
	v_addc_co_u32_e32 v39, vcc, v94, v23, vcc
	global_load_dword v22, v[24:25], off
	global_load_dword v23, v[26:27], off
	s_nop 0
	global_load_dword v24, v[28:29], off
	global_load_dword v25, v[30:31], off
	;; [unrolled: 1-line block ×4, first 2 shown]
	s_nop 0
	global_load_dword v34, v[36:37], off
	global_load_dword v35, v[38:39], off
	v_add_u32_e32 v28, s50, v90
	v_ashrrev_i32_e32 v29, 31, v28
	v_lshlrev_b64 v[28:29], 2, v[28:29]
	v_add_u32_e32 v30, s51, v90
	v_add_co_u32_e32 v28, vcc, s20, v28
	v_ashrrev_i32_e32 v31, 31, v30
	v_addc_co_u32_e32 v29, vcc, v94, v29, vcc
	v_lshlrev_b64 v[30:31], 2, v[30:31]
	v_add_u32_e32 v32, s52, v90
	v_add_co_u32_e32 v30, vcc, s20, v30
	v_ashrrev_i32_e32 v33, 31, v32
	v_addc_co_u32_e32 v31, vcc, v94, v31, vcc
	;; [unrolled: 5-line block ×4, first 2 shown]
	v_lshlrev_b64 v[38:39], 2, v[38:39]
	v_add_co_u32_e32 v42, vcc, s20, v38
	v_add_u32_e32 v38, s55, v90
	v_addc_co_u32_e32 v43, vcc, v94, v39, vcc
	v_ashrrev_i32_e32 v39, 31, v38
	v_lshlrev_b64 v[38:39], 2, v[38:39]
	v_add_co_u32_e32 v44, vcc, s20, v38
	v_add_u32_e32 v38, s56, v90
	v_addc_co_u32_e32 v45, vcc, v94, v39, vcc
	v_ashrrev_i32_e32 v39, 31, v38
	;; [unrolled: 5-line block ×3, first 2 shown]
	v_lshlrev_b64 v[38:39], 2, v[38:39]
	v_add_co_u32_e32 v48, vcc, s20, v38
	v_addc_co_u32_e32 v49, vcc, v94, v39, vcc
	global_load_dword v38, v[28:29], off
	global_load_dword v39, v[30:31], off
	;; [unrolled: 1-line block ×4, first 2 shown]
	s_nop 0
	global_load_dword v42, v[42:43], off
	s_nop 0
	global_load_dword v43, v[44:45], off
	;; [unrolled: 2-line block ×3, first 2 shown]
	global_load_dword v45, v[48:49], off
	v_add_u32_e32 v28, s58, v90
	v_ashrrev_i32_e32 v29, 31, v28
	v_lshlrev_b64 v[28:29], 2, v[28:29]
	v_add_u32_e32 v30, s59, v90
	v_add_co_u32_e32 v28, vcc, s20, v28
	v_ashrrev_i32_e32 v31, 31, v30
	v_addc_co_u32_e32 v29, vcc, v94, v29, vcc
	v_lshlrev_b64 v[30:31], 2, v[30:31]
	v_add_u32_e32 v32, s60, v90
	v_add_co_u32_e32 v30, vcc, s20, v30
	v_ashrrev_i32_e32 v33, 31, v32
	v_addc_co_u32_e32 v31, vcc, v94, v31, vcc
	v_lshlrev_b64 v[32:33], 2, v[32:33]
	v_add_u32_e32 v36, s61, v90
	v_add_co_u32_e32 v32, vcc, s20, v32
	v_ashrrev_i32_e32 v37, 31, v36
	v_addc_co_u32_e32 v33, vcc, v94, v33, vcc
	v_lshlrev_b64 v[36:37], 2, v[36:37]
	v_add_u32_e32 v46, s62, v90
	v_add_co_u32_e32 v36, vcc, s20, v36
	v_ashrrev_i32_e32 v47, 31, v46
	v_addc_co_u32_e32 v37, vcc, v94, v37, vcc
	v_lshlrev_b64 v[46:47], 2, v[46:47]
	v_add_co_u32_e32 v48, vcc, s20, v46
	v_add_u32_e32 v46, s63, v90
	v_addc_co_u32_e32 v49, vcc, v94, v47, vcc
	v_ashrrev_i32_e32 v47, 31, v46
	v_lshlrev_b64 v[46:47], 2, v[46:47]
	v_add_co_u32_e32 v54, vcc, s20, v46
	v_add_u32_e32 v46, s64, v90
	v_addc_co_u32_e32 v55, vcc, v94, v47, vcc
	v_ashrrev_i32_e32 v47, 31, v46
	;; [unrolled: 5-line block ×3, first 2 shown]
	v_lshlrev_b64 v[46:47], 2, v[46:47]
	v_add_co_u32_e32 v58, vcc, s20, v46
	v_addc_co_u32_e32 v59, vcc, v94, v47, vcc
	global_load_dword v46, v[28:29], off
	global_load_dword v47, v[30:31], off
	;; [unrolled: 1-line block ×6, first 2 shown]
	s_nop 0
	global_load_dword v48, v[56:57], off
	global_load_dword v49, v[58:59], off
	v_add_u32_e32 v28, s66, v90
	v_ashrrev_i32_e32 v29, 31, v28
	v_lshlrev_b64 v[28:29], 2, v[28:29]
	v_add_u32_e32 v30, s67, v90
	v_add_co_u32_e32 v28, vcc, s20, v28
	v_ashrrev_i32_e32 v31, 31, v30
	v_addc_co_u32_e32 v29, vcc, v94, v29, vcc
	v_lshlrev_b64 v[30:31], 2, v[30:31]
	v_add_u32_e32 v32, s68, v90
	v_add_co_u32_e32 v30, vcc, s20, v30
	v_ashrrev_i32_e32 v33, 31, v32
	v_addc_co_u32_e32 v31, vcc, v94, v31, vcc
	;; [unrolled: 5-line block ×6, first 2 shown]
	v_lshlrev_b64 v[58:59], 2, v[58:59]
	v_add_co_u32_e32 v58, vcc, s20, v58
	v_addc_co_u32_e32 v59, vcc, v94, v59, vcc
	v_add_co_u32_e32 v60, vcc, s20, v60
	v_addc_co_u32_e32 v61, vcc, v94, v61, vcc
	global_load_dword v62, v[28:29], off
	global_load_dword v63, v[30:31], off
	;; [unrolled: 1-line block ×8, first 2 shown]
	v_add_u32_e32 v28, s74, v90
	v_ashrrev_i32_e32 v29, 31, v28
	v_lshlrev_b64 v[28:29], 2, v[28:29]
	v_add_u32_e32 v30, s75, v90
	v_add_co_u32_e32 v28, vcc, s20, v28
	v_ashrrev_i32_e32 v31, 31, v30
	v_addc_co_u32_e32 v29, vcc, v94, v29, vcc
	v_lshlrev_b64 v[30:31], 2, v[30:31]
	v_add_u32_e32 v32, s76, v90
	v_add_co_u32_e32 v30, vcc, s20, v30
	v_ashrrev_i32_e32 v33, 31, v32
	v_addc_co_u32_e32 v31, vcc, v94, v31, vcc
	;; [unrolled: 5-line block ×7, first 2 shown]
	v_lshlrev_b64 v[60:61], 2, v[60:61]
	v_add_co_u32_e32 v60, vcc, s20, v60
	v_addc_co_u32_e32 v61, vcc, v94, v61, vcc
	global_load_dword v70, v[28:29], off
	global_load_dword v71, v[30:31], off
	;; [unrolled: 1-line block ×8, first 2 shown]
	v_add_u32_e32 v28, s81, v90
	v_ashrrev_i32_e32 v29, 31, v28
	v_lshlrev_b64 v[28:29], 2, v[28:29]
	v_add_u32_e32 v30, s82, v90
	v_add_co_u32_e32 v28, vcc, s20, v28
	v_ashrrev_i32_e32 v31, 31, v30
	v_addc_co_u32_e32 v29, vcc, v94, v29, vcc
	v_lshlrev_b64 v[30:31], 2, v[30:31]
	v_add_u32_e32 v32, s83, v90
	v_add_co_u32_e32 v30, vcc, s20, v30
	v_ashrrev_i32_e32 v33, 31, v32
	v_addc_co_u32_e32 v31, vcc, v94, v31, vcc
	;; [unrolled: 5-line block ×7, first 2 shown]
	v_lshlrev_b64 v[60:61], 2, v[60:61]
	v_add_co_u32_e32 v60, vcc, s20, v60
	v_addc_co_u32_e32 v61, vcc, v94, v61, vcc
	global_load_dword v78, v[28:29], off
	global_load_dword v79, v[30:31], off
	;; [unrolled: 1-line block ×8, first 2 shown]
	v_add_u32_e32 v28, s89, v90
	v_ashrrev_i32_e32 v29, 31, v28
	v_lshlrev_b64 v[28:29], 2, v[28:29]
	v_add_u32_e32 v30, s90, v90
	v_add_co_u32_e32 v28, vcc, s20, v28
	v_ashrrev_i32_e32 v31, 31, v30
	v_addc_co_u32_e32 v29, vcc, v94, v29, vcc
	v_lshlrev_b64 v[30:31], 2, v[30:31]
	v_add_u32_e32 v32, s91, v90
	v_add_co_u32_e32 v30, vcc, s20, v30
	v_ashrrev_i32_e32 v33, 31, v32
	v_addc_co_u32_e32 v31, vcc, v94, v31, vcc
	;; [unrolled: 5-line block ×5, first 2 shown]
	v_lshlrev_b64 v[56:57], 2, v[56:57]
	v_add_co_u32_e32 v56, vcc, s20, v56
	v_addc_co_u32_e32 v57, vcc, v94, v57, vcc
	global_load_dword v98, v[28:29], off
	global_load_dword v99, v[30:31], off
	;; [unrolled: 1-line block ×6, first 2 shown]
	s_waitcnt vmcnt(55)
	ds_write_b32 v91, v20 offset:2176
	s_waitcnt vmcnt(54)
	ds_write_b32 v91, v21 offset:2440
	s_waitcnt vmcnt(53)
	ds_write_b32 v91, v22 offset:2704
	s_waitcnt vmcnt(52)
	ds_write_b32 v91, v23 offset:2968
	s_waitcnt vmcnt(51)
	ds_write_b32 v91, v24 offset:3232
	s_waitcnt vmcnt(50)
	ds_write_b32 v91, v25 offset:3496
	s_waitcnt vmcnt(49)
	ds_write_b32 v91, v26 offset:3760
	s_waitcnt vmcnt(48)
	ds_write_b32 v91, v27 offset:4024
	ds_read_b64 v[36:37], v92 offset:64
	ds_read_b64 v[32:33], v92 offset:96
	ds_read_b64 v[30:31], v92 offset:128
	ds_read_b64 v[28:29], v92 offset:160
	ds_read_b64 v[26:27], v92 offset:192
	ds_read_b64 v[24:25], v92 offset:224
	ds_read_b64 v[22:23], v92 offset:256
	ds_read_b64 v[20:21], v92 offset:288
	s_waitcnt vmcnt(47)
	ds_write_b32 v91, v34 offset:64
	s_waitcnt vmcnt(46)
	ds_write_b32 v91, v35 offset:328
	s_waitcnt vmcnt(45)
	ds_write_b32 v91, v38 offset:592
	s_waitcnt vmcnt(44)
	ds_write_b32 v91, v39 offset:856
	s_waitcnt vmcnt(43)
	ds_write_b32 v91, v40 offset:1120
	s_waitcnt vmcnt(42)
	ds_write_b32 v91, v41 offset:1384
	s_waitcnt vmcnt(41)
	ds_write_b32 v91, v42 offset:1648
	s_waitcnt vmcnt(40)
	ds_write_b32 v91, v43 offset:1912
	s_waitcnt vmcnt(39)
	ds_write_b32 v91, v44 offset:2176
	s_waitcnt vmcnt(38)
	ds_write_b32 v91, v45 offset:2440
	s_waitcnt vmcnt(37)
	ds_write_b32 v91, v46 offset:2704
	s_waitcnt vmcnt(36)
	ds_write_b32 v91, v47 offset:2968
	s_waitcnt vmcnt(35)
	ds_write_b32 v91, v50 offset:3232
	s_waitcnt vmcnt(34)
	ds_write_b32 v91, v51 offset:3496
	s_waitcnt vmcnt(33)
	ds_write_b32 v91, v52 offset:3760
	s_waitcnt vmcnt(32)
	ds_write_b32 v91, v53 offset:4024
	ds_read_b64 v[52:53], v92 offset:64
	ds_read_b64 v[50:51], v92 offset:96
	ds_read_b64 v[46:47], v92 offset:128
	ds_read_b64 v[44:45], v92 offset:160
	ds_read_b64 v[42:43], v92 offset:192
	ds_read_b64 v[40:41], v92 offset:224
	ds_read_b64 v[38:39], v92 offset:256
	ds_read_b64 v[34:35], v92 offset:288
	s_waitcnt vmcnt(31)
	ds_write_b32 v91, v48 offset:64
	s_waitcnt vmcnt(30)
	ds_write_b32 v91, v49 offset:328
	s_waitcnt vmcnt(29)
	ds_write_b32 v91, v62 offset:592
	s_waitcnt vmcnt(28)
	ds_write_b32 v91, v63 offset:856
	s_waitcnt vmcnt(27)
	ds_write_b32 v91, v64 offset:1120
	s_waitcnt vmcnt(26)
	ds_write_b32 v91, v65 offset:1384
	s_waitcnt vmcnt(25)
	ds_write_b32 v91, v66 offset:1648
	s_waitcnt vmcnt(24)
	ds_write_b32 v91, v67 offset:1912
	;; [unrolled: 40-line block ×3, first 2 shown]
	s_waitcnt vmcnt(7)
	ds_write_b32 v91, v84 offset:2176
	s_waitcnt vmcnt(6)
	ds_write_b32 v91, v85 offset:2440
	;; [unrolled: 2-line block ×8, first 2 shown]
	ds_read_b64 v[82:83], v92 offset:64
	ds_read_b64 v[80:81], v92 offset:96
	;; [unrolled: 1-line block ×8, first 2 shown]
	s_andn2_b64 vcc, exec, s[4:5]
	v_mov_b32_e32 v84, 0
	v_mov_b32_e32 v85, 0
	s_cbranch_vccnz .LBB145_24
; %bb.22:                               ;   in Loop: Header=BB145_21 Depth=1
	ds_read_b32 v98, v97
	v_mov_b32_e32 v85, 0
	v_mov_b32_e32 v84, 0
	s_waitcnt lgkmcnt(0)
	v_cmp_gt_i32_e32 vcc, 0, v98
	s_cbranch_vccnz .LBB145_24
; %bb.23:                               ;   in Loop: Header=BB145_21 Depth=1
	v_mul_lo_u32 v84, v98, s21
	v_add_u32_e32 v84, v93, v84
	v_ashrrev_i32_e32 v85, 31, v84
	v_lshlrev_b64 v[84:85], 2, v[84:85]
	v_mov_b32_e32 v98, s30
	v_add_co_u32_e32 v84, vcc, s27, v84
	v_addc_co_u32_e32 v85, vcc, v98, v85, vcc
	global_load_dwordx2 v[84:85], v[84:85], off
.LBB145_24:                             ;   in Loop: Header=BB145_21 Depth=1
	s_waitcnt vmcnt(0)
	v_and_b32_e32 v98, 0x7f800000, v84
	v_cmp_ne_u32_e32 vcc, s95, v98
                                        ; implicit-def: $vgpr98
	s_and_saveexec_b64 s[28:29], vcc
	s_xor_b64 s[28:29], exec, s[28:29]
; %bb.25:                               ;   in Loop: Header=BB145_21 Depth=1
	v_bfe_u32 v98, v84, 16, 1
	v_add3_u32 v98, v84, v98, s2
; %bb.26:                               ;   in Loop: Header=BB145_21 Depth=1
	s_andn2_saveexec_b64 s[28:29], s[28:29]
; %bb.27:                               ;   in Loop: Header=BB145_21 Depth=1
	v_or_b32_e32 v98, 0x10000, v84
	v_cmp_eq_u32_sdwa vcc, v84, v95 src0_sel:WORD_0 src1_sel:DWORD
	v_cndmask_b32_e32 v98, v98, v84, vcc
; %bb.28:                               ;   in Loop: Header=BB145_21 Depth=1
	s_or_b64 exec, exec, s[28:29]
	v_and_b32_e32 v84, 0x7f800000, v85
	v_cmp_ne_u32_e32 vcc, s95, v84
                                        ; implicit-def: $vgpr84
	s_and_saveexec_b64 s[28:29], vcc
	s_xor_b64 s[28:29], exec, s[28:29]
; %bb.29:                               ;   in Loop: Header=BB145_21 Depth=1
	v_bfe_u32 v84, v85, 16, 1
	v_add3_u32 v84, v85, v84, s2
                                        ; implicit-def: $vgpr85
; %bb.30:                               ;   in Loop: Header=BB145_21 Depth=1
	s_andn2_saveexec_b64 s[28:29], s[28:29]
; %bb.31:                               ;   in Loop: Header=BB145_21 Depth=1
	v_or_b32_e32 v84, 0x10000, v85
	v_cmp_eq_u32_sdwa vcc, v85, v95 src0_sel:WORD_0 src1_sel:DWORD
	v_cndmask_b32_e32 v84, v84, v85, vcc
; %bb.32:                               ;   in Loop: Header=BB145_21 Depth=1
	s_or_b64 exec, exec, s[28:29]
	v_perm_b32 v84, v84, v98, s3
	ds_write_b32 v91, v84 offset:64
	s_andn2_b64 vcc, exec, s[6:7]
	v_mov_b32_e32 v84, 0
	v_mov_b32_e32 v85, 0
	s_cbranch_vccnz .LBB145_35
; %bb.33:                               ;   in Loop: Header=BB145_21 Depth=1
	ds_read_b32 v98, v97 offset:4
	v_mov_b32_e32 v85, 0
	v_mov_b32_e32 v84, 0
	s_waitcnt lgkmcnt(0)
	v_cmp_gt_i32_e32 vcc, 0, v98
	s_cbranch_vccnz .LBB145_35
; %bb.34:                               ;   in Loop: Header=BB145_21 Depth=1
	v_mul_lo_u32 v84, v98, s21
	v_add_u32_e32 v84, s16, v84
	v_add_u32_e32 v84, v84, v93
	v_ashrrev_i32_e32 v85, 31, v84
	v_lshlrev_b64 v[84:85], 2, v[84:85]
	v_mov_b32_e32 v98, s30
	v_add_co_u32_e32 v84, vcc, s27, v84
	v_addc_co_u32_e32 v85, vcc, v98, v85, vcc
	global_load_dwordx2 v[84:85], v[84:85], off
.LBB145_35:                             ;   in Loop: Header=BB145_21 Depth=1
	s_waitcnt vmcnt(0)
	v_and_b32_e32 v98, 0x7f800000, v84
	v_cmp_ne_u32_e32 vcc, s95, v98
                                        ; implicit-def: $vgpr98
	s_and_saveexec_b64 s[28:29], vcc
	s_xor_b64 s[28:29], exec, s[28:29]
; %bb.36:                               ;   in Loop: Header=BB145_21 Depth=1
	v_bfe_u32 v98, v84, 16, 1
	v_add3_u32 v98, v84, v98, s2
; %bb.37:                               ;   in Loop: Header=BB145_21 Depth=1
	s_andn2_saveexec_b64 s[28:29], s[28:29]
; %bb.38:                               ;   in Loop: Header=BB145_21 Depth=1
	v_or_b32_e32 v98, 0x10000, v84
	v_cmp_eq_u32_sdwa vcc, v84, v95 src0_sel:WORD_0 src1_sel:DWORD
	v_cndmask_b32_e32 v98, v98, v84, vcc
; %bb.39:                               ;   in Loop: Header=BB145_21 Depth=1
	s_or_b64 exec, exec, s[28:29]
	v_and_b32_e32 v84, 0x7f800000, v85
	v_cmp_ne_u32_e32 vcc, s95, v84
                                        ; implicit-def: $vgpr84
	s_and_saveexec_b64 s[28:29], vcc
	s_xor_b64 s[28:29], exec, s[28:29]
; %bb.40:                               ;   in Loop: Header=BB145_21 Depth=1
	v_bfe_u32 v84, v85, 16, 1
	v_add3_u32 v84, v85, v84, s2
                                        ; implicit-def: $vgpr85
; %bb.41:                               ;   in Loop: Header=BB145_21 Depth=1
	s_andn2_saveexec_b64 s[28:29], s[28:29]
; %bb.42:                               ;   in Loop: Header=BB145_21 Depth=1
	v_or_b32_e32 v84, 0x10000, v85
	v_cmp_eq_u32_sdwa vcc, v85, v95 src0_sel:WORD_0 src1_sel:DWORD
	v_cndmask_b32_e32 v84, v84, v85, vcc
; %bb.43:                               ;   in Loop: Header=BB145_21 Depth=1
	s_or_b64 exec, exec, s[28:29]
	v_perm_b32 v84, v84, v98, s3
	ds_write_b32 v91, v84 offset:328
	s_andn2_b64 vcc, exec, s[10:11]
	v_mov_b32_e32 v84, 0
	v_mov_b32_e32 v85, 0
	s_cbranch_vccnz .LBB145_46
; %bb.44:                               ;   in Loop: Header=BB145_21 Depth=1
	ds_read_b32 v98, v97 offset:8
	v_mov_b32_e32 v85, 0
	v_mov_b32_e32 v84, 0
	s_waitcnt lgkmcnt(0)
	v_cmp_gt_i32_e32 vcc, 0, v98
	s_cbranch_vccnz .LBB145_46
; %bb.45:                               ;   in Loop: Header=BB145_21 Depth=1
	v_mul_lo_u32 v84, v98, s21
	v_add_u32_e32 v84, s31, v84
	v_add_u32_e32 v84, v84, v93
	v_ashrrev_i32_e32 v85, 31, v84
	v_lshlrev_b64 v[84:85], 2, v[84:85]
	v_mov_b32_e32 v98, s30
	v_add_co_u32_e32 v84, vcc, s27, v84
	v_addc_co_u32_e32 v85, vcc, v98, v85, vcc
	global_load_dwordx2 v[84:85], v[84:85], off
.LBB145_46:                             ;   in Loop: Header=BB145_21 Depth=1
	;; [unrolled: 58-line block ×3, first 2 shown]
	s_waitcnt vmcnt(0)
	v_and_b32_e32 v98, 0x7f800000, v84
	v_cmp_ne_u32_e32 vcc, s95, v98
                                        ; implicit-def: $vgpr98
	s_and_saveexec_b64 s[28:29], vcc
	s_xor_b64 s[28:29], exec, s[28:29]
; %bb.58:                               ;   in Loop: Header=BB145_21 Depth=1
	v_bfe_u32 v98, v84, 16, 1
	v_add3_u32 v98, v84, v98, s2
; %bb.59:                               ;   in Loop: Header=BB145_21 Depth=1
	s_andn2_saveexec_b64 s[28:29], s[28:29]
; %bb.60:                               ;   in Loop: Header=BB145_21 Depth=1
	v_or_b32_e32 v98, 0x10000, v84
	v_cmp_eq_u32_sdwa vcc, v84, v95 src0_sel:WORD_0 src1_sel:DWORD
	v_cndmask_b32_e32 v98, v98, v84, vcc
; %bb.61:                               ;   in Loop: Header=BB145_21 Depth=1
	s_or_b64 exec, exec, s[28:29]
	v_and_b32_e32 v84, 0x7f800000, v85
	v_cmp_ne_u32_e32 vcc, s95, v84
                                        ; implicit-def: $vgpr84
	s_and_saveexec_b64 s[28:29], vcc
	s_xor_b64 s[28:29], exec, s[28:29]
; %bb.62:                               ;   in Loop: Header=BB145_21 Depth=1
	v_bfe_u32 v84, v85, 16, 1
	v_add3_u32 v84, v85, v84, s2
                                        ; implicit-def: $vgpr85
; %bb.63:                               ;   in Loop: Header=BB145_21 Depth=1
	s_andn2_saveexec_b64 s[28:29], s[28:29]
	s_cbranch_execz .LBB145_20
; %bb.64:                               ;   in Loop: Header=BB145_21 Depth=1
	v_or_b32_e32 v84, 0x10000, v85
	v_cmp_eq_u32_sdwa vcc, v85, v95 src0_sel:WORD_0 src1_sel:DWORD
	v_cndmask_b32_e32 v84, v84, v85, vcc
	s_branch .LBB145_20
.LBB145_65:
	s_or_b64 exec, exec, s[14:15]
	v_readlane_b32 s36, v104, 0
	v_readlane_b32 s37, v104, 1
.LBB145_66:
	s_or_b64 exec, exec, s[0:1]
	v_mul_u32_u24_e32 v18, 0x808, v89
	s_movk_i32 s0, 0x100
	v_lshlrev_b32_e32 v19, 2, v88
	v_add3_u32 v18, s0, v18, v19
	v_and_b32_e32 v20, 0x3f0, v16
	v_add_u32_e32 v21, v18, v20
	s_barrier
	v_add_u32_e32 v19, 64, v18
	ds_write2_b32 v21, v8, v9 offset0:16 offset1:17
	v_or_b32_e32 v9, 12, v16
	v_add_u32_e32 v8, v19, v20
	v_and_b32_e32 v9, 0x3fc, v9
	ds_write_b32 v8, v10 offset:8
	v_add_u32_e32 v10, v18, v9
	ds_write_b32 v10, v11 offset:64
	ds_write2_b32 v8, v4, v5 offset0:16 offset1:17
	ds_write_b32 v8, v6 offset:72
	v_add_u32_e32 v4, v19, v9
	v_cmp_gt_u32_e32 vcc, 4, v17
	ds_write_b32 v4, v7 offset:64
	ds_write2_b32 v8, v0, v1 offset0:32 offset1:33
	ds_write_b32 v8, v2 offset:136
	ds_write_b32 v4, v3 offset:128
	ds_write2_b32 v8, v12, v13 offset0:48 offset1:49
	ds_write_b32 v8, v14 offset:200
	ds_write_b32 v4, v15 offset:192
	s_waitcnt lgkmcnt(0)
	s_barrier
	s_and_saveexec_b64 s[0:1], vcc
	s_cbranch_execz .LBB145_69
; %bb.67:
	v_add_u32_e32 v0, v86, v87
	ds_read_b32 v0, v0
	v_or_b32_e32 v1, s9, v17
	v_cmp_gt_i32_e64 s[0:1], s13, v1
	s_waitcnt lgkmcnt(0)
	v_cmp_lt_i32_e32 vcc, -1, v0
	s_and_b64 s[0:1], vcc, s[0:1]
	s_and_b64 exec, exec, s[0:1]
	s_cbranch_execz .LBB145_69
; %bb.68:
	s_mul_hi_i32 s1, s26, s8
	s_mul_i32 s0, s26, s8
	s_lshl_b64 s[0:1], s[0:1], 2
	s_add_u32 s4, s36, s0
	v_mul_u32_u24_e32 v1, 0x808, v17
	s_movk_i32 s0, 0x100
	v_lshlrev_b32_e32 v2, 2, v16
	v_add3_u32 v1, s0, v1, v2
	ds_read2_b32 v[2:3], v1 offset0:16 offset1:80
	ds_read2_b32 v[4:5], v1 offset0:144 offset1:208
	v_add_u32_e32 v1, 64, v1
	ds_read2st64_b32 v[6:7], v1 offset0:4 offset1:5
	s_mul_hi_i32 s3, s9, s17
	s_waitcnt lgkmcnt(2)
	v_add_f32_e32 v2, 0, v2
	v_add_f32_e32 v8, v2, v3
	ds_read2st64_b32 v[2:3], v1 offset0:6 offset1:7
	s_waitcnt lgkmcnt(2)
	v_add_f32_e32 v1, v8, v4
	v_add_f32_e32 v1, v1, v5
	s_waitcnt lgkmcnt(1)
	v_add_f32_e32 v1, v1, v6
	v_add_f32_e32 v1, v1, v7
	s_mul_i32 s2, s9, s17
	s_waitcnt lgkmcnt(0)
	v_add_f32_e32 v1, v1, v2
	s_addc_u32 s5, s37, s1
	s_lshl_b64 s[0:1], s[2:3], 2
	v_add_f32_e32 v2, v1, v3
	v_mul_lo_u32 v0, v0, s22
	v_mul_lo_u32 v1, v17, s17
	v_add_u32_e32 v3, s23, v16
	s_add_u32 s0, s4, s0
	v_add3_u32 v0, v3, v1, v0
	v_mov_b32_e32 v1, 0
	s_addc_u32 s1, s5, s1
	v_lshlrev_b64 v[0:1], 2, v[0:1]
	v_mov_b32_e32 v3, s1
	v_add_co_u32_e32 v0, vcc, s0, v0
	v_addc_co_u32_e32 v1, vcc, v3, v1, vcc
	global_store_dword v[0:1], v2, off
.LBB145_69:
	s_endpgm
	.section	.rodata,"a",@progbits
	.p2align	6, 0x0
	.amdhsa_kernel _ZL9mul_mat_fI15__hip_bfloat162Li64ELi4ELi8ELb1EEvPKT_PKfPKiPfiiiiiiiiiiiiiiii
		.amdhsa_group_segment_fixed_size 256
		.amdhsa_private_segment_fixed_size 0
		.amdhsa_kernarg_size 352
		.amdhsa_user_sgpr_count 6
		.amdhsa_user_sgpr_private_segment_buffer 1
		.amdhsa_user_sgpr_dispatch_ptr 0
		.amdhsa_user_sgpr_queue_ptr 0
		.amdhsa_user_sgpr_kernarg_segment_ptr 1
		.amdhsa_user_sgpr_dispatch_id 0
		.amdhsa_user_sgpr_flat_scratch_init 0
		.amdhsa_user_sgpr_kernarg_preload_length 0
		.amdhsa_user_sgpr_kernarg_preload_offset 0
		.amdhsa_user_sgpr_private_segment_size 0
		.amdhsa_uses_dynamic_stack 0
		.amdhsa_system_sgpr_private_segment_wavefront_offset 0
		.amdhsa_system_sgpr_workgroup_id_x 1
		.amdhsa_system_sgpr_workgroup_id_y 1
		.amdhsa_system_sgpr_workgroup_id_z 1
		.amdhsa_system_sgpr_workgroup_info 0
		.amdhsa_system_vgpr_workitem_id 2
		.amdhsa_next_free_vgpr 105
		.amdhsa_next_free_sgpr 96
		.amdhsa_accum_offset 108
		.amdhsa_reserve_vcc 1
		.amdhsa_reserve_flat_scratch 0
		.amdhsa_float_round_mode_32 0
		.amdhsa_float_round_mode_16_64 0
		.amdhsa_float_denorm_mode_32 3
		.amdhsa_float_denorm_mode_16_64 3
		.amdhsa_dx10_clamp 1
		.amdhsa_ieee_mode 1
		.amdhsa_fp16_overflow 0
		.amdhsa_tg_split 0
		.amdhsa_exception_fp_ieee_invalid_op 0
		.amdhsa_exception_fp_denorm_src 0
		.amdhsa_exception_fp_ieee_div_zero 0
		.amdhsa_exception_fp_ieee_overflow 0
		.amdhsa_exception_fp_ieee_underflow 0
		.amdhsa_exception_fp_ieee_inexact 0
		.amdhsa_exception_int_div_zero 0
	.end_amdhsa_kernel
	.section	.text._ZL9mul_mat_fI15__hip_bfloat162Li64ELi4ELi8ELb1EEvPKT_PKfPKiPfiiiiiiiiiiiiiiii,"axG",@progbits,_ZL9mul_mat_fI15__hip_bfloat162Li64ELi4ELi8ELb1EEvPKT_PKfPKiPfiiiiiiiiiiiiiiii,comdat
.Lfunc_end145:
	.size	_ZL9mul_mat_fI15__hip_bfloat162Li64ELi4ELi8ELb1EEvPKT_PKfPKiPfiiiiiiiiiiiiiiii, .Lfunc_end145-_ZL9mul_mat_fI15__hip_bfloat162Li64ELi4ELi8ELb1EEvPKT_PKfPKiPfiiiiiiiiiiiiiiii
                                        ; -- End function
	.section	.AMDGPU.csdata,"",@progbits
; Kernel info:
; codeLenInByte = 6740
; NumSgprs: 100
; NumVgprs: 105
; NumAgprs: 0
; TotalNumVgprs: 105
; ScratchSize: 0
; MemoryBound: 0
; FloatMode: 240
; IeeeMode: 1
; LDSByteSize: 256 bytes/workgroup (compile time only)
; SGPRBlocks: 12
; VGPRBlocks: 13
; NumSGPRsForWavesPerEU: 100
; NumVGPRsForWavesPerEU: 105
; AccumOffset: 108
; Occupancy: 4
; WaveLimiterHint : 0
; COMPUTE_PGM_RSRC2:SCRATCH_EN: 0
; COMPUTE_PGM_RSRC2:USER_SGPR: 6
; COMPUTE_PGM_RSRC2:TRAP_HANDLER: 0
; COMPUTE_PGM_RSRC2:TGID_X_EN: 1
; COMPUTE_PGM_RSRC2:TGID_Y_EN: 1
; COMPUTE_PGM_RSRC2:TGID_Z_EN: 1
; COMPUTE_PGM_RSRC2:TIDIG_COMP_CNT: 2
; COMPUTE_PGM_RSRC3_GFX90A:ACCUM_OFFSET: 26
; COMPUTE_PGM_RSRC3_GFX90A:TG_SPLIT: 0
	.section	.text._ZL9mul_mat_fI15__hip_bfloat162Li64ELi4ELi8ELb0EEvPKT_PKfPKiPfiiiiiiiiiiiiiiii,"axG",@progbits,_ZL9mul_mat_fI15__hip_bfloat162Li64ELi4ELi8ELb0EEvPKT_PKfPKiPfiiiiiiiiiiiiiiii,comdat
	.globl	_ZL9mul_mat_fI15__hip_bfloat162Li64ELi4ELi8ELb0EEvPKT_PKfPKiPfiiiiiiiiiiiiiiii ; -- Begin function _ZL9mul_mat_fI15__hip_bfloat162Li64ELi4ELi8ELb0EEvPKT_PKfPKiPfiiiiiiiiiiiiiiii
	.p2align	8
	.type	_ZL9mul_mat_fI15__hip_bfloat162Li64ELi4ELi8ELb0EEvPKT_PKfPKiPfiiiiiiiiiiiiiiii,@function
_ZL9mul_mat_fI15__hip_bfloat162Li64ELi4ELi8ELb0EEvPKT_PKfPKiPfiiiiiiiiiiiiiiii: ; @_ZL9mul_mat_fI15__hip_bfloat162Li64ELi4ELi8ELb0EEvPKT_PKfPKiPfiiiiiiiiiiiiiiii
; %bb.0:
	s_load_dwordx8 s[12:19], s[4:5], 0x40
	s_load_dword s9, s[4:5], 0x20
	s_load_dwordx4 s[0:3], s[4:5], 0x2c
	v_bfe_u32 v86, v0, 10, 10
	v_lshlrev_b32_e32 v89, 6, v86
	v_and_b32_e32 v87, 0x3ff, v0
	s_waitcnt lgkmcnt(0)
	s_abs_i32 s27, s12
	s_abs_i32 s26, s16
	v_cvt_f32_u32_e32 v1, s27
	v_cvt_f32_u32_e32 v2, s26
	v_add_u32_e32 v91, v89, v87
	s_mov_b32 s22, 0
	v_rcp_iflag_f32_e32 v1, v1
	v_rcp_iflag_f32_e32 v2, v2
	s_ashr_i32 s28, s8, 31
	v_cmp_le_i32_e32 vcc, s9, v91
	v_mul_f32_e32 v1, 0x4f7ffffe, v1
	v_mul_f32_e32 v2, 0x4f7ffffe, v2
	v_cvt_u32_f32_e32 v1, v1
	v_cvt_u32_f32_e32 v2, v2
	v_and_b32_e32 v90, 15, v87
	v_readfirstlane_b32 s21, v1
	v_readfirstlane_b32 s20, v2
	s_and_saveexec_b64 s[10:11], vcc
	s_xor_b64 s[10:11], exec, s[10:11]
; %bb.1:
	v_and_b32_e32 v90, 15, v87
                                        ; implicit-def: $vgpr91
; %bb.2:
	s_or_saveexec_b64 s[24:25], s[10:11]
	s_load_dwordx2 s[10:11], s[4:5], 0x18
	s_lshl_b32 s3, s6, 6
	v_mov_b32_e32 v7, s22
	v_lshlrev_b32_e32 v88, 2, v87
	v_mov_b32_e32 v6, s22
	v_mov_b32_e32 v5, s22
	;; [unrolled: 1-line block ×15, first 2 shown]
	s_xor_b64 exec, exec, s[24:25]
	s_cbranch_execz .LBB146_38
; %bb.3:
	s_sub_i32 s6, 0, s27
	s_sub_i32 s22, 0, s26
	s_mul_i32 s6, s6, s21
	s_mul_i32 s22, s22, s20
	s_mul_hi_u32 s6, s21, s6
	s_mul_hi_u32 s22, s20, s22
	s_abs_i32 s29, s7
	s_add_i32 s6, s21, s6
	s_add_i32 s31, s20, s22
	s_load_dwordx4 s[20:23], s[4:5], 0x0
	s_mul_hi_u32 s4, s29, s6
	s_ashr_i32 s6, s7, 31
	s_ashr_i32 s12, s12, 31
	s_xor_b32 s6, s6, s12
	s_mul_i32 s12, s4, s27
	s_abs_i32 s30, s8
	s_sub_i32 s12, s29, s12
	s_mul_hi_u32 s5, s30, s31
	s_ashr_i32 s16, s16, 31
	s_add_i32 s29, s4, 1
	s_sub_i32 s31, s12, s27
	s_cmp_ge_u32 s12, s27
	s_cselect_b32 s4, s29, s4
	s_cselect_b32 s12, s31, s12
	s_add_i32 s29, s4, 1
	s_cmp_ge_u32 s12, s27
	s_cselect_b32 s4, s29, s4
	s_mul_i32 s12, s5, s26
	s_xor_b32 s4, s4, s6
	s_sub_i32 s12, s30, s12
	s_sub_i32 s6, s4, s6
	s_xor_b32 s4, s28, s16
	s_add_i32 s16, s5, 1
	s_sub_i32 s27, s12, s26
	s_cmp_ge_u32 s12, s26
	s_cselect_b32 s5, s16, s5
	s_cselect_b32 s12, s27, s12
	s_add_i32 s16, s5, 1
	s_cmp_ge_u32 s12, s26
	s_cselect_b32 s5, s16, s5
	s_xor_b32 s5, s5, s4
	s_sub_i32 s4, s5, s4
	s_mul_hi_i32 s5, s4, s17
	s_mul_i32 s4, s4, s17
	s_mul_i32 s12, s6, s13
	s_ashr_i32 s13, s12, 31
	s_lshl_b64 s[26:27], s[4:5], 2
	s_mul_i32 s16, s3, s0
	s_waitcnt lgkmcnt(0)
	s_add_u32 s6, s20, s26
	s_addc_u32 s29, s21, s27
	s_ashr_i32 s17, s16, 31
	s_lshl_b64 s[16:17], s[16:17], 2
	s_lshl_b64 s[12:13], s[12:13], 2
	s_add_u32 s30, s12, s16
	s_addc_u32 s31, s13, s17
	s_mul_i32 s28, s7, s14
	s_add_u32 s6, s30, s6
	s_mul_hi_i32 s5, s18, s8
	s_mul_i32 s4, s18, s8
	s_addc_u32 s76, s31, s29
	s_ashr_i32 s29, s28, 31
	s_lshl_b64 s[16:17], s[4:5], 2
	s_lshl_b64 s[4:5], s[28:29], 2
	s_add_u32 s22, s22, s4
	s_addc_u32 s23, s23, s5
	s_add_u32 s14, s22, s16
	s_movk_i32 s4, 0x1080
	s_addc_u32 s18, s23, s17
	v_mad_u32_u24 v0, v86, s4, 0
	s_ashr_i32 s5, s0, 31
	s_mov_b32 s4, s0
	v_lshrrev_b32_e32 v2, 1, v87
	s_ashr_i32 s13, s1, 31
	s_lshl_b64 s[4:5], s[4:5], 2
	v_mul_u32_u24_e32 v1, 0x108, v90
	v_and_b32_e32 v2, 0x1f8, v2
	s_add_u32 s26, s30, s26
	v_add_u32_e32 v92, v0, v88
	v_add3_u32 v93, v0, v1, v2
	v_lshlrev_b32_e32 v0, 8, v86
	s_addc_u32 s27, s31, s27
	v_mov_b32_e32 v1, s27
	v_add_co_u32_e32 v0, vcc, s26, v0
	v_addc_co_u32_e32 v1, vcc, 0, v1, vcc
	v_add_co_u32_e32 v0, vcc, v0, v88
	v_addc_co_u32_e32 v1, vcc, 0, v1, vcc
	v_mov_b32_e32 v2, s21
	v_add_co_u32_e32 v16, vcc, s20, v0
	v_addc_co_u32_e32 v17, vcc, v2, v1, vcc
	v_lshlrev_b32_e32 v0, 9, v86
	v_mov_b32_e32 v1, s17
	v_add_co_u32_e32 v0, vcc, s16, v0
	v_addc_co_u32_e32 v1, vcc, 0, v1, vcc
	v_lshlrev_b32_e32 v2, 3, v87
	v_add_co_u32_e32 v0, vcc, v0, v2
	v_addc_co_u32_e32 v1, vcc, 0, v1, vcc
	s_mov_b32 s12, s1
	v_mov_b32_e32 v2, s23
	v_add_co_u32_e32 v18, vcc, s22, v0
	v_mov_b32_e32 v95, 0
	s_lshl_b64 s[12:13], s[12:13], 3
	v_addc_co_u32_e32 v19, vcc, v2, v1, vcc
	s_mul_i32 s20, s0, 63
	s_lshl_b32 s21, s1, 1
	s_mul_i32 s22, s1, 3
	s_lshl_b32 s23, s0, 1
	;; [unrolled: 2-line block ×3, first 2 shown]
	s_mul_i32 s28, s0, 5
	s_mul_i32 s29, s0, 6
	;; [unrolled: 1-line block ×3, first 2 shown]
	s_lshl_b32 s31, s0, 3
	s_mul_i32 s33, s0, 9
	s_mul_i32 s34, s0, 10
	;; [unrolled: 1-line block ×7, first 2 shown]
	s_lshl_b32 s40, s0, 4
	s_mul_i32 s41, s0, 17
	s_mul_i32 s42, s0, 18
	;; [unrolled: 1-line block ×15, first 2 shown]
	s_lshl_b32 s56, s0, 5
	s_mul_i32 s57, s0, 33
	s_mul_i32 s58, s0, 34
	;; [unrolled: 1-line block ×19, first 2 shown]
	v_mov_b32_e32 v94, s76
	s_mul_i32 s76, s0, 52
	v_mov_b32_e32 v96, s5
	v_mov_b32_e32 v12, 0
	;; [unrolled: 1-line block ×17, first 2 shown]
	s_mul_i32 s5, s0, 53
	s_mul_i32 s77, s0, 54
	;; [unrolled: 1-line block ×10, first 2 shown]
	s_mov_b32 s86, 0x7f800000
	s_movk_i32 s87, 0x7fff
	s_mov_b32 s88, 0x7060302
	s_mov_b64 s[0:1], 0
	s_branch .LBB146_5
.LBB146_4:                              ;   in Loop: Header=BB146_5 Depth=1
	s_or_b64 exec, exec, s[16:17]
	v_perm_b32 v84, v98, v97, s88
	v_add_u32_e32 v85, 0x200, v92
	ds_write2_b32 v85, v84, v95 offset0:70 offset1:136
	v_add_u32_e32 v84, 0x400, v92
	ds_write2_b32 v84, v95, v95 offset0:74 offset1:140
	v_add_u32_e32 v84, 0x600, v92
	ds_write2_b32 v84, v95, v95 offset0:78 offset1:144
	v_add_u32_e32 v84, 0x800, v92
	ds_write2_b32 v84, v95, v95 offset0:82 offset1:148
	v_add_u32_e32 v84, 0xa00, v92
	ds_write2_b32 v84, v95, v95 offset0:86 offset1:152
	v_add_u32_e32 v84, 0xc00, v92
	ds_write2_b32 v84, v95, v95 offset0:90 offset1:156
	ds_write_b32 v92, v95 offset:3960
	ds_read2_b64 v[98:101], v93 offset1:4
	s_waitcnt lgkmcnt(0)
	v_mfma_f32_16x16x16bf16_1k v[4:7], v[36:37], v[98:99], v[4:7]
	v_add_co_u32_e32 v16, vcc, 0x800, v16
	v_addc_co_u32_e32 v17, vcc, 0, v17, vcc
	v_add_co_u32_e32 v18, vcc, 0x1000, v18
	v_add_u32_e32 v91, 0x200, v91
	v_mfma_f32_16x16x16bf16_1k v[0:3], v[54:55], v[98:99], v[0:3]
	v_addc_co_u32_e32 v19, vcc, 0, v19, vcc
	v_cmp_le_i32_e32 vcc, s9, v91
	s_or_b64 s[0:1], vcc, s[0:1]
	v_mfma_f32_16x16x16bf16_1k v[8:11], v[68:69], v[98:99], v[8:11]
	v_mfma_f32_16x16x16bf16_1k v[12:15], v[82:83], v[98:99], v[12:15]
	;; [unrolled: 1-line block ×4, first 2 shown]
	ds_read2_b64 v[52:55], v93 offset0:8 offset1:12
	v_mfma_f32_16x16x16bf16_1k v[8:11], v[66:67], v[100:101], v[8:11]
	v_mfma_f32_16x16x16bf16_1k v[12:15], v[80:81], v[100:101], v[12:15]
	s_waitcnt lgkmcnt(0)
	v_mfma_f32_16x16x16bf16_1k v[4:7], v[30:31], v[52:53], v[4:7]
	v_mfma_f32_16x16x16bf16_1k v[0:3], v[50:51], v[52:53], v[0:3]
	;; [unrolled: 1-line block ×5, first 2 shown]
	ds_read2_b64 v[28:31], v93 offset0:16 offset1:20
	v_mfma_f32_16x16x16bf16_1k v[0:3], v[48:49], v[54:55], v[0:3]
	v_mfma_f32_16x16x16bf16_1k v[8:11], v[62:63], v[54:55], v[8:11]
	;; [unrolled: 1-line block ×3, first 2 shown]
	s_waitcnt lgkmcnt(0)
	v_mfma_f32_16x16x16bf16_1k v[4:7], v[26:27], v[28:29], v[4:7]
	v_mfma_f32_16x16x16bf16_1k v[0:3], v[44:45], v[28:29], v[0:3]
	v_mfma_f32_16x16x16bf16_1k v[8:11], v[60:61], v[28:29], v[8:11]
	v_mfma_f32_16x16x16bf16_1k v[12:15], v[74:75], v[28:29], v[12:15]
	v_mfma_f32_16x16x16bf16_1k v[4:7], v[24:25], v[30:31], v[4:7]
	ds_read2_b64 v[24:27], v93 offset0:24 offset1:28
	v_mfma_f32_16x16x16bf16_1k v[0:3], v[42:43], v[30:31], v[0:3]
	v_mfma_f32_16x16x16bf16_1k v[8:11], v[58:59], v[30:31], v[8:11]
	;; [unrolled: 1-line block ×3, first 2 shown]
	s_waitcnt lgkmcnt(0)
	v_mfma_f32_16x16x16bf16_1k v[4:7], v[22:23], v[24:25], v[4:7]
	v_mfma_f32_16x16x16bf16_1k v[0:3], v[40:41], v[24:25], v[0:3]
	;; [unrolled: 1-line block ×8, first 2 shown]
	s_andn2_b64 exec, exec, s[0:1]
	s_cbranch_execz .LBB146_37
.LBB146_5:                              ; =>This Inner Loop Header: Depth=1
	v_add_co_u32_e32 v20, vcc, s4, v16
	v_addc_co_u32_e32 v21, vcc, v17, v96, vcc
	global_load_dword v34, v[16:17], off
	global_load_dword v35, v[20:21], off
	v_add_u32_e32 v20, s23, v91
	v_ashrrev_i32_e32 v21, 31, v20
	v_lshlrev_b64 v[20:21], 2, v[20:21]
	v_add_u32_e32 v22, s26, v91
	v_add_co_u32_e32 v20, vcc, s6, v20
	v_ashrrev_i32_e32 v23, 31, v22
	v_addc_co_u32_e32 v21, vcc, v94, v21, vcc
	v_lshlrev_b64 v[22:23], 2, v[22:23]
	v_add_u32_e32 v24, s27, v91
	v_add_co_u32_e32 v22, vcc, s6, v22
	v_ashrrev_i32_e32 v25, 31, v24
	v_addc_co_u32_e32 v23, vcc, v94, v23, vcc
	;; [unrolled: 5-line block ×6, first 2 shown]
	v_lshlrev_b64 v[32:33], 2, v[32:33]
	v_add_co_u32_e32 v32, vcc, s6, v32
	v_addc_co_u32_e32 v33, vcc, v94, v33, vcc
	global_load_dword v36, v[20:21], off
	global_load_dword v37, v[22:23], off
	s_nop 0
	global_load_dword v24, v[24:25], off
	s_nop 0
	;; [unrolled: 2-line block ×3, first 2 shown]
	global_load_dword v26, v[28:29], off
	global_load_dword v27, v[30:31], off
	s_nop 0
	global_load_dword v28, v[32:33], off
	v_add_u32_e32 v20, s33, v91
	v_ashrrev_i32_e32 v21, 31, v20
	v_lshlrev_b64 v[20:21], 2, v[20:21]
	v_add_u32_e32 v22, s34, v91
	v_add_co_u32_e32 v20, vcc, s6, v20
	v_ashrrev_i32_e32 v23, 31, v22
	v_addc_co_u32_e32 v21, vcc, v94, v21, vcc
	v_lshlrev_b64 v[22:23], 2, v[22:23]
	global_load_dword v20, v[20:21], off
	v_add_co_u32_e32 v22, vcc, s6, v22
	v_addc_co_u32_e32 v23, vcc, v94, v23, vcc
	v_add_u32_e32 v30, s38, v91
	v_ashrrev_i32_e32 v31, 31, v30
	v_lshlrev_b64 v[30:31], 2, v[30:31]
	v_add_u32_e32 v32, s39, v91
	v_ashrrev_i32_e32 v33, 31, v32
	v_lshlrev_b64 v[32:33], 2, v[32:33]
	;; [unrolled: 3-line block ×6, first 2 shown]
	s_waitcnt vmcnt(9)
	ds_write_b32 v92, v34
	s_waitcnt vmcnt(8)
	ds_write_b32 v92, v35 offset:264
	s_waitcnt vmcnt(7)
	ds_write_b32 v92, v36 offset:528
	;; [unrolled: 2-line block ×8, first 2 shown]
	v_add_u32_e32 v24, s35, v91
	v_ashrrev_i32_e32 v25, 31, v24
	v_lshlrev_b64 v[24:25], 2, v[24:25]
	v_add_u32_e32 v26, s36, v91
	v_add_co_u32_e32 v24, vcc, s6, v24
	v_ashrrev_i32_e32 v27, 31, v26
	v_addc_co_u32_e32 v25, vcc, v94, v25, vcc
	v_lshlrev_b64 v[26:27], 2, v[26:27]
	v_add_u32_e32 v28, s37, v91
	v_add_co_u32_e32 v26, vcc, s6, v26
	v_ashrrev_i32_e32 v29, 31, v28
	v_addc_co_u32_e32 v27, vcc, v94, v27, vcc
	v_lshlrev_b64 v[28:29], 2, v[28:29]
	v_add_co_u32_e32 v28, vcc, s6, v28
	v_addc_co_u32_e32 v29, vcc, v94, v29, vcc
	v_add_co_u32_e32 v30, vcc, s6, v30
	v_addc_co_u32_e32 v31, vcc, v94, v31, vcc
	v_add_u32_e32 v34, s40, v91
	v_add_co_u32_e32 v32, vcc, s6, v32
	v_ashrrev_i32_e32 v35, 31, v34
	v_addc_co_u32_e32 v33, vcc, v94, v33, vcc
	v_lshlrev_b64 v[34:35], 2, v[34:35]
	v_add_u32_e32 v36, s41, v91
	v_add_co_u32_e32 v34, vcc, s6, v34
	v_ashrrev_i32_e32 v37, 31, v36
	v_addc_co_u32_e32 v35, vcc, v94, v35, vcc
	v_lshlrev_b64 v[36:37], 2, v[36:37]
	v_add_co_u32_e32 v36, vcc, s6, v36
	v_addc_co_u32_e32 v37, vcc, v94, v37, vcc
	global_load_dword v21, v[22:23], off
	s_nop 0
	global_load_dword v22, v[24:25], off
	global_load_dword v23, v[26:27], off
	s_nop 0
	global_load_dword v24, v[28:29], off
	global_load_dword v25, v[30:31], off
	;; [unrolled: 1-line block ×3, first 2 shown]
	s_nop 0
	global_load_dword v34, v[34:35], off
	s_nop 0
	global_load_dword v35, v[36:37], off
	v_add_u32_e32 v28, s42, v91
	v_ashrrev_i32_e32 v29, 31, v28
	v_lshlrev_b64 v[28:29], 2, v[28:29]
	v_add_u32_e32 v30, s43, v91
	v_add_co_u32_e32 v28, vcc, s6, v28
	v_ashrrev_i32_e32 v31, 31, v30
	v_addc_co_u32_e32 v29, vcc, v94, v29, vcc
	v_lshlrev_b64 v[30:31], 2, v[30:31]
	v_add_u32_e32 v32, s44, v91
	v_add_co_u32_e32 v30, vcc, s6, v30
	v_ashrrev_i32_e32 v33, 31, v32
	v_addc_co_u32_e32 v31, vcc, v94, v31, vcc
	;; [unrolled: 5-line block ×3, first 2 shown]
	v_lshlrev_b64 v[36:37], 2, v[36:37]
	v_add_co_u32_e32 v36, vcc, s6, v36
	v_addc_co_u32_e32 v37, vcc, v94, v37, vcc
	v_add_co_u32_e32 v38, vcc, s6, v38
	v_addc_co_u32_e32 v39, vcc, v94, v39, vcc
	;; [unrolled: 2-line block ×5, first 2 shown]
	global_load_dword v46, v[28:29], off
	global_load_dword v47, v[30:31], off
	global_load_dword v48, v[32:33], off
	global_load_dword v49, v[36:37], off
	global_load_dword v50, v[38:39], off
	global_load_dword v51, v[40:41], off
	global_load_dword v52, v[42:43], off
	global_load_dword v53, v[44:45], off
	v_add_u32_e32 v28, s50, v91
	v_ashrrev_i32_e32 v29, 31, v28
	v_lshlrev_b64 v[28:29], 2, v[28:29]
	v_add_u32_e32 v30, s51, v91
	v_add_co_u32_e32 v28, vcc, s6, v28
	v_ashrrev_i32_e32 v31, 31, v30
	v_addc_co_u32_e32 v29, vcc, v94, v29, vcc
	v_lshlrev_b64 v[30:31], 2, v[30:31]
	v_add_u32_e32 v32, s52, v91
	v_add_co_u32_e32 v30, vcc, s6, v30
	v_ashrrev_i32_e32 v33, 31, v32
	v_addc_co_u32_e32 v31, vcc, v94, v31, vcc
	v_lshlrev_b64 v[32:33], 2, v[32:33]
	v_add_u32_e32 v36, s53, v91
	v_add_co_u32_e32 v32, vcc, s6, v32
	v_ashrrev_i32_e32 v37, 31, v36
	v_addc_co_u32_e32 v33, vcc, v94, v33, vcc
	v_lshlrev_b64 v[36:37], 2, v[36:37]
	v_add_u32_e32 v38, s54, v91
	v_add_co_u32_e32 v36, vcc, s6, v36
	v_ashrrev_i32_e32 v39, 31, v38
	v_addc_co_u32_e32 v37, vcc, v94, v37, vcc
	v_lshlrev_b64 v[38:39], 2, v[38:39]
	v_add_u32_e32 v40, s55, v91
	v_add_co_u32_e32 v38, vcc, s6, v38
	v_ashrrev_i32_e32 v41, 31, v40
	v_addc_co_u32_e32 v39, vcc, v94, v39, vcc
	v_lshlrev_b64 v[40:41], 2, v[40:41]
	v_add_u32_e32 v42, s56, v91
	v_add_co_u32_e32 v40, vcc, s6, v40
	v_ashrrev_i32_e32 v43, 31, v42
	v_addc_co_u32_e32 v41, vcc, v94, v41, vcc
	v_lshlrev_b64 v[42:43], 2, v[42:43]
	v_add_u32_e32 v44, s57, v91
	v_add_co_u32_e32 v42, vcc, s6, v42
	v_ashrrev_i32_e32 v45, 31, v44
	v_addc_co_u32_e32 v43, vcc, v94, v43, vcc
	v_lshlrev_b64 v[44:45], 2, v[44:45]
	v_add_co_u32_e32 v44, vcc, s6, v44
	v_addc_co_u32_e32 v45, vcc, v94, v45, vcc
	global_load_dword v54, v[28:29], off
	global_load_dword v55, v[30:31], off
	global_load_dword v56, v[32:33], off
	global_load_dword v57, v[36:37], off
	global_load_dword v58, v[38:39], off
	global_load_dword v59, v[40:41], off
	global_load_dword v60, v[42:43], off
	global_load_dword v61, v[44:45], off
	v_add_u32_e32 v28, s58, v91
	v_ashrrev_i32_e32 v29, 31, v28
	v_lshlrev_b64 v[28:29], 2, v[28:29]
	v_add_u32_e32 v30, s59, v91
	v_add_co_u32_e32 v28, vcc, s6, v28
	v_ashrrev_i32_e32 v31, 31, v30
	v_addc_co_u32_e32 v29, vcc, v94, v29, vcc
	v_lshlrev_b64 v[30:31], 2, v[30:31]
	v_add_u32_e32 v32, s60, v91
	v_add_co_u32_e32 v30, vcc, s6, v30
	v_ashrrev_i32_e32 v33, 31, v32
	v_addc_co_u32_e32 v31, vcc, v94, v31, vcc
	v_lshlrev_b64 v[32:33], 2, v[32:33]
	v_add_u32_e32 v36, s61, v91
	v_add_co_u32_e32 v32, vcc, s6, v32
	v_ashrrev_i32_e32 v37, 31, v36
	v_addc_co_u32_e32 v33, vcc, v94, v33, vcc
	v_lshlrev_b64 v[36:37], 2, v[36:37]
	v_add_u32_e32 v38, s62, v91
	v_add_co_u32_e32 v36, vcc, s6, v36
	v_ashrrev_i32_e32 v39, 31, v38
	v_addc_co_u32_e32 v37, vcc, v94, v37, vcc
	v_lshlrev_b64 v[38:39], 2, v[38:39]
	v_add_u32_e32 v40, s63, v91
	v_add_co_u32_e32 v38, vcc, s6, v38
	v_ashrrev_i32_e32 v41, 31, v40
	v_addc_co_u32_e32 v39, vcc, v94, v39, vcc
	v_lshlrev_b64 v[40:41], 2, v[40:41]
	v_add_u32_e32 v42, s64, v91
	v_add_co_u32_e32 v40, vcc, s6, v40
	v_ashrrev_i32_e32 v43, 31, v42
	v_addc_co_u32_e32 v41, vcc, v94, v41, vcc
	v_lshlrev_b64 v[42:43], 2, v[42:43]
	v_add_u32_e32 v44, s65, v91
	v_add_co_u32_e32 v42, vcc, s6, v42
	v_ashrrev_i32_e32 v45, 31, v44
	v_addc_co_u32_e32 v43, vcc, v94, v43, vcc
	v_lshlrev_b64 v[44:45], 2, v[44:45]
	v_add_co_u32_e32 v44, vcc, s6, v44
	v_addc_co_u32_e32 v45, vcc, v94, v45, vcc
	;; [unrolled: 48-line block ×4, first 2 shown]
	global_load_dword v78, v[28:29], off
	global_load_dword v79, v[30:31], off
	;; [unrolled: 1-line block ×8, first 2 shown]
	v_add_u32_e32 v28, s81, v91
	v_ashrrev_i32_e32 v29, 31, v28
	v_lshlrev_b64 v[28:29], 2, v[28:29]
	v_add_u32_e32 v30, s82, v91
	v_add_co_u32_e32 v28, vcc, s6, v28
	v_ashrrev_i32_e32 v31, 31, v30
	v_addc_co_u32_e32 v29, vcc, v94, v29, vcc
	v_lshlrev_b64 v[30:31], 2, v[30:31]
	v_add_u32_e32 v32, s83, v91
	v_add_co_u32_e32 v30, vcc, s6, v30
	v_ashrrev_i32_e32 v33, 31, v32
	v_addc_co_u32_e32 v31, vcc, v94, v31, vcc
	v_lshlrev_b64 v[32:33], 2, v[32:33]
	v_add_u32_e32 v36, s84, v91
	v_add_co_u32_e32 v32, vcc, s6, v32
	v_ashrrev_i32_e32 v37, 31, v36
	v_addc_co_u32_e32 v33, vcc, v94, v33, vcc
	v_lshlrev_b64 v[36:37], 2, v[36:37]
	v_add_u32_e32 v38, s85, v91
	v_add_co_u32_e32 v36, vcc, s6, v36
	v_ashrrev_i32_e32 v39, 31, v38
	v_addc_co_u32_e32 v37, vcc, v94, v37, vcc
	v_lshlrev_b64 v[38:39], 2, v[38:39]
	v_add_u32_e32 v40, s20, v91
	v_add_co_u32_e32 v38, vcc, s6, v38
	v_ashrrev_i32_e32 v41, 31, v40
	v_addc_co_u32_e32 v39, vcc, v94, v39, vcc
	v_lshlrev_b64 v[40:41], 2, v[40:41]
	v_add_co_u32_e32 v40, vcc, s6, v40
	v_addc_co_u32_e32 v41, vcc, v94, v41, vcc
	global_load_dword v99, v[28:29], off
	global_load_dword v100, v[30:31], off
	;; [unrolled: 1-line block ×6, first 2 shown]
	s_waitcnt vmcnt(54)
	ds_write_b32 v92, v20 offset:2376
	s_waitcnt vmcnt(53)
	ds_write_b32 v92, v21 offset:2640
	;; [unrolled: 2-line block ×7, first 2 shown]
	global_load_dwordx2 v[84:85], v[18:19], off
	ds_read_b64 v[36:37], v93
	ds_read_b64 v[32:33], v93 offset:32
	ds_read_b64 v[30:31], v93 offset:64
	ds_read_b64 v[28:29], v93 offset:96
	ds_read_b64 v[26:27], v93 offset:128
	ds_read_b64 v[24:25], v93 offset:160
	ds_read_b64 v[22:23], v93 offset:192
	ds_read_b64 v[20:21], v93 offset:224
	s_waitcnt vmcnt(48)
	ds_write_b32 v92, v34
	s_waitcnt vmcnt(47)
	ds_write_b32 v92, v35 offset:264
	s_waitcnt vmcnt(46)
	ds_write_b32 v92, v46 offset:528
	s_waitcnt vmcnt(45)
	ds_write_b32 v92, v47 offset:792
	s_waitcnt vmcnt(44)
	ds_write_b32 v92, v48 offset:1056
	s_waitcnt vmcnt(43)
	ds_write_b32 v92, v49 offset:1320
	s_waitcnt vmcnt(42)
	ds_write_b32 v92, v50 offset:1584
	s_waitcnt vmcnt(41)
	ds_write_b32 v92, v51 offset:1848
	s_waitcnt vmcnt(40)
	ds_write_b32 v92, v52 offset:2112
	s_waitcnt vmcnt(39)
	ds_write_b32 v92, v53 offset:2376
	s_waitcnt vmcnt(38)
	ds_write_b32 v92, v54 offset:2640
	s_waitcnt vmcnt(37)
	ds_write_b32 v92, v55 offset:2904
	s_waitcnt vmcnt(36)
	ds_write_b32 v92, v56 offset:3168
	s_waitcnt vmcnt(35)
	ds_write_b32 v92, v57 offset:3432
	s_waitcnt vmcnt(34)
	ds_write_b32 v92, v58 offset:3696
	s_waitcnt vmcnt(33)
	ds_write_b32 v92, v59 offset:3960
	ds_read_b64 v[54:55], v93
	ds_read_b64 v[52:53], v93 offset:32
	ds_read_b64 v[50:51], v93 offset:64
	ds_read_b64 v[48:49], v93 offset:96
	ds_read_b64 v[44:45], v93 offset:128
	ds_read_b64 v[42:43], v93 offset:160
	ds_read_b64 v[40:41], v93 offset:192
	ds_read_b64 v[34:35], v93 offset:224
	s_waitcnt vmcnt(32)
	ds_write_b32 v92, v60
	s_waitcnt vmcnt(31)
	ds_write_b32 v92, v61 offset:264
	s_waitcnt vmcnt(30)
	ds_write_b32 v92, v62 offset:528
	s_waitcnt vmcnt(29)
	ds_write_b32 v92, v63 offset:792
	s_waitcnt vmcnt(28)
	ds_write_b32 v92, v64 offset:1056
	s_waitcnt vmcnt(27)
	ds_write_b32 v92, v65 offset:1320
	s_waitcnt vmcnt(26)
	ds_write_b32 v92, v66 offset:1584
	s_waitcnt vmcnt(25)
	ds_write_b32 v92, v67 offset:1848
	s_waitcnt vmcnt(24)
	ds_write_b32 v92, v68 offset:2112
	s_waitcnt vmcnt(23)
	ds_write_b32 v92, v69 offset:2376
	s_waitcnt vmcnt(22)
	ds_write_b32 v92, v70 offset:2640
	s_waitcnt vmcnt(21)
	ds_write_b32 v92, v71 offset:2904
	s_waitcnt vmcnt(20)
	ds_write_b32 v92, v72 offset:3168
	s_waitcnt vmcnt(19)
	ds_write_b32 v92, v73 offset:3432
	s_waitcnt vmcnt(18)
	ds_write_b32 v92, v74 offset:3696
	s_waitcnt vmcnt(17)
	ds_write_b32 v92, v75 offset:3960
	;; [unrolled: 40-line block ×3, first 2 shown]
	ds_read_b64 v[82:83], v93
	ds_read_b64 v[80:81], v93 offset:32
	ds_read_b64 v[78:79], v93 offset:64
	;; [unrolled: 1-line block ×7, first 2 shown]
	s_waitcnt vmcnt(0)
	v_and_b32_e32 v97, 0x7f800000, v84
	v_cmp_ne_u32_e32 vcc, s86, v97
                                        ; implicit-def: $vgpr97
	s_and_saveexec_b64 s[16:17], vcc
	s_xor_b64 s[16:17], exec, s[16:17]
; %bb.6:                                ;   in Loop: Header=BB146_5 Depth=1
	v_bfe_u32 v97, v84, 16, 1
	v_add3_u32 v97, v84, v97, s87
; %bb.7:                                ;   in Loop: Header=BB146_5 Depth=1
	s_andn2_saveexec_b64 s[16:17], s[16:17]
; %bb.8:                                ;   in Loop: Header=BB146_5 Depth=1
	v_or_b32_e32 v97, 0x10000, v84
	v_cmp_eq_u32_sdwa vcc, v84, v95 src0_sel:WORD_0 src1_sel:DWORD
	v_cndmask_b32_e32 v97, v97, v84, vcc
; %bb.9:                                ;   in Loop: Header=BB146_5 Depth=1
	s_or_b64 exec, exec, s[16:17]
	v_and_b32_e32 v84, 0x7f800000, v85
	v_cmp_ne_u32_e32 vcc, s86, v84
                                        ; implicit-def: $vgpr98
	s_and_saveexec_b64 s[16:17], vcc
	s_xor_b64 s[16:17], exec, s[16:17]
; %bb.10:                               ;   in Loop: Header=BB146_5 Depth=1
	v_bfe_u32 v84, v85, 16, 1
	v_add3_u32 v98, v85, v84, s87
                                        ; implicit-def: $vgpr84_vgpr85
; %bb.11:                               ;   in Loop: Header=BB146_5 Depth=1
	s_andn2_saveexec_b64 s[16:17], s[16:17]
; %bb.12:                               ;   in Loop: Header=BB146_5 Depth=1
	v_or_b32_e32 v84, 0x10000, v85
	v_cmp_eq_u32_sdwa vcc, v85, v95 src0_sel:WORD_0 src1_sel:DWORD
	v_cndmask_b32_e32 v98, v84, v85, vcc
; %bb.13:                               ;   in Loop: Header=BB146_5 Depth=1
	s_or_b64 exec, exec, s[16:17]
	v_mov_b32_e32 v85, s13
	v_add_co_u32_e32 v84, vcc, s12, v18
	v_addc_co_u32_e32 v85, vcc, v19, v85, vcc
	global_load_dwordx2 v[84:85], v[84:85], off
	v_perm_b32 v97, v98, v97, s88
	ds_write_b32 v92, v97
	s_waitcnt vmcnt(0)
	v_and_b32_e32 v97, 0x7f800000, v84
	v_cmp_ne_u32_e32 vcc, s86, v97
                                        ; implicit-def: $vgpr97
	s_and_saveexec_b64 s[16:17], vcc
	s_xor_b64 s[16:17], exec, s[16:17]
; %bb.14:                               ;   in Loop: Header=BB146_5 Depth=1
	v_bfe_u32 v97, v84, 16, 1
	v_add3_u32 v97, v84, v97, s87
; %bb.15:                               ;   in Loop: Header=BB146_5 Depth=1
	s_andn2_saveexec_b64 s[16:17], s[16:17]
; %bb.16:                               ;   in Loop: Header=BB146_5 Depth=1
	v_or_b32_e32 v97, 0x10000, v84
	v_cmp_eq_u32_sdwa vcc, v84, v95 src0_sel:WORD_0 src1_sel:DWORD
	v_cndmask_b32_e32 v97, v97, v84, vcc
; %bb.17:                               ;   in Loop: Header=BB146_5 Depth=1
	s_or_b64 exec, exec, s[16:17]
	v_and_b32_e32 v84, 0x7f800000, v85
	v_cmp_ne_u32_e32 vcc, s86, v84
                                        ; implicit-def: $vgpr98
	s_and_saveexec_b64 s[16:17], vcc
	s_xor_b64 s[16:17], exec, s[16:17]
; %bb.18:                               ;   in Loop: Header=BB146_5 Depth=1
	v_bfe_u32 v84, v85, 16, 1
	v_add3_u32 v98, v85, v84, s87
                                        ; implicit-def: $vgpr84_vgpr85
; %bb.19:                               ;   in Loop: Header=BB146_5 Depth=1
	s_andn2_saveexec_b64 s[16:17], s[16:17]
; %bb.20:                               ;   in Loop: Header=BB146_5 Depth=1
	v_or_b32_e32 v84, 0x10000, v85
	v_cmp_eq_u32_sdwa vcc, v85, v95 src0_sel:WORD_0 src1_sel:DWORD
	v_cndmask_b32_e32 v98, v84, v85, vcc
; %bb.21:                               ;   in Loop: Header=BB146_5 Depth=1
	s_or_b64 exec, exec, s[16:17]
	v_add_u32_e32 v84, s21, v91
	v_ashrrev_i32_e32 v85, 31, v84
	v_lshlrev_b64 v[84:85], 3, v[84:85]
	v_mov_b32_e32 v99, s18
	v_add_co_u32_e32 v84, vcc, s14, v84
	v_addc_co_u32_e32 v85, vcc, v99, v85, vcc
	global_load_dwordx2 v[84:85], v[84:85], off
	v_perm_b32 v97, v98, v97, s88
	ds_write_b32 v92, v97 offset:264
	s_waitcnt vmcnt(0)
	v_and_b32_e32 v97, 0x7f800000, v84
	v_cmp_ne_u32_e32 vcc, s86, v97
                                        ; implicit-def: $vgpr97
	s_and_saveexec_b64 s[16:17], vcc
	s_xor_b64 s[16:17], exec, s[16:17]
; %bb.22:                               ;   in Loop: Header=BB146_5 Depth=1
	v_bfe_u32 v97, v84, 16, 1
	v_add3_u32 v97, v84, v97, s87
; %bb.23:                               ;   in Loop: Header=BB146_5 Depth=1
	s_andn2_saveexec_b64 s[16:17], s[16:17]
; %bb.24:                               ;   in Loop: Header=BB146_5 Depth=1
	v_or_b32_e32 v97, 0x10000, v84
	v_cmp_eq_u32_sdwa vcc, v84, v95 src0_sel:WORD_0 src1_sel:DWORD
	v_cndmask_b32_e32 v97, v97, v84, vcc
; %bb.25:                               ;   in Loop: Header=BB146_5 Depth=1
	s_or_b64 exec, exec, s[16:17]
	v_and_b32_e32 v84, 0x7f800000, v85
	v_cmp_ne_u32_e32 vcc, s86, v84
                                        ; implicit-def: $vgpr98
	s_and_saveexec_b64 s[16:17], vcc
	s_xor_b64 s[16:17], exec, s[16:17]
; %bb.26:                               ;   in Loop: Header=BB146_5 Depth=1
	v_bfe_u32 v84, v85, 16, 1
	v_add3_u32 v98, v85, v84, s87
                                        ; implicit-def: $vgpr84_vgpr85
; %bb.27:                               ;   in Loop: Header=BB146_5 Depth=1
	s_andn2_saveexec_b64 s[16:17], s[16:17]
; %bb.28:                               ;   in Loop: Header=BB146_5 Depth=1
	v_or_b32_e32 v84, 0x10000, v85
	v_cmp_eq_u32_sdwa vcc, v85, v95 src0_sel:WORD_0 src1_sel:DWORD
	v_cndmask_b32_e32 v98, v84, v85, vcc
; %bb.29:                               ;   in Loop: Header=BB146_5 Depth=1
	s_or_b64 exec, exec, s[16:17]
	v_add_u32_e32 v84, s22, v91
	v_ashrrev_i32_e32 v85, 31, v84
	v_lshlrev_b64 v[84:85], 3, v[84:85]
	v_mov_b32_e32 v99, s18
	v_add_co_u32_e32 v84, vcc, s14, v84
	v_addc_co_u32_e32 v85, vcc, v99, v85, vcc
	global_load_dwordx2 v[84:85], v[84:85], off
	v_perm_b32 v97, v98, v97, s88
	ds_write_b32 v92, v97 offset:528
	s_waitcnt vmcnt(0)
	v_and_b32_e32 v97, 0x7f800000, v84
	v_cmp_ne_u32_e32 vcc, s86, v97
                                        ; implicit-def: $vgpr97
	s_and_saveexec_b64 s[16:17], vcc
	s_xor_b64 s[16:17], exec, s[16:17]
; %bb.30:                               ;   in Loop: Header=BB146_5 Depth=1
	v_bfe_u32 v97, v84, 16, 1
	v_add3_u32 v97, v84, v97, s87
; %bb.31:                               ;   in Loop: Header=BB146_5 Depth=1
	s_andn2_saveexec_b64 s[16:17], s[16:17]
; %bb.32:                               ;   in Loop: Header=BB146_5 Depth=1
	v_or_b32_e32 v97, 0x10000, v84
	v_cmp_eq_u32_sdwa vcc, v84, v95 src0_sel:WORD_0 src1_sel:DWORD
	v_cndmask_b32_e32 v97, v97, v84, vcc
; %bb.33:                               ;   in Loop: Header=BB146_5 Depth=1
	s_or_b64 exec, exec, s[16:17]
	v_and_b32_e32 v84, 0x7f800000, v85
	v_cmp_ne_u32_e32 vcc, s86, v84
                                        ; implicit-def: $vgpr98
	s_and_saveexec_b64 s[16:17], vcc
	s_xor_b64 s[16:17], exec, s[16:17]
; %bb.34:                               ;   in Loop: Header=BB146_5 Depth=1
	v_bfe_u32 v84, v85, 16, 1
	v_add3_u32 v98, v85, v84, s87
                                        ; implicit-def: $vgpr84_vgpr85
; %bb.35:                               ;   in Loop: Header=BB146_5 Depth=1
	s_andn2_saveexec_b64 s[16:17], s[16:17]
	s_cbranch_execz .LBB146_4
; %bb.36:                               ;   in Loop: Header=BB146_5 Depth=1
	v_or_b32_e32 v84, 0x10000, v85
	v_cmp_eq_u32_sdwa vcc, v85, v95 src0_sel:WORD_0 src1_sel:DWORD
	v_cndmask_b32_e32 v98, v84, v85, vcc
	s_branch .LBB146_4
.LBB146_37:
	s_or_b64 exec, exec, s[0:1]
.LBB146_38:
	s_or_b64 exec, exec, s[24:25]
	v_mul_u32_u24_e32 v16, 0x808, v90
	v_lshlrev_b32_e32 v17, 2, v89
	v_add3_u32 v16, 0, v16, v17
	v_and_b32_e32 v17, 0x3f0, v87
	v_add_u32_e32 v17, v16, v17
	s_waitcnt lgkmcnt(0)
	s_barrier
	ds_write2_b32 v17, v4, v5 offset1:1
	ds_write_b32 v17, v6 offset:8
	v_or_b32_e32 v4, 12, v87
	v_and_b32_e32 v4, 0x3fc, v4
	v_add_u32_e32 v4, v16, v4
	v_cmp_gt_u32_e32 vcc, 4, v86
	ds_write_b32 v4, v7
	ds_write2_b32 v17, v0, v1 offset0:16 offset1:17
	ds_write_b32 v17, v2 offset:72
	ds_write_b32 v4, v3 offset:64
	ds_write2_b32 v17, v8, v9 offset0:32 offset1:33
	ds_write_b32 v17, v10 offset:136
	ds_write_b32 v4, v11 offset:128
	;; [unrolled: 3-line block ×3, first 2 shown]
	s_waitcnt lgkmcnt(0)
	s_barrier
	s_and_saveexec_b64 s[0:1], vcc
	s_cbranch_execz .LBB146_40
; %bb.39:
	v_mul_u32_u24_e32 v0, 0x808, v86
	v_add3_u32 v6, 0, v0, v88
	ds_read2st64_b32 v[0:1], v6 offset1:1
	ds_read2st64_b32 v[2:3], v6 offset0:2 offset1:3
	ds_read2st64_b32 v[4:5], v6 offset0:4 offset1:5
	;; [unrolled: 1-line block ×3, first 2 shown]
	s_mul_hi_i32 s1, s19, s8
	s_mul_i32 s0, s19, s8
	s_lshl_b64 s[0:1], s[0:1], 2
	s_waitcnt lgkmcnt(3)
	v_add_f32_e32 v0, 0, v0
	v_add_f32_e32 v0, v0, v1
	s_waitcnt lgkmcnt(2)
	v_add_f32_e32 v0, v0, v2
	v_add_f32_e32 v0, v0, v3
	s_waitcnt lgkmcnt(1)
	v_add_f32_e32 v0, v0, v4
	s_mul_i32 s4, s7, s15
	s_add_u32 s6, s10, s0
	v_add_f32_e32 v0, v0, v5
	s_addc_u32 s7, s11, s1
	s_ashr_i32 s5, s4, 31
	s_waitcnt lgkmcnt(0)
	v_add_f32_e32 v0, v0, v6
	s_lshl_b64 s[0:1], s[4:5], 2
	v_add_f32_e32 v2, v0, v7
	v_mul_lo_u32 v0, v86, s2
	s_add_u32 s0, s6, s0
	v_add3_u32 v0, s3, v87, v0
	v_mov_b32_e32 v1, 0
	s_addc_u32 s1, s7, s1
	v_lshlrev_b64 v[0:1], 2, v[0:1]
	v_mov_b32_e32 v3, s1
	v_add_co_u32_e32 v0, vcc, s0, v0
	v_addc_co_u32_e32 v1, vcc, v3, v1, vcc
	global_store_dword v[0:1], v2, off
.LBB146_40:
	s_endpgm
	.section	.rodata,"a",@progbits
	.p2align	6, 0x0
	.amdhsa_kernel _ZL9mul_mat_fI15__hip_bfloat162Li64ELi4ELi8ELb0EEvPKT_PKfPKiPfiiiiiiiiiiiiiiii
		.amdhsa_group_segment_fixed_size 0
		.amdhsa_private_segment_fixed_size 0
		.amdhsa_kernarg_size 96
		.amdhsa_user_sgpr_count 6
		.amdhsa_user_sgpr_private_segment_buffer 1
		.amdhsa_user_sgpr_dispatch_ptr 0
		.amdhsa_user_sgpr_queue_ptr 0
		.amdhsa_user_sgpr_kernarg_segment_ptr 1
		.amdhsa_user_sgpr_dispatch_id 0
		.amdhsa_user_sgpr_flat_scratch_init 0
		.amdhsa_user_sgpr_kernarg_preload_length 0
		.amdhsa_user_sgpr_kernarg_preload_offset 0
		.amdhsa_user_sgpr_private_segment_size 0
		.amdhsa_uses_dynamic_stack 0
		.amdhsa_system_sgpr_private_segment_wavefront_offset 0
		.amdhsa_system_sgpr_workgroup_id_x 1
		.amdhsa_system_sgpr_workgroup_id_y 1
		.amdhsa_system_sgpr_workgroup_id_z 1
		.amdhsa_system_sgpr_workgroup_info 0
		.amdhsa_system_vgpr_workitem_id 1
		.amdhsa_next_free_vgpr 105
		.amdhsa_next_free_sgpr 89
		.amdhsa_accum_offset 108
		.amdhsa_reserve_vcc 1
		.amdhsa_reserve_flat_scratch 0
		.amdhsa_float_round_mode_32 0
		.amdhsa_float_round_mode_16_64 0
		.amdhsa_float_denorm_mode_32 3
		.amdhsa_float_denorm_mode_16_64 3
		.amdhsa_dx10_clamp 1
		.amdhsa_ieee_mode 1
		.amdhsa_fp16_overflow 0
		.amdhsa_tg_split 0
		.amdhsa_exception_fp_ieee_invalid_op 0
		.amdhsa_exception_fp_denorm_src 0
		.amdhsa_exception_fp_ieee_div_zero 0
		.amdhsa_exception_fp_ieee_overflow 0
		.amdhsa_exception_fp_ieee_underflow 0
		.amdhsa_exception_fp_ieee_inexact 0
		.amdhsa_exception_int_div_zero 0
	.end_amdhsa_kernel
	.section	.text._ZL9mul_mat_fI15__hip_bfloat162Li64ELi4ELi8ELb0EEvPKT_PKfPKiPfiiiiiiiiiiiiiiii,"axG",@progbits,_ZL9mul_mat_fI15__hip_bfloat162Li64ELi4ELi8ELb0EEvPKT_PKfPKiPfiiiiiiiiiiiiiiii,comdat
.Lfunc_end146:
	.size	_ZL9mul_mat_fI15__hip_bfloat162Li64ELi4ELi8ELb0EEvPKT_PKfPKiPfiiiiiiiiiiiiiiii, .Lfunc_end146-_ZL9mul_mat_fI15__hip_bfloat162Li64ELi4ELi8ELb0EEvPKT_PKfPKiPfiiiiiiiiiiiiiiii
                                        ; -- End function
	.section	.AMDGPU.csdata,"",@progbits
; Kernel info:
; codeLenInByte = 5596
; NumSgprs: 93
; NumVgprs: 105
; NumAgprs: 0
; TotalNumVgprs: 105
; ScratchSize: 0
; MemoryBound: 0
; FloatMode: 240
; IeeeMode: 1
; LDSByteSize: 0 bytes/workgroup (compile time only)
; SGPRBlocks: 11
; VGPRBlocks: 13
; NumSGPRsForWavesPerEU: 93
; NumVGPRsForWavesPerEU: 105
; AccumOffset: 108
; Occupancy: 4
; WaveLimiterHint : 0
; COMPUTE_PGM_RSRC2:SCRATCH_EN: 0
; COMPUTE_PGM_RSRC2:USER_SGPR: 6
; COMPUTE_PGM_RSRC2:TRAP_HANDLER: 0
; COMPUTE_PGM_RSRC2:TGID_X_EN: 1
; COMPUTE_PGM_RSRC2:TGID_Y_EN: 1
; COMPUTE_PGM_RSRC2:TGID_Z_EN: 1
; COMPUTE_PGM_RSRC2:TIDIG_COMP_CNT: 1
; COMPUTE_PGM_RSRC3_GFX90A:ACCUM_OFFSET: 26
; COMPUTE_PGM_RSRC3_GFX90A:TG_SPLIT: 0
	.text
	.p2alignl 6, 3212836864
	.fill 256, 4, 3212836864
	.type	.str,@object                    ; @.str
	.section	.rodata.str1.1,"aMS",@progbits,1
.str:
	.asciz	"/root/src/amdgpu-assembly/repos/ggml-org__llama.cpp/ggml/src/ggml-cuda/template-instances/../mmf.cuh"
	.size	.str, 101

	.type	__FUNCTION__._ZL13mul_mat_f_idsIfLi32ELi4ELi1EEvPKT_PKfPKiS6_S6_Pfiiiiiiiiiiiiii15HIP_vector_typeIjLj3EES9_,@object ; @__FUNCTION__._ZL13mul_mat_f_idsIfLi32ELi4ELi1EEvPKT_PKfPKiS6_S6_Pfiiiiiiiiiiiiii15HIP_vector_typeIjLj3EES9_
__FUNCTION__._ZL13mul_mat_f_idsIfLi32ELi4ELi1EEvPKT_PKfPKiS6_S6_Pfiiiiiiiiiiiiii15HIP_vector_typeIjLj3EES9_:
	.asciz	"mul_mat_f_ids"
	.size	__FUNCTION__._ZL13mul_mat_f_idsIfLi32ELi4ELi1EEvPKT_PKfPKiS6_S6_Pfiiiiiiiiiiiiii15HIP_vector_typeIjLj3EES9_, 14

	.type	.str.2,@object                  ; @.str.2
.str.2:
	.asciz	"%s:%d: ERROR: HIP kernel %s has no device code compatible with HIP arch %d.\n"
	.size	.str.2, 77

	.type	__FUNCTION__._ZL9mul_mat_fIfLi32ELi4ELi1ELb1EEvPKT_PKfPKiPfiiiiiiiiiiiiiiii,@object ; @__FUNCTION__._ZL9mul_mat_fIfLi32ELi4ELi1ELb1EEvPKT_PKfPKiPfiiiiiiiiiiiiiiii
__FUNCTION__._ZL9mul_mat_fIfLi32ELi4ELi1ELb1EEvPKT_PKfPKiPfiiiiiiiiiiiiiiii:
	.asciz	"mul_mat_f"
	.size	__FUNCTION__._ZL9mul_mat_fIfLi32ELi4ELi1ELb1EEvPKT_PKfPKiPfiiiiiiiiiiiiiiii, 10

	.type	__hip_cuid_bcbd92b85294720b,@object ; @__hip_cuid_bcbd92b85294720b
	.section	.bss,"aw",@nobits
	.globl	__hip_cuid_bcbd92b85294720b
__hip_cuid_bcbd92b85294720b:
	.byte	0                               ; 0x0
	.size	__hip_cuid_bcbd92b85294720b, 1

	.ident	"AMD clang version 19.0.0git (https://github.com/RadeonOpenCompute/llvm-project roc-6.4.0 25133 c7fe45cf4b819c5991fe208aaa96edf142730f1d)"
	.section	".note.GNU-stack","",@progbits
	.addrsig
	.addrsig_sym __hip_cuid_bcbd92b85294720b
	.amdgpu_metadata
---
amdhsa.kernels:
  - .agpr_count:     0
    .args:
      - .actual_access:  read_only
        .address_space:  global
        .offset:         0
        .size:           8
        .value_kind:     global_buffer
      - .actual_access:  read_only
        .address_space:  global
        .offset:         8
        .size:           8
        .value_kind:     global_buffer
      - .actual_access:  read_only
        .address_space:  global
        .offset:         16
        .size:           8
        .value_kind:     global_buffer
      - .actual_access:  read_only
        .address_space:  global
        .offset:         24
        .size:           8
        .value_kind:     global_buffer
      - .actual_access:  read_only
        .address_space:  global
        .offset:         32
        .size:           8
        .value_kind:     global_buffer
      - .actual_access:  read_only
        .address_space:  global
        .offset:         40
        .size:           8
        .value_kind:     global_buffer
      - .offset:         48
        .size:           4
        .value_kind:     by_value
      - .offset:         52
        .size:           4
        .value_kind:     by_value
      - .offset:         56
        .size:           4
        .value_kind:     by_value
      - .offset:         60
        .size:           4
        .value_kind:     by_value
      - .offset:         64
        .size:           4
        .value_kind:     by_value
      - .offset:         68
        .size:           4
        .value_kind:     by_value
      - .offset:         72
        .size:           4
        .value_kind:     by_value
      - .offset:         76
        .size:           4
        .value_kind:     by_value
      - .offset:         80
        .size:           4
        .value_kind:     by_value
      - .offset:         84
        .size:           4
        .value_kind:     by_value
      - .offset:         88
        .size:           4
        .value_kind:     by_value
      - .offset:         92
        .size:           4
        .value_kind:     by_value
      - .offset:         96
        .size:           4
        .value_kind:     by_value
      - .offset:         100
        .size:           4
        .value_kind:     by_value
      - .offset:         104
        .size:           12
        .value_kind:     by_value
      - .offset:         116
        .size:           12
        .value_kind:     by_value
      - .offset:         128
        .size:           4
        .value_kind:     hidden_block_count_x
      - .offset:         132
        .size:           4
        .value_kind:     hidden_block_count_y
      - .offset:         136
        .size:           4
        .value_kind:     hidden_block_count_z
      - .offset:         140
        .size:           2
        .value_kind:     hidden_group_size_x
      - .offset:         142
        .size:           2
        .value_kind:     hidden_group_size_y
      - .offset:         144
        .size:           2
        .value_kind:     hidden_group_size_z
      - .offset:         146
        .size:           2
        .value_kind:     hidden_remainder_x
      - .offset:         148
        .size:           2
        .value_kind:     hidden_remainder_y
      - .offset:         150
        .size:           2
        .value_kind:     hidden_remainder_z
      - .offset:         168
        .size:           8
        .value_kind:     hidden_global_offset_x
      - .offset:         176
        .size:           8
        .value_kind:     hidden_global_offset_y
      - .offset:         184
        .size:           8
        .value_kind:     hidden_global_offset_z
      - .offset:         192
        .size:           2
        .value_kind:     hidden_grid_dims
      - .offset:         208
        .size:           8
        .value_kind:     hidden_hostcall_buffer
    .group_segment_fixed_size: 0
    .kernarg_segment_align: 8
    .kernarg_segment_size: 384
    .language:       OpenCL C
    .language_version:
      - 2
      - 0
    .max_flat_workgroup_size: 64
    .name:           _ZL13mul_mat_f_idsIfLi32ELi4ELi1EEvPKT_PKfPKiS6_S6_Pfiiiiiiiiiiiiii15HIP_vector_typeIjLj3EES9_
    .private_segment_fixed_size: 16
    .sgpr_count:     40
    .sgpr_spill_count: 0
    .symbol:         _ZL13mul_mat_f_idsIfLi32ELi4ELi1EEvPKT_PKfPKiS6_S6_Pfiiiiiiiiiiiiii15HIP_vector_typeIjLj3EES9_.kd
    .uniform_work_group_size: 1
    .uses_dynamic_stack: false
    .vgpr_count:     41
    .vgpr_spill_count: 0
    .wavefront_size: 64
  - .agpr_count:     0
    .args:
      - .actual_access:  read_only
        .address_space:  global
        .offset:         0
        .size:           8
        .value_kind:     global_buffer
      - .actual_access:  read_only
        .address_space:  global
        .offset:         8
        .size:           8
        .value_kind:     global_buffer
      - .actual_access:  read_only
        .address_space:  global
        .offset:         16
        .size:           8
        .value_kind:     global_buffer
      - .actual_access:  read_only
        .address_space:  global
        .offset:         24
        .size:           8
        .value_kind:     global_buffer
      - .offset:         32
        .size:           4
        .value_kind:     by_value
      - .offset:         36
        .size:           4
        .value_kind:     by_value
      - .offset:         40
        .size:           4
        .value_kind:     by_value
      - .offset:         44
        .size:           4
        .value_kind:     by_value
      - .offset:         48
        .size:           4
        .value_kind:     by_value
      - .offset:         52
        .size:           4
        .value_kind:     by_value
      - .offset:         56
        .size:           4
        .value_kind:     by_value
      - .offset:         60
        .size:           4
        .value_kind:     by_value
      - .offset:         64
        .size:           4
        .value_kind:     by_value
      - .offset:         68
        .size:           4
        .value_kind:     by_value
      - .offset:         72
        .size:           4
        .value_kind:     by_value
      - .offset:         76
        .size:           4
        .value_kind:     by_value
      - .offset:         80
        .size:           4
        .value_kind:     by_value
      - .offset:         84
        .size:           4
        .value_kind:     by_value
      - .offset:         88
        .size:           4
        .value_kind:     by_value
      - .offset:         92
        .size:           4
        .value_kind:     by_value
      - .offset:         96
        .size:           4
        .value_kind:     hidden_block_count_x
      - .offset:         100
        .size:           4
        .value_kind:     hidden_block_count_y
      - .offset:         104
        .size:           4
        .value_kind:     hidden_block_count_z
      - .offset:         108
        .size:           2
        .value_kind:     hidden_group_size_x
      - .offset:         110
        .size:           2
        .value_kind:     hidden_group_size_y
      - .offset:         112
        .size:           2
        .value_kind:     hidden_group_size_z
      - .offset:         114
        .size:           2
        .value_kind:     hidden_remainder_x
      - .offset:         116
        .size:           2
        .value_kind:     hidden_remainder_y
      - .offset:         118
        .size:           2
        .value_kind:     hidden_remainder_z
      - .offset:         136
        .size:           8
        .value_kind:     hidden_global_offset_x
      - .offset:         144
        .size:           8
        .value_kind:     hidden_global_offset_y
      - .offset:         152
        .size:           8
        .value_kind:     hidden_global_offset_z
      - .offset:         160
        .size:           2
        .value_kind:     hidden_grid_dims
      - .offset:         176
        .size:           8
        .value_kind:     hidden_hostcall_buffer
    .group_segment_fixed_size: 0
    .kernarg_segment_align: 8
    .kernarg_segment_size: 352
    .language:       OpenCL C
    .language_version:
      - 2
      - 0
    .max_flat_workgroup_size: 64
    .name:           _ZL9mul_mat_fIfLi32ELi4ELi1ELb1EEvPKT_PKfPKiPfiiiiiiiiiiiiiiii
    .private_segment_fixed_size: 16
    .sgpr_count:     40
    .sgpr_spill_count: 0
    .symbol:         _ZL9mul_mat_fIfLi32ELi4ELi1ELb1EEvPKT_PKfPKiPfiiiiiiiiiiiiiiii.kd
    .uniform_work_group_size: 1
    .uses_dynamic_stack: false
    .vgpr_count:     41
    .vgpr_spill_count: 0
    .wavefront_size: 64
  - .agpr_count:     0
    .args:
      - .actual_access:  read_only
        .address_space:  global
        .offset:         0
        .size:           8
        .value_kind:     global_buffer
      - .actual_access:  read_only
        .address_space:  global
        .offset:         8
        .size:           8
        .value_kind:     global_buffer
      - .actual_access:  read_only
        .address_space:  global
        .offset:         16
        .size:           8
        .value_kind:     global_buffer
      - .actual_access:  read_only
        .address_space:  global
        .offset:         24
        .size:           8
        .value_kind:     global_buffer
      - .offset:         32
        .size:           4
        .value_kind:     by_value
      - .offset:         36
        .size:           4
        .value_kind:     by_value
      - .offset:         40
        .size:           4
        .value_kind:     by_value
      - .offset:         44
        .size:           4
        .value_kind:     by_value
      - .offset:         48
        .size:           4
        .value_kind:     by_value
      - .offset:         52
        .size:           4
        .value_kind:     by_value
      - .offset:         56
        .size:           4
        .value_kind:     by_value
      - .offset:         60
        .size:           4
        .value_kind:     by_value
      - .offset:         64
        .size:           4
        .value_kind:     by_value
      - .offset:         68
        .size:           4
        .value_kind:     by_value
      - .offset:         72
        .size:           4
        .value_kind:     by_value
      - .offset:         76
        .size:           4
        .value_kind:     by_value
      - .offset:         80
        .size:           4
        .value_kind:     by_value
      - .offset:         84
        .size:           4
        .value_kind:     by_value
      - .offset:         88
        .size:           4
        .value_kind:     by_value
      - .offset:         92
        .size:           4
        .value_kind:     by_value
      - .offset:         96
        .size:           4
        .value_kind:     hidden_block_count_x
      - .offset:         100
        .size:           4
        .value_kind:     hidden_block_count_y
      - .offset:         104
        .size:           4
        .value_kind:     hidden_block_count_z
      - .offset:         108
        .size:           2
        .value_kind:     hidden_group_size_x
      - .offset:         110
        .size:           2
        .value_kind:     hidden_group_size_y
      - .offset:         112
        .size:           2
        .value_kind:     hidden_group_size_z
      - .offset:         114
        .size:           2
        .value_kind:     hidden_remainder_x
      - .offset:         116
        .size:           2
        .value_kind:     hidden_remainder_y
      - .offset:         118
        .size:           2
        .value_kind:     hidden_remainder_z
      - .offset:         136
        .size:           8
        .value_kind:     hidden_global_offset_x
      - .offset:         144
        .size:           8
        .value_kind:     hidden_global_offset_y
      - .offset:         152
        .size:           8
        .value_kind:     hidden_global_offset_z
      - .offset:         160
        .size:           2
        .value_kind:     hidden_grid_dims
      - .offset:         176
        .size:           8
        .value_kind:     hidden_hostcall_buffer
    .group_segment_fixed_size: 0
    .kernarg_segment_align: 8
    .kernarg_segment_size: 352
    .language:       OpenCL C
    .language_version:
      - 2
      - 0
    .max_flat_workgroup_size: 64
    .name:           _ZL9mul_mat_fIfLi32ELi4ELi1ELb0EEvPKT_PKfPKiPfiiiiiiiiiiiiiiii
    .private_segment_fixed_size: 16
    .sgpr_count:     40
    .sgpr_spill_count: 0
    .symbol:         _ZL9mul_mat_fIfLi32ELi4ELi1ELb0EEvPKT_PKfPKiPfiiiiiiiiiiiiiiii.kd
    .uniform_work_group_size: 1
    .uses_dynamic_stack: false
    .vgpr_count:     41
    .vgpr_spill_count: 0
    .wavefront_size: 64
  - .agpr_count:     0
    .args:
      - .actual_access:  read_only
        .address_space:  global
        .offset:         0
        .size:           8
        .value_kind:     global_buffer
      - .actual_access:  read_only
        .address_space:  global
        .offset:         8
        .size:           8
        .value_kind:     global_buffer
      - .actual_access:  read_only
        .address_space:  global
        .offset:         16
        .size:           8
        .value_kind:     global_buffer
      - .actual_access:  read_only
        .address_space:  global
        .offset:         24
        .size:           8
        .value_kind:     global_buffer
      - .actual_access:  read_only
        .address_space:  global
        .offset:         32
        .size:           8
        .value_kind:     global_buffer
      - .actual_access:  read_only
        .address_space:  global
        .offset:         40
        .size:           8
        .value_kind:     global_buffer
      - .offset:         48
        .size:           4
        .value_kind:     by_value
      - .offset:         52
        .size:           4
        .value_kind:     by_value
      - .offset:         56
        .size:           4
        .value_kind:     by_value
      - .offset:         60
        .size:           4
        .value_kind:     by_value
      - .offset:         64
        .size:           4
        .value_kind:     by_value
      - .offset:         68
        .size:           4
        .value_kind:     by_value
      - .offset:         72
        .size:           4
        .value_kind:     by_value
      - .offset:         76
        .size:           4
        .value_kind:     by_value
      - .offset:         80
        .size:           4
        .value_kind:     by_value
      - .offset:         84
        .size:           4
        .value_kind:     by_value
      - .offset:         88
        .size:           4
        .value_kind:     by_value
      - .offset:         92
        .size:           4
        .value_kind:     by_value
      - .offset:         96
        .size:           4
        .value_kind:     by_value
      - .offset:         100
        .size:           4
        .value_kind:     by_value
      - .offset:         104
        .size:           12
        .value_kind:     by_value
      - .offset:         116
        .size:           12
        .value_kind:     by_value
      - .offset:         128
        .size:           4
        .value_kind:     hidden_block_count_x
      - .offset:         132
        .size:           4
        .value_kind:     hidden_block_count_y
      - .offset:         136
        .size:           4
        .value_kind:     hidden_block_count_z
      - .offset:         140
        .size:           2
        .value_kind:     hidden_group_size_x
      - .offset:         142
        .size:           2
        .value_kind:     hidden_group_size_y
      - .offset:         144
        .size:           2
        .value_kind:     hidden_group_size_z
      - .offset:         146
        .size:           2
        .value_kind:     hidden_remainder_x
      - .offset:         148
        .size:           2
        .value_kind:     hidden_remainder_y
      - .offset:         150
        .size:           2
        .value_kind:     hidden_remainder_z
      - .offset:         168
        .size:           8
        .value_kind:     hidden_global_offset_x
      - .offset:         176
        .size:           8
        .value_kind:     hidden_global_offset_y
      - .offset:         184
        .size:           8
        .value_kind:     hidden_global_offset_z
      - .offset:         192
        .size:           2
        .value_kind:     hidden_grid_dims
      - .offset:         208
        .size:           8
        .value_kind:     hidden_hostcall_buffer
    .group_segment_fixed_size: 0
    .kernarg_segment_align: 8
    .kernarg_segment_size: 384
    .language:       OpenCL C
    .language_version:
      - 2
      - 0
    .max_flat_workgroup_size: 128
    .name:           _ZL13mul_mat_f_idsIfLi32ELi4ELi2EEvPKT_PKfPKiS6_S6_Pfiiiiiiiiiiiiii15HIP_vector_typeIjLj3EES9_
    .private_segment_fixed_size: 16
    .sgpr_count:     40
    .sgpr_spill_count: 0
    .symbol:         _ZL13mul_mat_f_idsIfLi32ELi4ELi2EEvPKT_PKfPKiS6_S6_Pfiiiiiiiiiiiiii15HIP_vector_typeIjLj3EES9_.kd
    .uniform_work_group_size: 1
    .uses_dynamic_stack: false
    .vgpr_count:     41
    .vgpr_spill_count: 0
    .wavefront_size: 64
  - .agpr_count:     0
    .args:
      - .actual_access:  read_only
        .address_space:  global
        .offset:         0
        .size:           8
        .value_kind:     global_buffer
      - .actual_access:  read_only
        .address_space:  global
        .offset:         8
        .size:           8
        .value_kind:     global_buffer
      - .actual_access:  read_only
        .address_space:  global
        .offset:         16
        .size:           8
        .value_kind:     global_buffer
      - .actual_access:  read_only
        .address_space:  global
        .offset:         24
        .size:           8
        .value_kind:     global_buffer
      - .offset:         32
        .size:           4
        .value_kind:     by_value
      - .offset:         36
        .size:           4
        .value_kind:     by_value
      - .offset:         40
        .size:           4
        .value_kind:     by_value
      - .offset:         44
        .size:           4
        .value_kind:     by_value
      - .offset:         48
        .size:           4
        .value_kind:     by_value
      - .offset:         52
        .size:           4
        .value_kind:     by_value
      - .offset:         56
        .size:           4
        .value_kind:     by_value
      - .offset:         60
        .size:           4
        .value_kind:     by_value
      - .offset:         64
        .size:           4
        .value_kind:     by_value
      - .offset:         68
        .size:           4
        .value_kind:     by_value
      - .offset:         72
        .size:           4
        .value_kind:     by_value
      - .offset:         76
        .size:           4
        .value_kind:     by_value
      - .offset:         80
        .size:           4
        .value_kind:     by_value
      - .offset:         84
        .size:           4
        .value_kind:     by_value
      - .offset:         88
        .size:           4
        .value_kind:     by_value
      - .offset:         92
        .size:           4
        .value_kind:     by_value
      - .offset:         96
        .size:           4
        .value_kind:     hidden_block_count_x
      - .offset:         100
        .size:           4
        .value_kind:     hidden_block_count_y
      - .offset:         104
        .size:           4
        .value_kind:     hidden_block_count_z
      - .offset:         108
        .size:           2
        .value_kind:     hidden_group_size_x
      - .offset:         110
        .size:           2
        .value_kind:     hidden_group_size_y
      - .offset:         112
        .size:           2
        .value_kind:     hidden_group_size_z
      - .offset:         114
        .size:           2
        .value_kind:     hidden_remainder_x
      - .offset:         116
        .size:           2
        .value_kind:     hidden_remainder_y
      - .offset:         118
        .size:           2
        .value_kind:     hidden_remainder_z
      - .offset:         136
        .size:           8
        .value_kind:     hidden_global_offset_x
      - .offset:         144
        .size:           8
        .value_kind:     hidden_global_offset_y
      - .offset:         152
        .size:           8
        .value_kind:     hidden_global_offset_z
      - .offset:         160
        .size:           2
        .value_kind:     hidden_grid_dims
      - .offset:         176
        .size:           8
        .value_kind:     hidden_hostcall_buffer
    .group_segment_fixed_size: 0
    .kernarg_segment_align: 8
    .kernarg_segment_size: 352
    .language:       OpenCL C
    .language_version:
      - 2
      - 0
    .max_flat_workgroup_size: 128
    .name:           _ZL9mul_mat_fIfLi32ELi4ELi2ELb1EEvPKT_PKfPKiPfiiiiiiiiiiiiiiii
    .private_segment_fixed_size: 16
    .sgpr_count:     40
    .sgpr_spill_count: 0
    .symbol:         _ZL9mul_mat_fIfLi32ELi4ELi2ELb1EEvPKT_PKfPKiPfiiiiiiiiiiiiiiii.kd
    .uniform_work_group_size: 1
    .uses_dynamic_stack: false
    .vgpr_count:     41
    .vgpr_spill_count: 0
    .wavefront_size: 64
  - .agpr_count:     0
    .args:
      - .actual_access:  read_only
        .address_space:  global
        .offset:         0
        .size:           8
        .value_kind:     global_buffer
      - .actual_access:  read_only
        .address_space:  global
        .offset:         8
        .size:           8
        .value_kind:     global_buffer
      - .actual_access:  read_only
        .address_space:  global
        .offset:         16
        .size:           8
        .value_kind:     global_buffer
      - .actual_access:  read_only
        .address_space:  global
        .offset:         24
        .size:           8
        .value_kind:     global_buffer
      - .offset:         32
        .size:           4
        .value_kind:     by_value
      - .offset:         36
        .size:           4
        .value_kind:     by_value
      - .offset:         40
        .size:           4
        .value_kind:     by_value
      - .offset:         44
        .size:           4
        .value_kind:     by_value
      - .offset:         48
        .size:           4
        .value_kind:     by_value
      - .offset:         52
        .size:           4
        .value_kind:     by_value
      - .offset:         56
        .size:           4
        .value_kind:     by_value
      - .offset:         60
        .size:           4
        .value_kind:     by_value
      - .offset:         64
        .size:           4
        .value_kind:     by_value
      - .offset:         68
        .size:           4
        .value_kind:     by_value
      - .offset:         72
        .size:           4
        .value_kind:     by_value
      - .offset:         76
        .size:           4
        .value_kind:     by_value
      - .offset:         80
        .size:           4
        .value_kind:     by_value
      - .offset:         84
        .size:           4
        .value_kind:     by_value
      - .offset:         88
        .size:           4
        .value_kind:     by_value
      - .offset:         92
        .size:           4
        .value_kind:     by_value
      - .offset:         96
        .size:           4
        .value_kind:     hidden_block_count_x
      - .offset:         100
        .size:           4
        .value_kind:     hidden_block_count_y
      - .offset:         104
        .size:           4
        .value_kind:     hidden_block_count_z
      - .offset:         108
        .size:           2
        .value_kind:     hidden_group_size_x
      - .offset:         110
        .size:           2
        .value_kind:     hidden_group_size_y
      - .offset:         112
        .size:           2
        .value_kind:     hidden_group_size_z
      - .offset:         114
        .size:           2
        .value_kind:     hidden_remainder_x
      - .offset:         116
        .size:           2
        .value_kind:     hidden_remainder_y
      - .offset:         118
        .size:           2
        .value_kind:     hidden_remainder_z
      - .offset:         136
        .size:           8
        .value_kind:     hidden_global_offset_x
      - .offset:         144
        .size:           8
        .value_kind:     hidden_global_offset_y
      - .offset:         152
        .size:           8
        .value_kind:     hidden_global_offset_z
      - .offset:         160
        .size:           2
        .value_kind:     hidden_grid_dims
      - .offset:         176
        .size:           8
        .value_kind:     hidden_hostcall_buffer
    .group_segment_fixed_size: 0
    .kernarg_segment_align: 8
    .kernarg_segment_size: 352
    .language:       OpenCL C
    .language_version:
      - 2
      - 0
    .max_flat_workgroup_size: 128
    .name:           _ZL9mul_mat_fIfLi32ELi4ELi2ELb0EEvPKT_PKfPKiPfiiiiiiiiiiiiiiii
    .private_segment_fixed_size: 16
    .sgpr_count:     40
    .sgpr_spill_count: 0
    .symbol:         _ZL9mul_mat_fIfLi32ELi4ELi2ELb0EEvPKT_PKfPKiPfiiiiiiiiiiiiiiii.kd
    .uniform_work_group_size: 1
    .uses_dynamic_stack: false
    .vgpr_count:     41
    .vgpr_spill_count: 0
    .wavefront_size: 64
  - .agpr_count:     0
    .args:
      - .actual_access:  read_only
        .address_space:  global
        .offset:         0
        .size:           8
        .value_kind:     global_buffer
      - .actual_access:  read_only
        .address_space:  global
        .offset:         8
        .size:           8
        .value_kind:     global_buffer
      - .actual_access:  read_only
        .address_space:  global
        .offset:         16
        .size:           8
        .value_kind:     global_buffer
      - .actual_access:  read_only
        .address_space:  global
        .offset:         24
        .size:           8
        .value_kind:     global_buffer
      - .actual_access:  read_only
        .address_space:  global
        .offset:         32
        .size:           8
        .value_kind:     global_buffer
      - .actual_access:  read_only
        .address_space:  global
        .offset:         40
        .size:           8
        .value_kind:     global_buffer
      - .offset:         48
        .size:           4
        .value_kind:     by_value
      - .offset:         52
        .size:           4
        .value_kind:     by_value
      - .offset:         56
        .size:           4
        .value_kind:     by_value
      - .offset:         60
        .size:           4
        .value_kind:     by_value
      - .offset:         64
        .size:           4
        .value_kind:     by_value
      - .offset:         68
        .size:           4
        .value_kind:     by_value
      - .offset:         72
        .size:           4
        .value_kind:     by_value
      - .offset:         76
        .size:           4
        .value_kind:     by_value
      - .offset:         80
        .size:           4
        .value_kind:     by_value
      - .offset:         84
        .size:           4
        .value_kind:     by_value
      - .offset:         88
        .size:           4
        .value_kind:     by_value
      - .offset:         92
        .size:           4
        .value_kind:     by_value
      - .offset:         96
        .size:           4
        .value_kind:     by_value
      - .offset:         100
        .size:           4
        .value_kind:     by_value
      - .offset:         104
        .size:           12
        .value_kind:     by_value
      - .offset:         116
        .size:           12
        .value_kind:     by_value
      - .offset:         128
        .size:           4
        .value_kind:     hidden_block_count_x
      - .offset:         132
        .size:           4
        .value_kind:     hidden_block_count_y
      - .offset:         136
        .size:           4
        .value_kind:     hidden_block_count_z
      - .offset:         140
        .size:           2
        .value_kind:     hidden_group_size_x
      - .offset:         142
        .size:           2
        .value_kind:     hidden_group_size_y
      - .offset:         144
        .size:           2
        .value_kind:     hidden_group_size_z
      - .offset:         146
        .size:           2
        .value_kind:     hidden_remainder_x
      - .offset:         148
        .size:           2
        .value_kind:     hidden_remainder_y
      - .offset:         150
        .size:           2
        .value_kind:     hidden_remainder_z
      - .offset:         168
        .size:           8
        .value_kind:     hidden_global_offset_x
      - .offset:         176
        .size:           8
        .value_kind:     hidden_global_offset_y
      - .offset:         184
        .size:           8
        .value_kind:     hidden_global_offset_z
      - .offset:         192
        .size:           2
        .value_kind:     hidden_grid_dims
      - .offset:         208
        .size:           8
        .value_kind:     hidden_hostcall_buffer
    .group_segment_fixed_size: 0
    .kernarg_segment_align: 8
    .kernarg_segment_size: 384
    .language:       OpenCL C
    .language_version:
      - 2
      - 0
    .max_flat_workgroup_size: 192
    .name:           _ZL13mul_mat_f_idsIfLi32ELi4ELi3EEvPKT_PKfPKiS6_S6_Pfiiiiiiiiiiiiii15HIP_vector_typeIjLj3EES9_
    .private_segment_fixed_size: 16
    .sgpr_count:     40
    .sgpr_spill_count: 0
    .symbol:         _ZL13mul_mat_f_idsIfLi32ELi4ELi3EEvPKT_PKfPKiS6_S6_Pfiiiiiiiiiiiiii15HIP_vector_typeIjLj3EES9_.kd
    .uniform_work_group_size: 1
    .uses_dynamic_stack: false
    .vgpr_count:     41
    .vgpr_spill_count: 0
    .wavefront_size: 64
  - .agpr_count:     0
    .args:
      - .actual_access:  read_only
        .address_space:  global
        .offset:         0
        .size:           8
        .value_kind:     global_buffer
      - .actual_access:  read_only
        .address_space:  global
        .offset:         8
        .size:           8
        .value_kind:     global_buffer
      - .actual_access:  read_only
        .address_space:  global
        .offset:         16
        .size:           8
        .value_kind:     global_buffer
      - .actual_access:  read_only
        .address_space:  global
        .offset:         24
        .size:           8
        .value_kind:     global_buffer
      - .offset:         32
        .size:           4
        .value_kind:     by_value
      - .offset:         36
        .size:           4
        .value_kind:     by_value
      - .offset:         40
        .size:           4
        .value_kind:     by_value
      - .offset:         44
        .size:           4
        .value_kind:     by_value
      - .offset:         48
        .size:           4
        .value_kind:     by_value
      - .offset:         52
        .size:           4
        .value_kind:     by_value
      - .offset:         56
        .size:           4
        .value_kind:     by_value
      - .offset:         60
        .size:           4
        .value_kind:     by_value
      - .offset:         64
        .size:           4
        .value_kind:     by_value
      - .offset:         68
        .size:           4
        .value_kind:     by_value
      - .offset:         72
        .size:           4
        .value_kind:     by_value
      - .offset:         76
        .size:           4
        .value_kind:     by_value
      - .offset:         80
        .size:           4
        .value_kind:     by_value
      - .offset:         84
        .size:           4
        .value_kind:     by_value
      - .offset:         88
        .size:           4
        .value_kind:     by_value
      - .offset:         92
        .size:           4
        .value_kind:     by_value
      - .offset:         96
        .size:           4
        .value_kind:     hidden_block_count_x
      - .offset:         100
        .size:           4
        .value_kind:     hidden_block_count_y
      - .offset:         104
        .size:           4
        .value_kind:     hidden_block_count_z
      - .offset:         108
        .size:           2
        .value_kind:     hidden_group_size_x
      - .offset:         110
        .size:           2
        .value_kind:     hidden_group_size_y
      - .offset:         112
        .size:           2
        .value_kind:     hidden_group_size_z
      - .offset:         114
        .size:           2
        .value_kind:     hidden_remainder_x
      - .offset:         116
        .size:           2
        .value_kind:     hidden_remainder_y
      - .offset:         118
        .size:           2
        .value_kind:     hidden_remainder_z
      - .offset:         136
        .size:           8
        .value_kind:     hidden_global_offset_x
      - .offset:         144
        .size:           8
        .value_kind:     hidden_global_offset_y
      - .offset:         152
        .size:           8
        .value_kind:     hidden_global_offset_z
      - .offset:         160
        .size:           2
        .value_kind:     hidden_grid_dims
      - .offset:         176
        .size:           8
        .value_kind:     hidden_hostcall_buffer
    .group_segment_fixed_size: 0
    .kernarg_segment_align: 8
    .kernarg_segment_size: 352
    .language:       OpenCL C
    .language_version:
      - 2
      - 0
    .max_flat_workgroup_size: 192
    .name:           _ZL9mul_mat_fIfLi32ELi4ELi3ELb1EEvPKT_PKfPKiPfiiiiiiiiiiiiiiii
    .private_segment_fixed_size: 16
    .sgpr_count:     40
    .sgpr_spill_count: 0
    .symbol:         _ZL9mul_mat_fIfLi32ELi4ELi3ELb1EEvPKT_PKfPKiPfiiiiiiiiiiiiiiii.kd
    .uniform_work_group_size: 1
    .uses_dynamic_stack: false
    .vgpr_count:     41
    .vgpr_spill_count: 0
    .wavefront_size: 64
  - .agpr_count:     0
    .args:
      - .actual_access:  read_only
        .address_space:  global
        .offset:         0
        .size:           8
        .value_kind:     global_buffer
      - .actual_access:  read_only
        .address_space:  global
        .offset:         8
        .size:           8
        .value_kind:     global_buffer
      - .actual_access:  read_only
        .address_space:  global
        .offset:         16
        .size:           8
        .value_kind:     global_buffer
      - .actual_access:  read_only
        .address_space:  global
        .offset:         24
        .size:           8
        .value_kind:     global_buffer
      - .offset:         32
        .size:           4
        .value_kind:     by_value
      - .offset:         36
        .size:           4
        .value_kind:     by_value
      - .offset:         40
        .size:           4
        .value_kind:     by_value
      - .offset:         44
        .size:           4
        .value_kind:     by_value
      - .offset:         48
        .size:           4
        .value_kind:     by_value
      - .offset:         52
        .size:           4
        .value_kind:     by_value
      - .offset:         56
        .size:           4
        .value_kind:     by_value
      - .offset:         60
        .size:           4
        .value_kind:     by_value
      - .offset:         64
        .size:           4
        .value_kind:     by_value
      - .offset:         68
        .size:           4
        .value_kind:     by_value
      - .offset:         72
        .size:           4
        .value_kind:     by_value
      - .offset:         76
        .size:           4
        .value_kind:     by_value
      - .offset:         80
        .size:           4
        .value_kind:     by_value
      - .offset:         84
        .size:           4
        .value_kind:     by_value
      - .offset:         88
        .size:           4
        .value_kind:     by_value
      - .offset:         92
        .size:           4
        .value_kind:     by_value
      - .offset:         96
        .size:           4
        .value_kind:     hidden_block_count_x
      - .offset:         100
        .size:           4
        .value_kind:     hidden_block_count_y
      - .offset:         104
        .size:           4
        .value_kind:     hidden_block_count_z
      - .offset:         108
        .size:           2
        .value_kind:     hidden_group_size_x
      - .offset:         110
        .size:           2
        .value_kind:     hidden_group_size_y
      - .offset:         112
        .size:           2
        .value_kind:     hidden_group_size_z
      - .offset:         114
        .size:           2
        .value_kind:     hidden_remainder_x
      - .offset:         116
        .size:           2
        .value_kind:     hidden_remainder_y
      - .offset:         118
        .size:           2
        .value_kind:     hidden_remainder_z
      - .offset:         136
        .size:           8
        .value_kind:     hidden_global_offset_x
      - .offset:         144
        .size:           8
        .value_kind:     hidden_global_offset_y
      - .offset:         152
        .size:           8
        .value_kind:     hidden_global_offset_z
      - .offset:         160
        .size:           2
        .value_kind:     hidden_grid_dims
      - .offset:         176
        .size:           8
        .value_kind:     hidden_hostcall_buffer
    .group_segment_fixed_size: 0
    .kernarg_segment_align: 8
    .kernarg_segment_size: 352
    .language:       OpenCL C
    .language_version:
      - 2
      - 0
    .max_flat_workgroup_size: 192
    .name:           _ZL9mul_mat_fIfLi32ELi4ELi3ELb0EEvPKT_PKfPKiPfiiiiiiiiiiiiiiii
    .private_segment_fixed_size: 16
    .sgpr_count:     40
    .sgpr_spill_count: 0
    .symbol:         _ZL9mul_mat_fIfLi32ELi4ELi3ELb0EEvPKT_PKfPKiPfiiiiiiiiiiiiiiii.kd
    .uniform_work_group_size: 1
    .uses_dynamic_stack: false
    .vgpr_count:     41
    .vgpr_spill_count: 0
    .wavefront_size: 64
  - .agpr_count:     0
    .args:
      - .actual_access:  read_only
        .address_space:  global
        .offset:         0
        .size:           8
        .value_kind:     global_buffer
      - .actual_access:  read_only
        .address_space:  global
        .offset:         8
        .size:           8
        .value_kind:     global_buffer
      - .actual_access:  read_only
        .address_space:  global
        .offset:         16
        .size:           8
        .value_kind:     global_buffer
      - .actual_access:  read_only
        .address_space:  global
        .offset:         24
        .size:           8
        .value_kind:     global_buffer
      - .actual_access:  read_only
        .address_space:  global
        .offset:         32
        .size:           8
        .value_kind:     global_buffer
      - .actual_access:  read_only
        .address_space:  global
        .offset:         40
        .size:           8
        .value_kind:     global_buffer
      - .offset:         48
        .size:           4
        .value_kind:     by_value
      - .offset:         52
        .size:           4
        .value_kind:     by_value
      - .offset:         56
        .size:           4
        .value_kind:     by_value
      - .offset:         60
        .size:           4
        .value_kind:     by_value
      - .offset:         64
        .size:           4
        .value_kind:     by_value
      - .offset:         68
        .size:           4
        .value_kind:     by_value
      - .offset:         72
        .size:           4
        .value_kind:     by_value
      - .offset:         76
        .size:           4
        .value_kind:     by_value
      - .offset:         80
        .size:           4
        .value_kind:     by_value
      - .offset:         84
        .size:           4
        .value_kind:     by_value
      - .offset:         88
        .size:           4
        .value_kind:     by_value
      - .offset:         92
        .size:           4
        .value_kind:     by_value
      - .offset:         96
        .size:           4
        .value_kind:     by_value
      - .offset:         100
        .size:           4
        .value_kind:     by_value
      - .offset:         104
        .size:           12
        .value_kind:     by_value
      - .offset:         116
        .size:           12
        .value_kind:     by_value
      - .offset:         128
        .size:           4
        .value_kind:     hidden_block_count_x
      - .offset:         132
        .size:           4
        .value_kind:     hidden_block_count_y
      - .offset:         136
        .size:           4
        .value_kind:     hidden_block_count_z
      - .offset:         140
        .size:           2
        .value_kind:     hidden_group_size_x
      - .offset:         142
        .size:           2
        .value_kind:     hidden_group_size_y
      - .offset:         144
        .size:           2
        .value_kind:     hidden_group_size_z
      - .offset:         146
        .size:           2
        .value_kind:     hidden_remainder_x
      - .offset:         148
        .size:           2
        .value_kind:     hidden_remainder_y
      - .offset:         150
        .size:           2
        .value_kind:     hidden_remainder_z
      - .offset:         168
        .size:           8
        .value_kind:     hidden_global_offset_x
      - .offset:         176
        .size:           8
        .value_kind:     hidden_global_offset_y
      - .offset:         184
        .size:           8
        .value_kind:     hidden_global_offset_z
      - .offset:         192
        .size:           2
        .value_kind:     hidden_grid_dims
      - .offset:         208
        .size:           8
        .value_kind:     hidden_hostcall_buffer
    .group_segment_fixed_size: 0
    .kernarg_segment_align: 8
    .kernarg_segment_size: 384
    .language:       OpenCL C
    .language_version:
      - 2
      - 0
    .max_flat_workgroup_size: 256
    .name:           _ZL13mul_mat_f_idsIfLi32ELi4ELi4EEvPKT_PKfPKiS6_S6_Pfiiiiiiiiiiiiii15HIP_vector_typeIjLj3EES9_
    .private_segment_fixed_size: 16
    .sgpr_count:     40
    .sgpr_spill_count: 0
    .symbol:         _ZL13mul_mat_f_idsIfLi32ELi4ELi4EEvPKT_PKfPKiS6_S6_Pfiiiiiiiiiiiiii15HIP_vector_typeIjLj3EES9_.kd
    .uniform_work_group_size: 1
    .uses_dynamic_stack: false
    .vgpr_count:     41
    .vgpr_spill_count: 0
    .wavefront_size: 64
  - .agpr_count:     0
    .args:
      - .actual_access:  read_only
        .address_space:  global
        .offset:         0
        .size:           8
        .value_kind:     global_buffer
      - .actual_access:  read_only
        .address_space:  global
        .offset:         8
        .size:           8
        .value_kind:     global_buffer
      - .actual_access:  read_only
        .address_space:  global
        .offset:         16
        .size:           8
        .value_kind:     global_buffer
      - .actual_access:  read_only
        .address_space:  global
        .offset:         24
        .size:           8
        .value_kind:     global_buffer
      - .offset:         32
        .size:           4
        .value_kind:     by_value
      - .offset:         36
        .size:           4
        .value_kind:     by_value
      - .offset:         40
        .size:           4
        .value_kind:     by_value
      - .offset:         44
        .size:           4
        .value_kind:     by_value
      - .offset:         48
        .size:           4
        .value_kind:     by_value
      - .offset:         52
        .size:           4
        .value_kind:     by_value
      - .offset:         56
        .size:           4
        .value_kind:     by_value
      - .offset:         60
        .size:           4
        .value_kind:     by_value
      - .offset:         64
        .size:           4
        .value_kind:     by_value
      - .offset:         68
        .size:           4
        .value_kind:     by_value
      - .offset:         72
        .size:           4
        .value_kind:     by_value
      - .offset:         76
        .size:           4
        .value_kind:     by_value
      - .offset:         80
        .size:           4
        .value_kind:     by_value
      - .offset:         84
        .size:           4
        .value_kind:     by_value
      - .offset:         88
        .size:           4
        .value_kind:     by_value
      - .offset:         92
        .size:           4
        .value_kind:     by_value
      - .offset:         96
        .size:           4
        .value_kind:     hidden_block_count_x
      - .offset:         100
        .size:           4
        .value_kind:     hidden_block_count_y
      - .offset:         104
        .size:           4
        .value_kind:     hidden_block_count_z
      - .offset:         108
        .size:           2
        .value_kind:     hidden_group_size_x
      - .offset:         110
        .size:           2
        .value_kind:     hidden_group_size_y
      - .offset:         112
        .size:           2
        .value_kind:     hidden_group_size_z
      - .offset:         114
        .size:           2
        .value_kind:     hidden_remainder_x
      - .offset:         116
        .size:           2
        .value_kind:     hidden_remainder_y
      - .offset:         118
        .size:           2
        .value_kind:     hidden_remainder_z
      - .offset:         136
        .size:           8
        .value_kind:     hidden_global_offset_x
      - .offset:         144
        .size:           8
        .value_kind:     hidden_global_offset_y
      - .offset:         152
        .size:           8
        .value_kind:     hidden_global_offset_z
      - .offset:         160
        .size:           2
        .value_kind:     hidden_grid_dims
      - .offset:         176
        .size:           8
        .value_kind:     hidden_hostcall_buffer
    .group_segment_fixed_size: 0
    .kernarg_segment_align: 8
    .kernarg_segment_size: 352
    .language:       OpenCL C
    .language_version:
      - 2
      - 0
    .max_flat_workgroup_size: 256
    .name:           _ZL9mul_mat_fIfLi32ELi4ELi4ELb1EEvPKT_PKfPKiPfiiiiiiiiiiiiiiii
    .private_segment_fixed_size: 16
    .sgpr_count:     40
    .sgpr_spill_count: 0
    .symbol:         _ZL9mul_mat_fIfLi32ELi4ELi4ELb1EEvPKT_PKfPKiPfiiiiiiiiiiiiiiii.kd
    .uniform_work_group_size: 1
    .uses_dynamic_stack: false
    .vgpr_count:     41
    .vgpr_spill_count: 0
    .wavefront_size: 64
  - .agpr_count:     0
    .args:
      - .actual_access:  read_only
        .address_space:  global
        .offset:         0
        .size:           8
        .value_kind:     global_buffer
      - .actual_access:  read_only
        .address_space:  global
        .offset:         8
        .size:           8
        .value_kind:     global_buffer
      - .actual_access:  read_only
        .address_space:  global
        .offset:         16
        .size:           8
        .value_kind:     global_buffer
      - .actual_access:  read_only
        .address_space:  global
        .offset:         24
        .size:           8
        .value_kind:     global_buffer
      - .offset:         32
        .size:           4
        .value_kind:     by_value
      - .offset:         36
        .size:           4
        .value_kind:     by_value
      - .offset:         40
        .size:           4
        .value_kind:     by_value
      - .offset:         44
        .size:           4
        .value_kind:     by_value
      - .offset:         48
        .size:           4
        .value_kind:     by_value
      - .offset:         52
        .size:           4
        .value_kind:     by_value
      - .offset:         56
        .size:           4
        .value_kind:     by_value
      - .offset:         60
        .size:           4
        .value_kind:     by_value
      - .offset:         64
        .size:           4
        .value_kind:     by_value
      - .offset:         68
        .size:           4
        .value_kind:     by_value
      - .offset:         72
        .size:           4
        .value_kind:     by_value
      - .offset:         76
        .size:           4
        .value_kind:     by_value
      - .offset:         80
        .size:           4
        .value_kind:     by_value
      - .offset:         84
        .size:           4
        .value_kind:     by_value
      - .offset:         88
        .size:           4
        .value_kind:     by_value
      - .offset:         92
        .size:           4
        .value_kind:     by_value
      - .offset:         96
        .size:           4
        .value_kind:     hidden_block_count_x
      - .offset:         100
        .size:           4
        .value_kind:     hidden_block_count_y
      - .offset:         104
        .size:           4
        .value_kind:     hidden_block_count_z
      - .offset:         108
        .size:           2
        .value_kind:     hidden_group_size_x
      - .offset:         110
        .size:           2
        .value_kind:     hidden_group_size_y
      - .offset:         112
        .size:           2
        .value_kind:     hidden_group_size_z
      - .offset:         114
        .size:           2
        .value_kind:     hidden_remainder_x
      - .offset:         116
        .size:           2
        .value_kind:     hidden_remainder_y
      - .offset:         118
        .size:           2
        .value_kind:     hidden_remainder_z
      - .offset:         136
        .size:           8
        .value_kind:     hidden_global_offset_x
      - .offset:         144
        .size:           8
        .value_kind:     hidden_global_offset_y
      - .offset:         152
        .size:           8
        .value_kind:     hidden_global_offset_z
      - .offset:         160
        .size:           2
        .value_kind:     hidden_grid_dims
      - .offset:         176
        .size:           8
        .value_kind:     hidden_hostcall_buffer
    .group_segment_fixed_size: 0
    .kernarg_segment_align: 8
    .kernarg_segment_size: 352
    .language:       OpenCL C
    .language_version:
      - 2
      - 0
    .max_flat_workgroup_size: 256
    .name:           _ZL9mul_mat_fIfLi32ELi4ELi4ELb0EEvPKT_PKfPKiPfiiiiiiiiiiiiiiii
    .private_segment_fixed_size: 16
    .sgpr_count:     40
    .sgpr_spill_count: 0
    .symbol:         _ZL9mul_mat_fIfLi32ELi4ELi4ELb0EEvPKT_PKfPKiPfiiiiiiiiiiiiiiii.kd
    .uniform_work_group_size: 1
    .uses_dynamic_stack: false
    .vgpr_count:     41
    .vgpr_spill_count: 0
    .wavefront_size: 64
  - .agpr_count:     0
    .args:
      - .actual_access:  read_only
        .address_space:  global
        .offset:         0
        .size:           8
        .value_kind:     global_buffer
      - .actual_access:  read_only
        .address_space:  global
        .offset:         8
        .size:           8
        .value_kind:     global_buffer
      - .actual_access:  read_only
        .address_space:  global
        .offset:         16
        .size:           8
        .value_kind:     global_buffer
      - .actual_access:  read_only
        .address_space:  global
        .offset:         24
        .size:           8
        .value_kind:     global_buffer
      - .actual_access:  read_only
        .address_space:  global
        .offset:         32
        .size:           8
        .value_kind:     global_buffer
      - .actual_access:  read_only
        .address_space:  global
        .offset:         40
        .size:           8
        .value_kind:     global_buffer
      - .offset:         48
        .size:           4
        .value_kind:     by_value
      - .offset:         52
        .size:           4
        .value_kind:     by_value
      - .offset:         56
        .size:           4
        .value_kind:     by_value
      - .offset:         60
        .size:           4
        .value_kind:     by_value
      - .offset:         64
        .size:           4
        .value_kind:     by_value
      - .offset:         68
        .size:           4
        .value_kind:     by_value
      - .offset:         72
        .size:           4
        .value_kind:     by_value
      - .offset:         76
        .size:           4
        .value_kind:     by_value
      - .offset:         80
        .size:           4
        .value_kind:     by_value
      - .offset:         84
        .size:           4
        .value_kind:     by_value
      - .offset:         88
        .size:           4
        .value_kind:     by_value
      - .offset:         92
        .size:           4
        .value_kind:     by_value
      - .offset:         96
        .size:           4
        .value_kind:     by_value
      - .offset:         100
        .size:           4
        .value_kind:     by_value
      - .offset:         104
        .size:           12
        .value_kind:     by_value
      - .offset:         116
        .size:           12
        .value_kind:     by_value
      - .offset:         128
        .size:           4
        .value_kind:     hidden_block_count_x
      - .offset:         132
        .size:           4
        .value_kind:     hidden_block_count_y
      - .offset:         136
        .size:           4
        .value_kind:     hidden_block_count_z
      - .offset:         140
        .size:           2
        .value_kind:     hidden_group_size_x
      - .offset:         142
        .size:           2
        .value_kind:     hidden_group_size_y
      - .offset:         144
        .size:           2
        .value_kind:     hidden_group_size_z
      - .offset:         146
        .size:           2
        .value_kind:     hidden_remainder_x
      - .offset:         148
        .size:           2
        .value_kind:     hidden_remainder_y
      - .offset:         150
        .size:           2
        .value_kind:     hidden_remainder_z
      - .offset:         168
        .size:           8
        .value_kind:     hidden_global_offset_x
      - .offset:         176
        .size:           8
        .value_kind:     hidden_global_offset_y
      - .offset:         184
        .size:           8
        .value_kind:     hidden_global_offset_z
      - .offset:         192
        .size:           2
        .value_kind:     hidden_grid_dims
      - .offset:         208
        .size:           8
        .value_kind:     hidden_hostcall_buffer
    .group_segment_fixed_size: 0
    .kernarg_segment_align: 8
    .kernarg_segment_size: 384
    .language:       OpenCL C
    .language_version:
      - 2
      - 0
    .max_flat_workgroup_size: 320
    .name:           _ZL13mul_mat_f_idsIfLi32ELi4ELi5EEvPKT_PKfPKiS6_S6_Pfiiiiiiiiiiiiii15HIP_vector_typeIjLj3EES9_
    .private_segment_fixed_size: 16
    .sgpr_count:     40
    .sgpr_spill_count: 0
    .symbol:         _ZL13mul_mat_f_idsIfLi32ELi4ELi5EEvPKT_PKfPKiS6_S6_Pfiiiiiiiiiiiiii15HIP_vector_typeIjLj3EES9_.kd
    .uniform_work_group_size: 1
    .uses_dynamic_stack: false
    .vgpr_count:     41
    .vgpr_spill_count: 0
    .wavefront_size: 64
  - .agpr_count:     0
    .args:
      - .actual_access:  read_only
        .address_space:  global
        .offset:         0
        .size:           8
        .value_kind:     global_buffer
      - .actual_access:  read_only
        .address_space:  global
        .offset:         8
        .size:           8
        .value_kind:     global_buffer
      - .actual_access:  read_only
        .address_space:  global
        .offset:         16
        .size:           8
        .value_kind:     global_buffer
      - .actual_access:  read_only
        .address_space:  global
        .offset:         24
        .size:           8
        .value_kind:     global_buffer
      - .offset:         32
        .size:           4
        .value_kind:     by_value
      - .offset:         36
        .size:           4
        .value_kind:     by_value
      - .offset:         40
        .size:           4
        .value_kind:     by_value
      - .offset:         44
        .size:           4
        .value_kind:     by_value
      - .offset:         48
        .size:           4
        .value_kind:     by_value
      - .offset:         52
        .size:           4
        .value_kind:     by_value
      - .offset:         56
        .size:           4
        .value_kind:     by_value
      - .offset:         60
        .size:           4
        .value_kind:     by_value
      - .offset:         64
        .size:           4
        .value_kind:     by_value
      - .offset:         68
        .size:           4
        .value_kind:     by_value
      - .offset:         72
        .size:           4
        .value_kind:     by_value
      - .offset:         76
        .size:           4
        .value_kind:     by_value
      - .offset:         80
        .size:           4
        .value_kind:     by_value
      - .offset:         84
        .size:           4
        .value_kind:     by_value
      - .offset:         88
        .size:           4
        .value_kind:     by_value
      - .offset:         92
        .size:           4
        .value_kind:     by_value
      - .offset:         96
        .size:           4
        .value_kind:     hidden_block_count_x
      - .offset:         100
        .size:           4
        .value_kind:     hidden_block_count_y
      - .offset:         104
        .size:           4
        .value_kind:     hidden_block_count_z
      - .offset:         108
        .size:           2
        .value_kind:     hidden_group_size_x
      - .offset:         110
        .size:           2
        .value_kind:     hidden_group_size_y
      - .offset:         112
        .size:           2
        .value_kind:     hidden_group_size_z
      - .offset:         114
        .size:           2
        .value_kind:     hidden_remainder_x
      - .offset:         116
        .size:           2
        .value_kind:     hidden_remainder_y
      - .offset:         118
        .size:           2
        .value_kind:     hidden_remainder_z
      - .offset:         136
        .size:           8
        .value_kind:     hidden_global_offset_x
      - .offset:         144
        .size:           8
        .value_kind:     hidden_global_offset_y
      - .offset:         152
        .size:           8
        .value_kind:     hidden_global_offset_z
      - .offset:         160
        .size:           2
        .value_kind:     hidden_grid_dims
      - .offset:         176
        .size:           8
        .value_kind:     hidden_hostcall_buffer
    .group_segment_fixed_size: 0
    .kernarg_segment_align: 8
    .kernarg_segment_size: 352
    .language:       OpenCL C
    .language_version:
      - 2
      - 0
    .max_flat_workgroup_size: 320
    .name:           _ZL9mul_mat_fIfLi32ELi4ELi5ELb1EEvPKT_PKfPKiPfiiiiiiiiiiiiiiii
    .private_segment_fixed_size: 16
    .sgpr_count:     40
    .sgpr_spill_count: 0
    .symbol:         _ZL9mul_mat_fIfLi32ELi4ELi5ELb1EEvPKT_PKfPKiPfiiiiiiiiiiiiiiii.kd
    .uniform_work_group_size: 1
    .uses_dynamic_stack: false
    .vgpr_count:     41
    .vgpr_spill_count: 0
    .wavefront_size: 64
  - .agpr_count:     0
    .args:
      - .actual_access:  read_only
        .address_space:  global
        .offset:         0
        .size:           8
        .value_kind:     global_buffer
      - .actual_access:  read_only
        .address_space:  global
        .offset:         8
        .size:           8
        .value_kind:     global_buffer
      - .actual_access:  read_only
        .address_space:  global
        .offset:         16
        .size:           8
        .value_kind:     global_buffer
      - .actual_access:  read_only
        .address_space:  global
        .offset:         24
        .size:           8
        .value_kind:     global_buffer
      - .offset:         32
        .size:           4
        .value_kind:     by_value
      - .offset:         36
        .size:           4
        .value_kind:     by_value
      - .offset:         40
        .size:           4
        .value_kind:     by_value
      - .offset:         44
        .size:           4
        .value_kind:     by_value
      - .offset:         48
        .size:           4
        .value_kind:     by_value
      - .offset:         52
        .size:           4
        .value_kind:     by_value
      - .offset:         56
        .size:           4
        .value_kind:     by_value
      - .offset:         60
        .size:           4
        .value_kind:     by_value
      - .offset:         64
        .size:           4
        .value_kind:     by_value
      - .offset:         68
        .size:           4
        .value_kind:     by_value
      - .offset:         72
        .size:           4
        .value_kind:     by_value
      - .offset:         76
        .size:           4
        .value_kind:     by_value
      - .offset:         80
        .size:           4
        .value_kind:     by_value
      - .offset:         84
        .size:           4
        .value_kind:     by_value
      - .offset:         88
        .size:           4
        .value_kind:     by_value
      - .offset:         92
        .size:           4
        .value_kind:     by_value
      - .offset:         96
        .size:           4
        .value_kind:     hidden_block_count_x
      - .offset:         100
        .size:           4
        .value_kind:     hidden_block_count_y
      - .offset:         104
        .size:           4
        .value_kind:     hidden_block_count_z
      - .offset:         108
        .size:           2
        .value_kind:     hidden_group_size_x
      - .offset:         110
        .size:           2
        .value_kind:     hidden_group_size_y
      - .offset:         112
        .size:           2
        .value_kind:     hidden_group_size_z
      - .offset:         114
        .size:           2
        .value_kind:     hidden_remainder_x
      - .offset:         116
        .size:           2
        .value_kind:     hidden_remainder_y
      - .offset:         118
        .size:           2
        .value_kind:     hidden_remainder_z
      - .offset:         136
        .size:           8
        .value_kind:     hidden_global_offset_x
      - .offset:         144
        .size:           8
        .value_kind:     hidden_global_offset_y
      - .offset:         152
        .size:           8
        .value_kind:     hidden_global_offset_z
      - .offset:         160
        .size:           2
        .value_kind:     hidden_grid_dims
      - .offset:         176
        .size:           8
        .value_kind:     hidden_hostcall_buffer
    .group_segment_fixed_size: 0
    .kernarg_segment_align: 8
    .kernarg_segment_size: 352
    .language:       OpenCL C
    .language_version:
      - 2
      - 0
    .max_flat_workgroup_size: 320
    .name:           _ZL9mul_mat_fIfLi32ELi4ELi5ELb0EEvPKT_PKfPKiPfiiiiiiiiiiiiiiii
    .private_segment_fixed_size: 16
    .sgpr_count:     40
    .sgpr_spill_count: 0
    .symbol:         _ZL9mul_mat_fIfLi32ELi4ELi5ELb0EEvPKT_PKfPKiPfiiiiiiiiiiiiiiii.kd
    .uniform_work_group_size: 1
    .uses_dynamic_stack: false
    .vgpr_count:     41
    .vgpr_spill_count: 0
    .wavefront_size: 64
  - .agpr_count:     0
    .args:
      - .actual_access:  read_only
        .address_space:  global
        .offset:         0
        .size:           8
        .value_kind:     global_buffer
      - .actual_access:  read_only
        .address_space:  global
        .offset:         8
        .size:           8
        .value_kind:     global_buffer
      - .actual_access:  read_only
        .address_space:  global
        .offset:         16
        .size:           8
        .value_kind:     global_buffer
      - .actual_access:  read_only
        .address_space:  global
        .offset:         24
        .size:           8
        .value_kind:     global_buffer
      - .actual_access:  read_only
        .address_space:  global
        .offset:         32
        .size:           8
        .value_kind:     global_buffer
      - .actual_access:  read_only
        .address_space:  global
        .offset:         40
        .size:           8
        .value_kind:     global_buffer
      - .offset:         48
        .size:           4
        .value_kind:     by_value
      - .offset:         52
        .size:           4
        .value_kind:     by_value
      - .offset:         56
        .size:           4
        .value_kind:     by_value
      - .offset:         60
        .size:           4
        .value_kind:     by_value
      - .offset:         64
        .size:           4
        .value_kind:     by_value
      - .offset:         68
        .size:           4
        .value_kind:     by_value
      - .offset:         72
        .size:           4
        .value_kind:     by_value
      - .offset:         76
        .size:           4
        .value_kind:     by_value
      - .offset:         80
        .size:           4
        .value_kind:     by_value
      - .offset:         84
        .size:           4
        .value_kind:     by_value
      - .offset:         88
        .size:           4
        .value_kind:     by_value
      - .offset:         92
        .size:           4
        .value_kind:     by_value
      - .offset:         96
        .size:           4
        .value_kind:     by_value
      - .offset:         100
        .size:           4
        .value_kind:     by_value
      - .offset:         104
        .size:           12
        .value_kind:     by_value
      - .offset:         116
        .size:           12
        .value_kind:     by_value
      - .offset:         128
        .size:           4
        .value_kind:     hidden_block_count_x
      - .offset:         132
        .size:           4
        .value_kind:     hidden_block_count_y
      - .offset:         136
        .size:           4
        .value_kind:     hidden_block_count_z
      - .offset:         140
        .size:           2
        .value_kind:     hidden_group_size_x
      - .offset:         142
        .size:           2
        .value_kind:     hidden_group_size_y
      - .offset:         144
        .size:           2
        .value_kind:     hidden_group_size_z
      - .offset:         146
        .size:           2
        .value_kind:     hidden_remainder_x
      - .offset:         148
        .size:           2
        .value_kind:     hidden_remainder_y
      - .offset:         150
        .size:           2
        .value_kind:     hidden_remainder_z
      - .offset:         168
        .size:           8
        .value_kind:     hidden_global_offset_x
      - .offset:         176
        .size:           8
        .value_kind:     hidden_global_offset_y
      - .offset:         184
        .size:           8
        .value_kind:     hidden_global_offset_z
      - .offset:         192
        .size:           2
        .value_kind:     hidden_grid_dims
      - .offset:         208
        .size:           8
        .value_kind:     hidden_hostcall_buffer
    .group_segment_fixed_size: 0
    .kernarg_segment_align: 8
    .kernarg_segment_size: 384
    .language:       OpenCL C
    .language_version:
      - 2
      - 0
    .max_flat_workgroup_size: 384
    .name:           _ZL13mul_mat_f_idsIfLi32ELi4ELi6EEvPKT_PKfPKiS6_S6_Pfiiiiiiiiiiiiii15HIP_vector_typeIjLj3EES9_
    .private_segment_fixed_size: 16
    .sgpr_count:     40
    .sgpr_spill_count: 0
    .symbol:         _ZL13mul_mat_f_idsIfLi32ELi4ELi6EEvPKT_PKfPKiS6_S6_Pfiiiiiiiiiiiiii15HIP_vector_typeIjLj3EES9_.kd
    .uniform_work_group_size: 1
    .uses_dynamic_stack: false
    .vgpr_count:     41
    .vgpr_spill_count: 0
    .wavefront_size: 64
  - .agpr_count:     0
    .args:
      - .actual_access:  read_only
        .address_space:  global
        .offset:         0
        .size:           8
        .value_kind:     global_buffer
      - .actual_access:  read_only
        .address_space:  global
        .offset:         8
        .size:           8
        .value_kind:     global_buffer
      - .actual_access:  read_only
        .address_space:  global
        .offset:         16
        .size:           8
        .value_kind:     global_buffer
      - .actual_access:  read_only
        .address_space:  global
        .offset:         24
        .size:           8
        .value_kind:     global_buffer
      - .offset:         32
        .size:           4
        .value_kind:     by_value
      - .offset:         36
        .size:           4
        .value_kind:     by_value
      - .offset:         40
        .size:           4
        .value_kind:     by_value
      - .offset:         44
        .size:           4
        .value_kind:     by_value
      - .offset:         48
        .size:           4
        .value_kind:     by_value
      - .offset:         52
        .size:           4
        .value_kind:     by_value
      - .offset:         56
        .size:           4
        .value_kind:     by_value
      - .offset:         60
        .size:           4
        .value_kind:     by_value
      - .offset:         64
        .size:           4
        .value_kind:     by_value
      - .offset:         68
        .size:           4
        .value_kind:     by_value
      - .offset:         72
        .size:           4
        .value_kind:     by_value
      - .offset:         76
        .size:           4
        .value_kind:     by_value
      - .offset:         80
        .size:           4
        .value_kind:     by_value
      - .offset:         84
        .size:           4
        .value_kind:     by_value
      - .offset:         88
        .size:           4
        .value_kind:     by_value
      - .offset:         92
        .size:           4
        .value_kind:     by_value
      - .offset:         96
        .size:           4
        .value_kind:     hidden_block_count_x
      - .offset:         100
        .size:           4
        .value_kind:     hidden_block_count_y
      - .offset:         104
        .size:           4
        .value_kind:     hidden_block_count_z
      - .offset:         108
        .size:           2
        .value_kind:     hidden_group_size_x
      - .offset:         110
        .size:           2
        .value_kind:     hidden_group_size_y
      - .offset:         112
        .size:           2
        .value_kind:     hidden_group_size_z
      - .offset:         114
        .size:           2
        .value_kind:     hidden_remainder_x
      - .offset:         116
        .size:           2
        .value_kind:     hidden_remainder_y
      - .offset:         118
        .size:           2
        .value_kind:     hidden_remainder_z
      - .offset:         136
        .size:           8
        .value_kind:     hidden_global_offset_x
      - .offset:         144
        .size:           8
        .value_kind:     hidden_global_offset_y
      - .offset:         152
        .size:           8
        .value_kind:     hidden_global_offset_z
      - .offset:         160
        .size:           2
        .value_kind:     hidden_grid_dims
      - .offset:         176
        .size:           8
        .value_kind:     hidden_hostcall_buffer
    .group_segment_fixed_size: 0
    .kernarg_segment_align: 8
    .kernarg_segment_size: 352
    .language:       OpenCL C
    .language_version:
      - 2
      - 0
    .max_flat_workgroup_size: 384
    .name:           _ZL9mul_mat_fIfLi32ELi4ELi6ELb1EEvPKT_PKfPKiPfiiiiiiiiiiiiiiii
    .private_segment_fixed_size: 16
    .sgpr_count:     40
    .sgpr_spill_count: 0
    .symbol:         _ZL9mul_mat_fIfLi32ELi4ELi6ELb1EEvPKT_PKfPKiPfiiiiiiiiiiiiiiii.kd
    .uniform_work_group_size: 1
    .uses_dynamic_stack: false
    .vgpr_count:     41
    .vgpr_spill_count: 0
    .wavefront_size: 64
  - .agpr_count:     0
    .args:
      - .actual_access:  read_only
        .address_space:  global
        .offset:         0
        .size:           8
        .value_kind:     global_buffer
      - .actual_access:  read_only
        .address_space:  global
        .offset:         8
        .size:           8
        .value_kind:     global_buffer
      - .actual_access:  read_only
        .address_space:  global
        .offset:         16
        .size:           8
        .value_kind:     global_buffer
      - .actual_access:  read_only
        .address_space:  global
        .offset:         24
        .size:           8
        .value_kind:     global_buffer
      - .offset:         32
        .size:           4
        .value_kind:     by_value
      - .offset:         36
        .size:           4
        .value_kind:     by_value
      - .offset:         40
        .size:           4
        .value_kind:     by_value
      - .offset:         44
        .size:           4
        .value_kind:     by_value
      - .offset:         48
        .size:           4
        .value_kind:     by_value
      - .offset:         52
        .size:           4
        .value_kind:     by_value
      - .offset:         56
        .size:           4
        .value_kind:     by_value
      - .offset:         60
        .size:           4
        .value_kind:     by_value
      - .offset:         64
        .size:           4
        .value_kind:     by_value
      - .offset:         68
        .size:           4
        .value_kind:     by_value
      - .offset:         72
        .size:           4
        .value_kind:     by_value
      - .offset:         76
        .size:           4
        .value_kind:     by_value
      - .offset:         80
        .size:           4
        .value_kind:     by_value
      - .offset:         84
        .size:           4
        .value_kind:     by_value
      - .offset:         88
        .size:           4
        .value_kind:     by_value
      - .offset:         92
        .size:           4
        .value_kind:     by_value
      - .offset:         96
        .size:           4
        .value_kind:     hidden_block_count_x
      - .offset:         100
        .size:           4
        .value_kind:     hidden_block_count_y
      - .offset:         104
        .size:           4
        .value_kind:     hidden_block_count_z
      - .offset:         108
        .size:           2
        .value_kind:     hidden_group_size_x
      - .offset:         110
        .size:           2
        .value_kind:     hidden_group_size_y
      - .offset:         112
        .size:           2
        .value_kind:     hidden_group_size_z
      - .offset:         114
        .size:           2
        .value_kind:     hidden_remainder_x
      - .offset:         116
        .size:           2
        .value_kind:     hidden_remainder_y
      - .offset:         118
        .size:           2
        .value_kind:     hidden_remainder_z
      - .offset:         136
        .size:           8
        .value_kind:     hidden_global_offset_x
      - .offset:         144
        .size:           8
        .value_kind:     hidden_global_offset_y
      - .offset:         152
        .size:           8
        .value_kind:     hidden_global_offset_z
      - .offset:         160
        .size:           2
        .value_kind:     hidden_grid_dims
      - .offset:         176
        .size:           8
        .value_kind:     hidden_hostcall_buffer
    .group_segment_fixed_size: 0
    .kernarg_segment_align: 8
    .kernarg_segment_size: 352
    .language:       OpenCL C
    .language_version:
      - 2
      - 0
    .max_flat_workgroup_size: 384
    .name:           _ZL9mul_mat_fIfLi32ELi4ELi6ELb0EEvPKT_PKfPKiPfiiiiiiiiiiiiiiii
    .private_segment_fixed_size: 16
    .sgpr_count:     40
    .sgpr_spill_count: 0
    .symbol:         _ZL9mul_mat_fIfLi32ELi4ELi6ELb0EEvPKT_PKfPKiPfiiiiiiiiiiiiiiii.kd
    .uniform_work_group_size: 1
    .uses_dynamic_stack: false
    .vgpr_count:     41
    .vgpr_spill_count: 0
    .wavefront_size: 64
  - .agpr_count:     0
    .args:
      - .actual_access:  read_only
        .address_space:  global
        .offset:         0
        .size:           8
        .value_kind:     global_buffer
      - .actual_access:  read_only
        .address_space:  global
        .offset:         8
        .size:           8
        .value_kind:     global_buffer
      - .actual_access:  read_only
        .address_space:  global
        .offset:         16
        .size:           8
        .value_kind:     global_buffer
      - .actual_access:  read_only
        .address_space:  global
        .offset:         24
        .size:           8
        .value_kind:     global_buffer
      - .actual_access:  read_only
        .address_space:  global
        .offset:         32
        .size:           8
        .value_kind:     global_buffer
      - .actual_access:  read_only
        .address_space:  global
        .offset:         40
        .size:           8
        .value_kind:     global_buffer
      - .offset:         48
        .size:           4
        .value_kind:     by_value
      - .offset:         52
        .size:           4
        .value_kind:     by_value
      - .offset:         56
        .size:           4
        .value_kind:     by_value
      - .offset:         60
        .size:           4
        .value_kind:     by_value
      - .offset:         64
        .size:           4
        .value_kind:     by_value
      - .offset:         68
        .size:           4
        .value_kind:     by_value
      - .offset:         72
        .size:           4
        .value_kind:     by_value
      - .offset:         76
        .size:           4
        .value_kind:     by_value
      - .offset:         80
        .size:           4
        .value_kind:     by_value
      - .offset:         84
        .size:           4
        .value_kind:     by_value
      - .offset:         88
        .size:           4
        .value_kind:     by_value
      - .offset:         92
        .size:           4
        .value_kind:     by_value
      - .offset:         96
        .size:           4
        .value_kind:     by_value
      - .offset:         100
        .size:           4
        .value_kind:     by_value
      - .offset:         104
        .size:           12
        .value_kind:     by_value
      - .offset:         116
        .size:           12
        .value_kind:     by_value
      - .offset:         128
        .size:           4
        .value_kind:     hidden_block_count_x
      - .offset:         132
        .size:           4
        .value_kind:     hidden_block_count_y
      - .offset:         136
        .size:           4
        .value_kind:     hidden_block_count_z
      - .offset:         140
        .size:           2
        .value_kind:     hidden_group_size_x
      - .offset:         142
        .size:           2
        .value_kind:     hidden_group_size_y
      - .offset:         144
        .size:           2
        .value_kind:     hidden_group_size_z
      - .offset:         146
        .size:           2
        .value_kind:     hidden_remainder_x
      - .offset:         148
        .size:           2
        .value_kind:     hidden_remainder_y
      - .offset:         150
        .size:           2
        .value_kind:     hidden_remainder_z
      - .offset:         168
        .size:           8
        .value_kind:     hidden_global_offset_x
      - .offset:         176
        .size:           8
        .value_kind:     hidden_global_offset_y
      - .offset:         184
        .size:           8
        .value_kind:     hidden_global_offset_z
      - .offset:         192
        .size:           2
        .value_kind:     hidden_grid_dims
      - .offset:         208
        .size:           8
        .value_kind:     hidden_hostcall_buffer
    .group_segment_fixed_size: 0
    .kernarg_segment_align: 8
    .kernarg_segment_size: 384
    .language:       OpenCL C
    .language_version:
      - 2
      - 0
    .max_flat_workgroup_size: 448
    .name:           _ZL13mul_mat_f_idsIfLi32ELi4ELi7EEvPKT_PKfPKiS6_S6_Pfiiiiiiiiiiiiii15HIP_vector_typeIjLj3EES9_
    .private_segment_fixed_size: 16
    .sgpr_count:     40
    .sgpr_spill_count: 0
    .symbol:         _ZL13mul_mat_f_idsIfLi32ELi4ELi7EEvPKT_PKfPKiS6_S6_Pfiiiiiiiiiiiiii15HIP_vector_typeIjLj3EES9_.kd
    .uniform_work_group_size: 1
    .uses_dynamic_stack: false
    .vgpr_count:     41
    .vgpr_spill_count: 0
    .wavefront_size: 64
  - .agpr_count:     0
    .args:
      - .actual_access:  read_only
        .address_space:  global
        .offset:         0
        .size:           8
        .value_kind:     global_buffer
      - .actual_access:  read_only
        .address_space:  global
        .offset:         8
        .size:           8
        .value_kind:     global_buffer
      - .actual_access:  read_only
        .address_space:  global
        .offset:         16
        .size:           8
        .value_kind:     global_buffer
      - .actual_access:  read_only
        .address_space:  global
        .offset:         24
        .size:           8
        .value_kind:     global_buffer
      - .offset:         32
        .size:           4
        .value_kind:     by_value
      - .offset:         36
        .size:           4
        .value_kind:     by_value
      - .offset:         40
        .size:           4
        .value_kind:     by_value
      - .offset:         44
        .size:           4
        .value_kind:     by_value
      - .offset:         48
        .size:           4
        .value_kind:     by_value
      - .offset:         52
        .size:           4
        .value_kind:     by_value
      - .offset:         56
        .size:           4
        .value_kind:     by_value
      - .offset:         60
        .size:           4
        .value_kind:     by_value
      - .offset:         64
        .size:           4
        .value_kind:     by_value
      - .offset:         68
        .size:           4
        .value_kind:     by_value
      - .offset:         72
        .size:           4
        .value_kind:     by_value
      - .offset:         76
        .size:           4
        .value_kind:     by_value
      - .offset:         80
        .size:           4
        .value_kind:     by_value
      - .offset:         84
        .size:           4
        .value_kind:     by_value
      - .offset:         88
        .size:           4
        .value_kind:     by_value
      - .offset:         92
        .size:           4
        .value_kind:     by_value
      - .offset:         96
        .size:           4
        .value_kind:     hidden_block_count_x
      - .offset:         100
        .size:           4
        .value_kind:     hidden_block_count_y
      - .offset:         104
        .size:           4
        .value_kind:     hidden_block_count_z
      - .offset:         108
        .size:           2
        .value_kind:     hidden_group_size_x
      - .offset:         110
        .size:           2
        .value_kind:     hidden_group_size_y
      - .offset:         112
        .size:           2
        .value_kind:     hidden_group_size_z
      - .offset:         114
        .size:           2
        .value_kind:     hidden_remainder_x
      - .offset:         116
        .size:           2
        .value_kind:     hidden_remainder_y
      - .offset:         118
        .size:           2
        .value_kind:     hidden_remainder_z
      - .offset:         136
        .size:           8
        .value_kind:     hidden_global_offset_x
      - .offset:         144
        .size:           8
        .value_kind:     hidden_global_offset_y
      - .offset:         152
        .size:           8
        .value_kind:     hidden_global_offset_z
      - .offset:         160
        .size:           2
        .value_kind:     hidden_grid_dims
      - .offset:         176
        .size:           8
        .value_kind:     hidden_hostcall_buffer
    .group_segment_fixed_size: 0
    .kernarg_segment_align: 8
    .kernarg_segment_size: 352
    .language:       OpenCL C
    .language_version:
      - 2
      - 0
    .max_flat_workgroup_size: 448
    .name:           _ZL9mul_mat_fIfLi32ELi4ELi7ELb1EEvPKT_PKfPKiPfiiiiiiiiiiiiiiii
    .private_segment_fixed_size: 16
    .sgpr_count:     40
    .sgpr_spill_count: 0
    .symbol:         _ZL9mul_mat_fIfLi32ELi4ELi7ELb1EEvPKT_PKfPKiPfiiiiiiiiiiiiiiii.kd
    .uniform_work_group_size: 1
    .uses_dynamic_stack: false
    .vgpr_count:     41
    .vgpr_spill_count: 0
    .wavefront_size: 64
  - .agpr_count:     0
    .args:
      - .actual_access:  read_only
        .address_space:  global
        .offset:         0
        .size:           8
        .value_kind:     global_buffer
      - .actual_access:  read_only
        .address_space:  global
        .offset:         8
        .size:           8
        .value_kind:     global_buffer
      - .actual_access:  read_only
        .address_space:  global
        .offset:         16
        .size:           8
        .value_kind:     global_buffer
      - .actual_access:  read_only
        .address_space:  global
        .offset:         24
        .size:           8
        .value_kind:     global_buffer
      - .offset:         32
        .size:           4
        .value_kind:     by_value
      - .offset:         36
        .size:           4
        .value_kind:     by_value
      - .offset:         40
        .size:           4
        .value_kind:     by_value
      - .offset:         44
        .size:           4
        .value_kind:     by_value
      - .offset:         48
        .size:           4
        .value_kind:     by_value
      - .offset:         52
        .size:           4
        .value_kind:     by_value
      - .offset:         56
        .size:           4
        .value_kind:     by_value
      - .offset:         60
        .size:           4
        .value_kind:     by_value
      - .offset:         64
        .size:           4
        .value_kind:     by_value
      - .offset:         68
        .size:           4
        .value_kind:     by_value
      - .offset:         72
        .size:           4
        .value_kind:     by_value
      - .offset:         76
        .size:           4
        .value_kind:     by_value
      - .offset:         80
        .size:           4
        .value_kind:     by_value
      - .offset:         84
        .size:           4
        .value_kind:     by_value
      - .offset:         88
        .size:           4
        .value_kind:     by_value
      - .offset:         92
        .size:           4
        .value_kind:     by_value
      - .offset:         96
        .size:           4
        .value_kind:     hidden_block_count_x
      - .offset:         100
        .size:           4
        .value_kind:     hidden_block_count_y
      - .offset:         104
        .size:           4
        .value_kind:     hidden_block_count_z
      - .offset:         108
        .size:           2
        .value_kind:     hidden_group_size_x
      - .offset:         110
        .size:           2
        .value_kind:     hidden_group_size_y
      - .offset:         112
        .size:           2
        .value_kind:     hidden_group_size_z
      - .offset:         114
        .size:           2
        .value_kind:     hidden_remainder_x
      - .offset:         116
        .size:           2
        .value_kind:     hidden_remainder_y
      - .offset:         118
        .size:           2
        .value_kind:     hidden_remainder_z
      - .offset:         136
        .size:           8
        .value_kind:     hidden_global_offset_x
      - .offset:         144
        .size:           8
        .value_kind:     hidden_global_offset_y
      - .offset:         152
        .size:           8
        .value_kind:     hidden_global_offset_z
      - .offset:         160
        .size:           2
        .value_kind:     hidden_grid_dims
      - .offset:         176
        .size:           8
        .value_kind:     hidden_hostcall_buffer
    .group_segment_fixed_size: 0
    .kernarg_segment_align: 8
    .kernarg_segment_size: 352
    .language:       OpenCL C
    .language_version:
      - 2
      - 0
    .max_flat_workgroup_size: 448
    .name:           _ZL9mul_mat_fIfLi32ELi4ELi7ELb0EEvPKT_PKfPKiPfiiiiiiiiiiiiiiii
    .private_segment_fixed_size: 16
    .sgpr_count:     40
    .sgpr_spill_count: 0
    .symbol:         _ZL9mul_mat_fIfLi32ELi4ELi7ELb0EEvPKT_PKfPKiPfiiiiiiiiiiiiiiii.kd
    .uniform_work_group_size: 1
    .uses_dynamic_stack: false
    .vgpr_count:     41
    .vgpr_spill_count: 0
    .wavefront_size: 64
  - .agpr_count:     0
    .args:
      - .actual_access:  read_only
        .address_space:  global
        .offset:         0
        .size:           8
        .value_kind:     global_buffer
      - .actual_access:  read_only
        .address_space:  global
        .offset:         8
        .size:           8
        .value_kind:     global_buffer
      - .actual_access:  read_only
        .address_space:  global
        .offset:         16
        .size:           8
        .value_kind:     global_buffer
      - .actual_access:  read_only
        .address_space:  global
        .offset:         24
        .size:           8
        .value_kind:     global_buffer
      - .actual_access:  read_only
        .address_space:  global
        .offset:         32
        .size:           8
        .value_kind:     global_buffer
      - .actual_access:  read_only
        .address_space:  global
        .offset:         40
        .size:           8
        .value_kind:     global_buffer
      - .offset:         48
        .size:           4
        .value_kind:     by_value
      - .offset:         52
        .size:           4
        .value_kind:     by_value
      - .offset:         56
        .size:           4
        .value_kind:     by_value
      - .offset:         60
        .size:           4
        .value_kind:     by_value
      - .offset:         64
        .size:           4
        .value_kind:     by_value
      - .offset:         68
        .size:           4
        .value_kind:     by_value
      - .offset:         72
        .size:           4
        .value_kind:     by_value
      - .offset:         76
        .size:           4
        .value_kind:     by_value
      - .offset:         80
        .size:           4
        .value_kind:     by_value
      - .offset:         84
        .size:           4
        .value_kind:     by_value
      - .offset:         88
        .size:           4
        .value_kind:     by_value
      - .offset:         92
        .size:           4
        .value_kind:     by_value
      - .offset:         96
        .size:           4
        .value_kind:     by_value
      - .offset:         100
        .size:           4
        .value_kind:     by_value
      - .offset:         104
        .size:           12
        .value_kind:     by_value
      - .offset:         116
        .size:           12
        .value_kind:     by_value
      - .offset:         128
        .size:           4
        .value_kind:     hidden_block_count_x
      - .offset:         132
        .size:           4
        .value_kind:     hidden_block_count_y
      - .offset:         136
        .size:           4
        .value_kind:     hidden_block_count_z
      - .offset:         140
        .size:           2
        .value_kind:     hidden_group_size_x
      - .offset:         142
        .size:           2
        .value_kind:     hidden_group_size_y
      - .offset:         144
        .size:           2
        .value_kind:     hidden_group_size_z
      - .offset:         146
        .size:           2
        .value_kind:     hidden_remainder_x
      - .offset:         148
        .size:           2
        .value_kind:     hidden_remainder_y
      - .offset:         150
        .size:           2
        .value_kind:     hidden_remainder_z
      - .offset:         168
        .size:           8
        .value_kind:     hidden_global_offset_x
      - .offset:         176
        .size:           8
        .value_kind:     hidden_global_offset_y
      - .offset:         184
        .size:           8
        .value_kind:     hidden_global_offset_z
      - .offset:         192
        .size:           2
        .value_kind:     hidden_grid_dims
      - .offset:         208
        .size:           8
        .value_kind:     hidden_hostcall_buffer
    .group_segment_fixed_size: 0
    .kernarg_segment_align: 8
    .kernarg_segment_size: 384
    .language:       OpenCL C
    .language_version:
      - 2
      - 0
    .max_flat_workgroup_size: 512
    .name:           _ZL13mul_mat_f_idsIfLi32ELi4ELi8EEvPKT_PKfPKiS6_S6_Pfiiiiiiiiiiiiii15HIP_vector_typeIjLj3EES9_
    .private_segment_fixed_size: 16
    .sgpr_count:     40
    .sgpr_spill_count: 0
    .symbol:         _ZL13mul_mat_f_idsIfLi32ELi4ELi8EEvPKT_PKfPKiS6_S6_Pfiiiiiiiiiiiiii15HIP_vector_typeIjLj3EES9_.kd
    .uniform_work_group_size: 1
    .uses_dynamic_stack: false
    .vgpr_count:     41
    .vgpr_spill_count: 0
    .wavefront_size: 64
  - .agpr_count:     0
    .args:
      - .actual_access:  read_only
        .address_space:  global
        .offset:         0
        .size:           8
        .value_kind:     global_buffer
      - .actual_access:  read_only
        .address_space:  global
        .offset:         8
        .size:           8
        .value_kind:     global_buffer
      - .actual_access:  read_only
        .address_space:  global
        .offset:         16
        .size:           8
        .value_kind:     global_buffer
      - .actual_access:  read_only
        .address_space:  global
        .offset:         24
        .size:           8
        .value_kind:     global_buffer
      - .offset:         32
        .size:           4
        .value_kind:     by_value
      - .offset:         36
        .size:           4
        .value_kind:     by_value
      - .offset:         40
        .size:           4
        .value_kind:     by_value
      - .offset:         44
        .size:           4
        .value_kind:     by_value
      - .offset:         48
        .size:           4
        .value_kind:     by_value
      - .offset:         52
        .size:           4
        .value_kind:     by_value
      - .offset:         56
        .size:           4
        .value_kind:     by_value
      - .offset:         60
        .size:           4
        .value_kind:     by_value
      - .offset:         64
        .size:           4
        .value_kind:     by_value
      - .offset:         68
        .size:           4
        .value_kind:     by_value
      - .offset:         72
        .size:           4
        .value_kind:     by_value
      - .offset:         76
        .size:           4
        .value_kind:     by_value
      - .offset:         80
        .size:           4
        .value_kind:     by_value
      - .offset:         84
        .size:           4
        .value_kind:     by_value
      - .offset:         88
        .size:           4
        .value_kind:     by_value
      - .offset:         92
        .size:           4
        .value_kind:     by_value
      - .offset:         96
        .size:           4
        .value_kind:     hidden_block_count_x
      - .offset:         100
        .size:           4
        .value_kind:     hidden_block_count_y
      - .offset:         104
        .size:           4
        .value_kind:     hidden_block_count_z
      - .offset:         108
        .size:           2
        .value_kind:     hidden_group_size_x
      - .offset:         110
        .size:           2
        .value_kind:     hidden_group_size_y
      - .offset:         112
        .size:           2
        .value_kind:     hidden_group_size_z
      - .offset:         114
        .size:           2
        .value_kind:     hidden_remainder_x
      - .offset:         116
        .size:           2
        .value_kind:     hidden_remainder_y
      - .offset:         118
        .size:           2
        .value_kind:     hidden_remainder_z
      - .offset:         136
        .size:           8
        .value_kind:     hidden_global_offset_x
      - .offset:         144
        .size:           8
        .value_kind:     hidden_global_offset_y
      - .offset:         152
        .size:           8
        .value_kind:     hidden_global_offset_z
      - .offset:         160
        .size:           2
        .value_kind:     hidden_grid_dims
      - .offset:         176
        .size:           8
        .value_kind:     hidden_hostcall_buffer
    .group_segment_fixed_size: 0
    .kernarg_segment_align: 8
    .kernarg_segment_size: 352
    .language:       OpenCL C
    .language_version:
      - 2
      - 0
    .max_flat_workgroup_size: 512
    .name:           _ZL9mul_mat_fIfLi32ELi4ELi8ELb1EEvPKT_PKfPKiPfiiiiiiiiiiiiiiii
    .private_segment_fixed_size: 16
    .sgpr_count:     40
    .sgpr_spill_count: 0
    .symbol:         _ZL9mul_mat_fIfLi32ELi4ELi8ELb1EEvPKT_PKfPKiPfiiiiiiiiiiiiiiii.kd
    .uniform_work_group_size: 1
    .uses_dynamic_stack: false
    .vgpr_count:     41
    .vgpr_spill_count: 0
    .wavefront_size: 64
  - .agpr_count:     0
    .args:
      - .actual_access:  read_only
        .address_space:  global
        .offset:         0
        .size:           8
        .value_kind:     global_buffer
      - .actual_access:  read_only
        .address_space:  global
        .offset:         8
        .size:           8
        .value_kind:     global_buffer
      - .actual_access:  read_only
        .address_space:  global
        .offset:         16
        .size:           8
        .value_kind:     global_buffer
      - .actual_access:  read_only
        .address_space:  global
        .offset:         24
        .size:           8
        .value_kind:     global_buffer
      - .offset:         32
        .size:           4
        .value_kind:     by_value
      - .offset:         36
        .size:           4
        .value_kind:     by_value
      - .offset:         40
        .size:           4
        .value_kind:     by_value
      - .offset:         44
        .size:           4
        .value_kind:     by_value
      - .offset:         48
        .size:           4
        .value_kind:     by_value
      - .offset:         52
        .size:           4
        .value_kind:     by_value
      - .offset:         56
        .size:           4
        .value_kind:     by_value
      - .offset:         60
        .size:           4
        .value_kind:     by_value
      - .offset:         64
        .size:           4
        .value_kind:     by_value
      - .offset:         68
        .size:           4
        .value_kind:     by_value
      - .offset:         72
        .size:           4
        .value_kind:     by_value
      - .offset:         76
        .size:           4
        .value_kind:     by_value
      - .offset:         80
        .size:           4
        .value_kind:     by_value
      - .offset:         84
        .size:           4
        .value_kind:     by_value
      - .offset:         88
        .size:           4
        .value_kind:     by_value
      - .offset:         92
        .size:           4
        .value_kind:     by_value
      - .offset:         96
        .size:           4
        .value_kind:     hidden_block_count_x
      - .offset:         100
        .size:           4
        .value_kind:     hidden_block_count_y
      - .offset:         104
        .size:           4
        .value_kind:     hidden_block_count_z
      - .offset:         108
        .size:           2
        .value_kind:     hidden_group_size_x
      - .offset:         110
        .size:           2
        .value_kind:     hidden_group_size_y
      - .offset:         112
        .size:           2
        .value_kind:     hidden_group_size_z
      - .offset:         114
        .size:           2
        .value_kind:     hidden_remainder_x
      - .offset:         116
        .size:           2
        .value_kind:     hidden_remainder_y
      - .offset:         118
        .size:           2
        .value_kind:     hidden_remainder_z
      - .offset:         136
        .size:           8
        .value_kind:     hidden_global_offset_x
      - .offset:         144
        .size:           8
        .value_kind:     hidden_global_offset_y
      - .offset:         152
        .size:           8
        .value_kind:     hidden_global_offset_z
      - .offset:         160
        .size:           2
        .value_kind:     hidden_grid_dims
      - .offset:         176
        .size:           8
        .value_kind:     hidden_hostcall_buffer
    .group_segment_fixed_size: 0
    .kernarg_segment_align: 8
    .kernarg_segment_size: 352
    .language:       OpenCL C
    .language_version:
      - 2
      - 0
    .max_flat_workgroup_size: 512
    .name:           _ZL9mul_mat_fIfLi32ELi4ELi8ELb0EEvPKT_PKfPKiPfiiiiiiiiiiiiiiii
    .private_segment_fixed_size: 16
    .sgpr_count:     40
    .sgpr_spill_count: 0
    .symbol:         _ZL9mul_mat_fIfLi32ELi4ELi8ELb0EEvPKT_PKfPKiPfiiiiiiiiiiiiiiii.kd
    .uniform_work_group_size: 1
    .uses_dynamic_stack: false
    .vgpr_count:     41
    .vgpr_spill_count: 0
    .wavefront_size: 64
  - .agpr_count:     0
    .args:
      - .actual_access:  read_only
        .address_space:  global
        .offset:         0
        .size:           8
        .value_kind:     global_buffer
      - .actual_access:  read_only
        .address_space:  global
        .offset:         8
        .size:           8
        .value_kind:     global_buffer
      - .actual_access:  read_only
        .address_space:  global
        .offset:         16
        .size:           8
        .value_kind:     global_buffer
      - .actual_access:  read_only
        .address_space:  global
        .offset:         24
        .size:           8
        .value_kind:     global_buffer
      - .actual_access:  read_only
        .address_space:  global
        .offset:         32
        .size:           8
        .value_kind:     global_buffer
      - .actual_access:  read_only
        .address_space:  global
        .offset:         40
        .size:           8
        .value_kind:     global_buffer
      - .offset:         48
        .size:           4
        .value_kind:     by_value
      - .offset:         52
        .size:           4
        .value_kind:     by_value
      - .offset:         56
        .size:           4
        .value_kind:     by_value
      - .offset:         60
        .size:           4
        .value_kind:     by_value
      - .offset:         64
        .size:           4
        .value_kind:     by_value
      - .offset:         68
        .size:           4
        .value_kind:     by_value
      - .offset:         72
        .size:           4
        .value_kind:     by_value
      - .offset:         76
        .size:           4
        .value_kind:     by_value
      - .offset:         80
        .size:           4
        .value_kind:     by_value
      - .offset:         84
        .size:           4
        .value_kind:     by_value
      - .offset:         88
        .size:           4
        .value_kind:     by_value
      - .offset:         92
        .size:           4
        .value_kind:     by_value
      - .offset:         96
        .size:           4
        .value_kind:     by_value
      - .offset:         100
        .size:           4
        .value_kind:     by_value
      - .offset:         104
        .size:           12
        .value_kind:     by_value
      - .offset:         116
        .size:           12
        .value_kind:     by_value
      - .offset:         128
        .size:           4
        .value_kind:     hidden_block_count_x
      - .offset:         132
        .size:           4
        .value_kind:     hidden_block_count_y
      - .offset:         136
        .size:           4
        .value_kind:     hidden_block_count_z
      - .offset:         140
        .size:           2
        .value_kind:     hidden_group_size_x
      - .offset:         142
        .size:           2
        .value_kind:     hidden_group_size_y
      - .offset:         144
        .size:           2
        .value_kind:     hidden_group_size_z
      - .offset:         146
        .size:           2
        .value_kind:     hidden_remainder_x
      - .offset:         148
        .size:           2
        .value_kind:     hidden_remainder_y
      - .offset:         150
        .size:           2
        .value_kind:     hidden_remainder_z
      - .offset:         168
        .size:           8
        .value_kind:     hidden_global_offset_x
      - .offset:         176
        .size:           8
        .value_kind:     hidden_global_offset_y
      - .offset:         184
        .size:           8
        .value_kind:     hidden_global_offset_z
      - .offset:         192
        .size:           2
        .value_kind:     hidden_grid_dims
      - .offset:         208
        .size:           8
        .value_kind:     hidden_hostcall_buffer
    .group_segment_fixed_size: 0
    .kernarg_segment_align: 8
    .kernarg_segment_size: 384
    .language:       OpenCL C
    .language_version:
      - 2
      - 0
    .max_flat_workgroup_size: 64
    .name:           _ZL13mul_mat_f_idsI7__half2Li32ELi4ELi1EEvPKT_PKfPKiS7_S7_Pfiiiiiiiiiiiiii15HIP_vector_typeIjLj3EESA_
    .private_segment_fixed_size: 16
    .sgpr_count:     40
    .sgpr_spill_count: 0
    .symbol:         _ZL13mul_mat_f_idsI7__half2Li32ELi4ELi1EEvPKT_PKfPKiS7_S7_Pfiiiiiiiiiiiiii15HIP_vector_typeIjLj3EESA_.kd
    .uniform_work_group_size: 1
    .uses_dynamic_stack: false
    .vgpr_count:     41
    .vgpr_spill_count: 0
    .wavefront_size: 64
  - .agpr_count:     0
    .args:
      - .actual_access:  read_only
        .address_space:  global
        .offset:         0
        .size:           8
        .value_kind:     global_buffer
      - .actual_access:  read_only
        .address_space:  global
        .offset:         8
        .size:           8
        .value_kind:     global_buffer
      - .actual_access:  read_only
        .address_space:  global
        .offset:         16
        .size:           8
        .value_kind:     global_buffer
      - .actual_access:  read_only
        .address_space:  global
        .offset:         24
        .size:           8
        .value_kind:     global_buffer
      - .offset:         32
        .size:           4
        .value_kind:     by_value
      - .offset:         36
        .size:           4
        .value_kind:     by_value
      - .offset:         40
        .size:           4
        .value_kind:     by_value
      - .offset:         44
        .size:           4
        .value_kind:     by_value
      - .offset:         48
        .size:           4
        .value_kind:     by_value
      - .offset:         52
        .size:           4
        .value_kind:     by_value
      - .offset:         56
        .size:           4
        .value_kind:     by_value
      - .offset:         60
        .size:           4
        .value_kind:     by_value
      - .offset:         64
        .size:           4
        .value_kind:     by_value
      - .offset:         68
        .size:           4
        .value_kind:     by_value
      - .offset:         72
        .size:           4
        .value_kind:     by_value
      - .offset:         76
        .size:           4
        .value_kind:     by_value
      - .offset:         80
        .size:           4
        .value_kind:     by_value
      - .offset:         84
        .size:           4
        .value_kind:     by_value
      - .offset:         88
        .size:           4
        .value_kind:     by_value
      - .offset:         92
        .size:           4
        .value_kind:     by_value
      - .offset:         96
        .size:           4
        .value_kind:     hidden_block_count_x
      - .offset:         100
        .size:           4
        .value_kind:     hidden_block_count_y
      - .offset:         104
        .size:           4
        .value_kind:     hidden_block_count_z
      - .offset:         108
        .size:           2
        .value_kind:     hidden_group_size_x
      - .offset:         110
        .size:           2
        .value_kind:     hidden_group_size_y
      - .offset:         112
        .size:           2
        .value_kind:     hidden_group_size_z
      - .offset:         114
        .size:           2
        .value_kind:     hidden_remainder_x
      - .offset:         116
        .size:           2
        .value_kind:     hidden_remainder_y
      - .offset:         118
        .size:           2
        .value_kind:     hidden_remainder_z
      - .offset:         136
        .size:           8
        .value_kind:     hidden_global_offset_x
      - .offset:         144
        .size:           8
        .value_kind:     hidden_global_offset_y
      - .offset:         152
        .size:           8
        .value_kind:     hidden_global_offset_z
      - .offset:         160
        .size:           2
        .value_kind:     hidden_grid_dims
      - .offset:         176
        .size:           8
        .value_kind:     hidden_hostcall_buffer
    .group_segment_fixed_size: 0
    .kernarg_segment_align: 8
    .kernarg_segment_size: 352
    .language:       OpenCL C
    .language_version:
      - 2
      - 0
    .max_flat_workgroup_size: 64
    .name:           _ZL9mul_mat_fI7__half2Li32ELi4ELi1ELb1EEvPKT_PKfPKiPfiiiiiiiiiiiiiiii
    .private_segment_fixed_size: 16
    .sgpr_count:     40
    .sgpr_spill_count: 0
    .symbol:         _ZL9mul_mat_fI7__half2Li32ELi4ELi1ELb1EEvPKT_PKfPKiPfiiiiiiiiiiiiiiii.kd
    .uniform_work_group_size: 1
    .uses_dynamic_stack: false
    .vgpr_count:     41
    .vgpr_spill_count: 0
    .wavefront_size: 64
  - .agpr_count:     0
    .args:
      - .actual_access:  read_only
        .address_space:  global
        .offset:         0
        .size:           8
        .value_kind:     global_buffer
      - .actual_access:  read_only
        .address_space:  global
        .offset:         8
        .size:           8
        .value_kind:     global_buffer
      - .actual_access:  read_only
        .address_space:  global
        .offset:         16
        .size:           8
        .value_kind:     global_buffer
      - .actual_access:  read_only
        .address_space:  global
        .offset:         24
        .size:           8
        .value_kind:     global_buffer
      - .offset:         32
        .size:           4
        .value_kind:     by_value
      - .offset:         36
        .size:           4
        .value_kind:     by_value
      - .offset:         40
        .size:           4
        .value_kind:     by_value
      - .offset:         44
        .size:           4
        .value_kind:     by_value
      - .offset:         48
        .size:           4
        .value_kind:     by_value
      - .offset:         52
        .size:           4
        .value_kind:     by_value
      - .offset:         56
        .size:           4
        .value_kind:     by_value
      - .offset:         60
        .size:           4
        .value_kind:     by_value
      - .offset:         64
        .size:           4
        .value_kind:     by_value
      - .offset:         68
        .size:           4
        .value_kind:     by_value
      - .offset:         72
        .size:           4
        .value_kind:     by_value
      - .offset:         76
        .size:           4
        .value_kind:     by_value
      - .offset:         80
        .size:           4
        .value_kind:     by_value
      - .offset:         84
        .size:           4
        .value_kind:     by_value
      - .offset:         88
        .size:           4
        .value_kind:     by_value
      - .offset:         92
        .size:           4
        .value_kind:     by_value
      - .offset:         96
        .size:           4
        .value_kind:     hidden_block_count_x
      - .offset:         100
        .size:           4
        .value_kind:     hidden_block_count_y
      - .offset:         104
        .size:           4
        .value_kind:     hidden_block_count_z
      - .offset:         108
        .size:           2
        .value_kind:     hidden_group_size_x
      - .offset:         110
        .size:           2
        .value_kind:     hidden_group_size_y
      - .offset:         112
        .size:           2
        .value_kind:     hidden_group_size_z
      - .offset:         114
        .size:           2
        .value_kind:     hidden_remainder_x
      - .offset:         116
        .size:           2
        .value_kind:     hidden_remainder_y
      - .offset:         118
        .size:           2
        .value_kind:     hidden_remainder_z
      - .offset:         136
        .size:           8
        .value_kind:     hidden_global_offset_x
      - .offset:         144
        .size:           8
        .value_kind:     hidden_global_offset_y
      - .offset:         152
        .size:           8
        .value_kind:     hidden_global_offset_z
      - .offset:         160
        .size:           2
        .value_kind:     hidden_grid_dims
      - .offset:         176
        .size:           8
        .value_kind:     hidden_hostcall_buffer
    .group_segment_fixed_size: 0
    .kernarg_segment_align: 8
    .kernarg_segment_size: 352
    .language:       OpenCL C
    .language_version:
      - 2
      - 0
    .max_flat_workgroup_size: 64
    .name:           _ZL9mul_mat_fI7__half2Li32ELi4ELi1ELb0EEvPKT_PKfPKiPfiiiiiiiiiiiiiiii
    .private_segment_fixed_size: 16
    .sgpr_count:     40
    .sgpr_spill_count: 0
    .symbol:         _ZL9mul_mat_fI7__half2Li32ELi4ELi1ELb0EEvPKT_PKfPKiPfiiiiiiiiiiiiiiii.kd
    .uniform_work_group_size: 1
    .uses_dynamic_stack: false
    .vgpr_count:     41
    .vgpr_spill_count: 0
    .wavefront_size: 64
  - .agpr_count:     0
    .args:
      - .actual_access:  read_only
        .address_space:  global
        .offset:         0
        .size:           8
        .value_kind:     global_buffer
      - .actual_access:  read_only
        .address_space:  global
        .offset:         8
        .size:           8
        .value_kind:     global_buffer
      - .actual_access:  read_only
        .address_space:  global
        .offset:         16
        .size:           8
        .value_kind:     global_buffer
      - .actual_access:  read_only
        .address_space:  global
        .offset:         24
        .size:           8
        .value_kind:     global_buffer
      - .actual_access:  read_only
        .address_space:  global
        .offset:         32
        .size:           8
        .value_kind:     global_buffer
      - .actual_access:  read_only
        .address_space:  global
        .offset:         40
        .size:           8
        .value_kind:     global_buffer
      - .offset:         48
        .size:           4
        .value_kind:     by_value
      - .offset:         52
        .size:           4
        .value_kind:     by_value
      - .offset:         56
        .size:           4
        .value_kind:     by_value
      - .offset:         60
        .size:           4
        .value_kind:     by_value
      - .offset:         64
        .size:           4
        .value_kind:     by_value
      - .offset:         68
        .size:           4
        .value_kind:     by_value
      - .offset:         72
        .size:           4
        .value_kind:     by_value
      - .offset:         76
        .size:           4
        .value_kind:     by_value
      - .offset:         80
        .size:           4
        .value_kind:     by_value
      - .offset:         84
        .size:           4
        .value_kind:     by_value
      - .offset:         88
        .size:           4
        .value_kind:     by_value
      - .offset:         92
        .size:           4
        .value_kind:     by_value
      - .offset:         96
        .size:           4
        .value_kind:     by_value
      - .offset:         100
        .size:           4
        .value_kind:     by_value
      - .offset:         104
        .size:           12
        .value_kind:     by_value
      - .offset:         116
        .size:           12
        .value_kind:     by_value
      - .offset:         128
        .size:           4
        .value_kind:     hidden_block_count_x
      - .offset:         132
        .size:           4
        .value_kind:     hidden_block_count_y
      - .offset:         136
        .size:           4
        .value_kind:     hidden_block_count_z
      - .offset:         140
        .size:           2
        .value_kind:     hidden_group_size_x
      - .offset:         142
        .size:           2
        .value_kind:     hidden_group_size_y
      - .offset:         144
        .size:           2
        .value_kind:     hidden_group_size_z
      - .offset:         146
        .size:           2
        .value_kind:     hidden_remainder_x
      - .offset:         148
        .size:           2
        .value_kind:     hidden_remainder_y
      - .offset:         150
        .size:           2
        .value_kind:     hidden_remainder_z
      - .offset:         168
        .size:           8
        .value_kind:     hidden_global_offset_x
      - .offset:         176
        .size:           8
        .value_kind:     hidden_global_offset_y
      - .offset:         184
        .size:           8
        .value_kind:     hidden_global_offset_z
      - .offset:         192
        .size:           2
        .value_kind:     hidden_grid_dims
      - .offset:         208
        .size:           8
        .value_kind:     hidden_hostcall_buffer
    .group_segment_fixed_size: 0
    .kernarg_segment_align: 8
    .kernarg_segment_size: 384
    .language:       OpenCL C
    .language_version:
      - 2
      - 0
    .max_flat_workgroup_size: 128
    .name:           _ZL13mul_mat_f_idsI7__half2Li32ELi4ELi2EEvPKT_PKfPKiS7_S7_Pfiiiiiiiiiiiiii15HIP_vector_typeIjLj3EESA_
    .private_segment_fixed_size: 16
    .sgpr_count:     40
    .sgpr_spill_count: 0
    .symbol:         _ZL13mul_mat_f_idsI7__half2Li32ELi4ELi2EEvPKT_PKfPKiS7_S7_Pfiiiiiiiiiiiiii15HIP_vector_typeIjLj3EESA_.kd
    .uniform_work_group_size: 1
    .uses_dynamic_stack: false
    .vgpr_count:     41
    .vgpr_spill_count: 0
    .wavefront_size: 64
  - .agpr_count:     0
    .args:
      - .actual_access:  read_only
        .address_space:  global
        .offset:         0
        .size:           8
        .value_kind:     global_buffer
      - .actual_access:  read_only
        .address_space:  global
        .offset:         8
        .size:           8
        .value_kind:     global_buffer
      - .actual_access:  read_only
        .address_space:  global
        .offset:         16
        .size:           8
        .value_kind:     global_buffer
      - .actual_access:  read_only
        .address_space:  global
        .offset:         24
        .size:           8
        .value_kind:     global_buffer
      - .offset:         32
        .size:           4
        .value_kind:     by_value
      - .offset:         36
        .size:           4
        .value_kind:     by_value
      - .offset:         40
        .size:           4
        .value_kind:     by_value
      - .offset:         44
        .size:           4
        .value_kind:     by_value
      - .offset:         48
        .size:           4
        .value_kind:     by_value
      - .offset:         52
        .size:           4
        .value_kind:     by_value
      - .offset:         56
        .size:           4
        .value_kind:     by_value
      - .offset:         60
        .size:           4
        .value_kind:     by_value
      - .offset:         64
        .size:           4
        .value_kind:     by_value
      - .offset:         68
        .size:           4
        .value_kind:     by_value
      - .offset:         72
        .size:           4
        .value_kind:     by_value
      - .offset:         76
        .size:           4
        .value_kind:     by_value
      - .offset:         80
        .size:           4
        .value_kind:     by_value
      - .offset:         84
        .size:           4
        .value_kind:     by_value
      - .offset:         88
        .size:           4
        .value_kind:     by_value
      - .offset:         92
        .size:           4
        .value_kind:     by_value
      - .offset:         96
        .size:           4
        .value_kind:     hidden_block_count_x
      - .offset:         100
        .size:           4
        .value_kind:     hidden_block_count_y
      - .offset:         104
        .size:           4
        .value_kind:     hidden_block_count_z
      - .offset:         108
        .size:           2
        .value_kind:     hidden_group_size_x
      - .offset:         110
        .size:           2
        .value_kind:     hidden_group_size_y
      - .offset:         112
        .size:           2
        .value_kind:     hidden_group_size_z
      - .offset:         114
        .size:           2
        .value_kind:     hidden_remainder_x
      - .offset:         116
        .size:           2
        .value_kind:     hidden_remainder_y
      - .offset:         118
        .size:           2
        .value_kind:     hidden_remainder_z
      - .offset:         136
        .size:           8
        .value_kind:     hidden_global_offset_x
      - .offset:         144
        .size:           8
        .value_kind:     hidden_global_offset_y
      - .offset:         152
        .size:           8
        .value_kind:     hidden_global_offset_z
      - .offset:         160
        .size:           2
        .value_kind:     hidden_grid_dims
      - .offset:         176
        .size:           8
        .value_kind:     hidden_hostcall_buffer
    .group_segment_fixed_size: 0
    .kernarg_segment_align: 8
    .kernarg_segment_size: 352
    .language:       OpenCL C
    .language_version:
      - 2
      - 0
    .max_flat_workgroup_size: 128
    .name:           _ZL9mul_mat_fI7__half2Li32ELi4ELi2ELb1EEvPKT_PKfPKiPfiiiiiiiiiiiiiiii
    .private_segment_fixed_size: 16
    .sgpr_count:     40
    .sgpr_spill_count: 0
    .symbol:         _ZL9mul_mat_fI7__half2Li32ELi4ELi2ELb1EEvPKT_PKfPKiPfiiiiiiiiiiiiiiii.kd
    .uniform_work_group_size: 1
    .uses_dynamic_stack: false
    .vgpr_count:     41
    .vgpr_spill_count: 0
    .wavefront_size: 64
  - .agpr_count:     0
    .args:
      - .actual_access:  read_only
        .address_space:  global
        .offset:         0
        .size:           8
        .value_kind:     global_buffer
      - .actual_access:  read_only
        .address_space:  global
        .offset:         8
        .size:           8
        .value_kind:     global_buffer
      - .actual_access:  read_only
        .address_space:  global
        .offset:         16
        .size:           8
        .value_kind:     global_buffer
      - .actual_access:  read_only
        .address_space:  global
        .offset:         24
        .size:           8
        .value_kind:     global_buffer
      - .offset:         32
        .size:           4
        .value_kind:     by_value
      - .offset:         36
        .size:           4
        .value_kind:     by_value
      - .offset:         40
        .size:           4
        .value_kind:     by_value
      - .offset:         44
        .size:           4
        .value_kind:     by_value
      - .offset:         48
        .size:           4
        .value_kind:     by_value
      - .offset:         52
        .size:           4
        .value_kind:     by_value
      - .offset:         56
        .size:           4
        .value_kind:     by_value
      - .offset:         60
        .size:           4
        .value_kind:     by_value
      - .offset:         64
        .size:           4
        .value_kind:     by_value
      - .offset:         68
        .size:           4
        .value_kind:     by_value
      - .offset:         72
        .size:           4
        .value_kind:     by_value
      - .offset:         76
        .size:           4
        .value_kind:     by_value
      - .offset:         80
        .size:           4
        .value_kind:     by_value
      - .offset:         84
        .size:           4
        .value_kind:     by_value
      - .offset:         88
        .size:           4
        .value_kind:     by_value
      - .offset:         92
        .size:           4
        .value_kind:     by_value
      - .offset:         96
        .size:           4
        .value_kind:     hidden_block_count_x
      - .offset:         100
        .size:           4
        .value_kind:     hidden_block_count_y
      - .offset:         104
        .size:           4
        .value_kind:     hidden_block_count_z
      - .offset:         108
        .size:           2
        .value_kind:     hidden_group_size_x
      - .offset:         110
        .size:           2
        .value_kind:     hidden_group_size_y
      - .offset:         112
        .size:           2
        .value_kind:     hidden_group_size_z
      - .offset:         114
        .size:           2
        .value_kind:     hidden_remainder_x
      - .offset:         116
        .size:           2
        .value_kind:     hidden_remainder_y
      - .offset:         118
        .size:           2
        .value_kind:     hidden_remainder_z
      - .offset:         136
        .size:           8
        .value_kind:     hidden_global_offset_x
      - .offset:         144
        .size:           8
        .value_kind:     hidden_global_offset_y
      - .offset:         152
        .size:           8
        .value_kind:     hidden_global_offset_z
      - .offset:         160
        .size:           2
        .value_kind:     hidden_grid_dims
      - .offset:         176
        .size:           8
        .value_kind:     hidden_hostcall_buffer
    .group_segment_fixed_size: 0
    .kernarg_segment_align: 8
    .kernarg_segment_size: 352
    .language:       OpenCL C
    .language_version:
      - 2
      - 0
    .max_flat_workgroup_size: 128
    .name:           _ZL9mul_mat_fI7__half2Li32ELi4ELi2ELb0EEvPKT_PKfPKiPfiiiiiiiiiiiiiiii
    .private_segment_fixed_size: 16
    .sgpr_count:     40
    .sgpr_spill_count: 0
    .symbol:         _ZL9mul_mat_fI7__half2Li32ELi4ELi2ELb0EEvPKT_PKfPKiPfiiiiiiiiiiiiiiii.kd
    .uniform_work_group_size: 1
    .uses_dynamic_stack: false
    .vgpr_count:     41
    .vgpr_spill_count: 0
    .wavefront_size: 64
  - .agpr_count:     0
    .args:
      - .actual_access:  read_only
        .address_space:  global
        .offset:         0
        .size:           8
        .value_kind:     global_buffer
      - .actual_access:  read_only
        .address_space:  global
        .offset:         8
        .size:           8
        .value_kind:     global_buffer
      - .actual_access:  read_only
        .address_space:  global
        .offset:         16
        .size:           8
        .value_kind:     global_buffer
      - .actual_access:  read_only
        .address_space:  global
        .offset:         24
        .size:           8
        .value_kind:     global_buffer
      - .actual_access:  read_only
        .address_space:  global
        .offset:         32
        .size:           8
        .value_kind:     global_buffer
      - .actual_access:  read_only
        .address_space:  global
        .offset:         40
        .size:           8
        .value_kind:     global_buffer
      - .offset:         48
        .size:           4
        .value_kind:     by_value
      - .offset:         52
        .size:           4
        .value_kind:     by_value
      - .offset:         56
        .size:           4
        .value_kind:     by_value
      - .offset:         60
        .size:           4
        .value_kind:     by_value
      - .offset:         64
        .size:           4
        .value_kind:     by_value
      - .offset:         68
        .size:           4
        .value_kind:     by_value
      - .offset:         72
        .size:           4
        .value_kind:     by_value
      - .offset:         76
        .size:           4
        .value_kind:     by_value
      - .offset:         80
        .size:           4
        .value_kind:     by_value
      - .offset:         84
        .size:           4
        .value_kind:     by_value
      - .offset:         88
        .size:           4
        .value_kind:     by_value
      - .offset:         92
        .size:           4
        .value_kind:     by_value
      - .offset:         96
        .size:           4
        .value_kind:     by_value
      - .offset:         100
        .size:           4
        .value_kind:     by_value
      - .offset:         104
        .size:           12
        .value_kind:     by_value
      - .offset:         116
        .size:           12
        .value_kind:     by_value
      - .offset:         128
        .size:           4
        .value_kind:     hidden_block_count_x
      - .offset:         132
        .size:           4
        .value_kind:     hidden_block_count_y
      - .offset:         136
        .size:           4
        .value_kind:     hidden_block_count_z
      - .offset:         140
        .size:           2
        .value_kind:     hidden_group_size_x
      - .offset:         142
        .size:           2
        .value_kind:     hidden_group_size_y
      - .offset:         144
        .size:           2
        .value_kind:     hidden_group_size_z
      - .offset:         146
        .size:           2
        .value_kind:     hidden_remainder_x
      - .offset:         148
        .size:           2
        .value_kind:     hidden_remainder_y
      - .offset:         150
        .size:           2
        .value_kind:     hidden_remainder_z
      - .offset:         168
        .size:           8
        .value_kind:     hidden_global_offset_x
      - .offset:         176
        .size:           8
        .value_kind:     hidden_global_offset_y
      - .offset:         184
        .size:           8
        .value_kind:     hidden_global_offset_z
      - .offset:         192
        .size:           2
        .value_kind:     hidden_grid_dims
      - .offset:         208
        .size:           8
        .value_kind:     hidden_hostcall_buffer
    .group_segment_fixed_size: 0
    .kernarg_segment_align: 8
    .kernarg_segment_size: 384
    .language:       OpenCL C
    .language_version:
      - 2
      - 0
    .max_flat_workgroup_size: 192
    .name:           _ZL13mul_mat_f_idsI7__half2Li32ELi4ELi3EEvPKT_PKfPKiS7_S7_Pfiiiiiiiiiiiiii15HIP_vector_typeIjLj3EESA_
    .private_segment_fixed_size: 16
    .sgpr_count:     40
    .sgpr_spill_count: 0
    .symbol:         _ZL13mul_mat_f_idsI7__half2Li32ELi4ELi3EEvPKT_PKfPKiS7_S7_Pfiiiiiiiiiiiiii15HIP_vector_typeIjLj3EESA_.kd
    .uniform_work_group_size: 1
    .uses_dynamic_stack: false
    .vgpr_count:     41
    .vgpr_spill_count: 0
    .wavefront_size: 64
  - .agpr_count:     0
    .args:
      - .actual_access:  read_only
        .address_space:  global
        .offset:         0
        .size:           8
        .value_kind:     global_buffer
      - .actual_access:  read_only
        .address_space:  global
        .offset:         8
        .size:           8
        .value_kind:     global_buffer
      - .actual_access:  read_only
        .address_space:  global
        .offset:         16
        .size:           8
        .value_kind:     global_buffer
      - .actual_access:  read_only
        .address_space:  global
        .offset:         24
        .size:           8
        .value_kind:     global_buffer
      - .offset:         32
        .size:           4
        .value_kind:     by_value
      - .offset:         36
        .size:           4
        .value_kind:     by_value
      - .offset:         40
        .size:           4
        .value_kind:     by_value
      - .offset:         44
        .size:           4
        .value_kind:     by_value
      - .offset:         48
        .size:           4
        .value_kind:     by_value
      - .offset:         52
        .size:           4
        .value_kind:     by_value
      - .offset:         56
        .size:           4
        .value_kind:     by_value
      - .offset:         60
        .size:           4
        .value_kind:     by_value
      - .offset:         64
        .size:           4
        .value_kind:     by_value
      - .offset:         68
        .size:           4
        .value_kind:     by_value
      - .offset:         72
        .size:           4
        .value_kind:     by_value
      - .offset:         76
        .size:           4
        .value_kind:     by_value
      - .offset:         80
        .size:           4
        .value_kind:     by_value
      - .offset:         84
        .size:           4
        .value_kind:     by_value
      - .offset:         88
        .size:           4
        .value_kind:     by_value
      - .offset:         92
        .size:           4
        .value_kind:     by_value
      - .offset:         96
        .size:           4
        .value_kind:     hidden_block_count_x
      - .offset:         100
        .size:           4
        .value_kind:     hidden_block_count_y
      - .offset:         104
        .size:           4
        .value_kind:     hidden_block_count_z
      - .offset:         108
        .size:           2
        .value_kind:     hidden_group_size_x
      - .offset:         110
        .size:           2
        .value_kind:     hidden_group_size_y
      - .offset:         112
        .size:           2
        .value_kind:     hidden_group_size_z
      - .offset:         114
        .size:           2
        .value_kind:     hidden_remainder_x
      - .offset:         116
        .size:           2
        .value_kind:     hidden_remainder_y
      - .offset:         118
        .size:           2
        .value_kind:     hidden_remainder_z
      - .offset:         136
        .size:           8
        .value_kind:     hidden_global_offset_x
      - .offset:         144
        .size:           8
        .value_kind:     hidden_global_offset_y
      - .offset:         152
        .size:           8
        .value_kind:     hidden_global_offset_z
      - .offset:         160
        .size:           2
        .value_kind:     hidden_grid_dims
      - .offset:         176
        .size:           8
        .value_kind:     hidden_hostcall_buffer
    .group_segment_fixed_size: 0
    .kernarg_segment_align: 8
    .kernarg_segment_size: 352
    .language:       OpenCL C
    .language_version:
      - 2
      - 0
    .max_flat_workgroup_size: 192
    .name:           _ZL9mul_mat_fI7__half2Li32ELi4ELi3ELb1EEvPKT_PKfPKiPfiiiiiiiiiiiiiiii
    .private_segment_fixed_size: 16
    .sgpr_count:     40
    .sgpr_spill_count: 0
    .symbol:         _ZL9mul_mat_fI7__half2Li32ELi4ELi3ELb1EEvPKT_PKfPKiPfiiiiiiiiiiiiiiii.kd
    .uniform_work_group_size: 1
    .uses_dynamic_stack: false
    .vgpr_count:     41
    .vgpr_spill_count: 0
    .wavefront_size: 64
  - .agpr_count:     0
    .args:
      - .actual_access:  read_only
        .address_space:  global
        .offset:         0
        .size:           8
        .value_kind:     global_buffer
      - .actual_access:  read_only
        .address_space:  global
        .offset:         8
        .size:           8
        .value_kind:     global_buffer
      - .actual_access:  read_only
        .address_space:  global
        .offset:         16
        .size:           8
        .value_kind:     global_buffer
      - .actual_access:  read_only
        .address_space:  global
        .offset:         24
        .size:           8
        .value_kind:     global_buffer
      - .offset:         32
        .size:           4
        .value_kind:     by_value
      - .offset:         36
        .size:           4
        .value_kind:     by_value
      - .offset:         40
        .size:           4
        .value_kind:     by_value
      - .offset:         44
        .size:           4
        .value_kind:     by_value
      - .offset:         48
        .size:           4
        .value_kind:     by_value
      - .offset:         52
        .size:           4
        .value_kind:     by_value
      - .offset:         56
        .size:           4
        .value_kind:     by_value
      - .offset:         60
        .size:           4
        .value_kind:     by_value
      - .offset:         64
        .size:           4
        .value_kind:     by_value
      - .offset:         68
        .size:           4
        .value_kind:     by_value
      - .offset:         72
        .size:           4
        .value_kind:     by_value
      - .offset:         76
        .size:           4
        .value_kind:     by_value
      - .offset:         80
        .size:           4
        .value_kind:     by_value
      - .offset:         84
        .size:           4
        .value_kind:     by_value
      - .offset:         88
        .size:           4
        .value_kind:     by_value
      - .offset:         92
        .size:           4
        .value_kind:     by_value
      - .offset:         96
        .size:           4
        .value_kind:     hidden_block_count_x
      - .offset:         100
        .size:           4
        .value_kind:     hidden_block_count_y
      - .offset:         104
        .size:           4
        .value_kind:     hidden_block_count_z
      - .offset:         108
        .size:           2
        .value_kind:     hidden_group_size_x
      - .offset:         110
        .size:           2
        .value_kind:     hidden_group_size_y
      - .offset:         112
        .size:           2
        .value_kind:     hidden_group_size_z
      - .offset:         114
        .size:           2
        .value_kind:     hidden_remainder_x
      - .offset:         116
        .size:           2
        .value_kind:     hidden_remainder_y
      - .offset:         118
        .size:           2
        .value_kind:     hidden_remainder_z
      - .offset:         136
        .size:           8
        .value_kind:     hidden_global_offset_x
      - .offset:         144
        .size:           8
        .value_kind:     hidden_global_offset_y
      - .offset:         152
        .size:           8
        .value_kind:     hidden_global_offset_z
      - .offset:         160
        .size:           2
        .value_kind:     hidden_grid_dims
      - .offset:         176
        .size:           8
        .value_kind:     hidden_hostcall_buffer
    .group_segment_fixed_size: 0
    .kernarg_segment_align: 8
    .kernarg_segment_size: 352
    .language:       OpenCL C
    .language_version:
      - 2
      - 0
    .max_flat_workgroup_size: 192
    .name:           _ZL9mul_mat_fI7__half2Li32ELi4ELi3ELb0EEvPKT_PKfPKiPfiiiiiiiiiiiiiiii
    .private_segment_fixed_size: 16
    .sgpr_count:     40
    .sgpr_spill_count: 0
    .symbol:         _ZL9mul_mat_fI7__half2Li32ELi4ELi3ELb0EEvPKT_PKfPKiPfiiiiiiiiiiiiiiii.kd
    .uniform_work_group_size: 1
    .uses_dynamic_stack: false
    .vgpr_count:     41
    .vgpr_spill_count: 0
    .wavefront_size: 64
  - .agpr_count:     0
    .args:
      - .actual_access:  read_only
        .address_space:  global
        .offset:         0
        .size:           8
        .value_kind:     global_buffer
      - .actual_access:  read_only
        .address_space:  global
        .offset:         8
        .size:           8
        .value_kind:     global_buffer
      - .actual_access:  read_only
        .address_space:  global
        .offset:         16
        .size:           8
        .value_kind:     global_buffer
      - .actual_access:  read_only
        .address_space:  global
        .offset:         24
        .size:           8
        .value_kind:     global_buffer
      - .actual_access:  read_only
        .address_space:  global
        .offset:         32
        .size:           8
        .value_kind:     global_buffer
      - .actual_access:  read_only
        .address_space:  global
        .offset:         40
        .size:           8
        .value_kind:     global_buffer
      - .offset:         48
        .size:           4
        .value_kind:     by_value
      - .offset:         52
        .size:           4
        .value_kind:     by_value
      - .offset:         56
        .size:           4
        .value_kind:     by_value
      - .offset:         60
        .size:           4
        .value_kind:     by_value
      - .offset:         64
        .size:           4
        .value_kind:     by_value
      - .offset:         68
        .size:           4
        .value_kind:     by_value
      - .offset:         72
        .size:           4
        .value_kind:     by_value
      - .offset:         76
        .size:           4
        .value_kind:     by_value
      - .offset:         80
        .size:           4
        .value_kind:     by_value
      - .offset:         84
        .size:           4
        .value_kind:     by_value
      - .offset:         88
        .size:           4
        .value_kind:     by_value
      - .offset:         92
        .size:           4
        .value_kind:     by_value
      - .offset:         96
        .size:           4
        .value_kind:     by_value
      - .offset:         100
        .size:           4
        .value_kind:     by_value
      - .offset:         104
        .size:           12
        .value_kind:     by_value
      - .offset:         116
        .size:           12
        .value_kind:     by_value
      - .offset:         128
        .size:           4
        .value_kind:     hidden_block_count_x
      - .offset:         132
        .size:           4
        .value_kind:     hidden_block_count_y
      - .offset:         136
        .size:           4
        .value_kind:     hidden_block_count_z
      - .offset:         140
        .size:           2
        .value_kind:     hidden_group_size_x
      - .offset:         142
        .size:           2
        .value_kind:     hidden_group_size_y
      - .offset:         144
        .size:           2
        .value_kind:     hidden_group_size_z
      - .offset:         146
        .size:           2
        .value_kind:     hidden_remainder_x
      - .offset:         148
        .size:           2
        .value_kind:     hidden_remainder_y
      - .offset:         150
        .size:           2
        .value_kind:     hidden_remainder_z
      - .offset:         168
        .size:           8
        .value_kind:     hidden_global_offset_x
      - .offset:         176
        .size:           8
        .value_kind:     hidden_global_offset_y
      - .offset:         184
        .size:           8
        .value_kind:     hidden_global_offset_z
      - .offset:         192
        .size:           2
        .value_kind:     hidden_grid_dims
      - .offset:         208
        .size:           8
        .value_kind:     hidden_hostcall_buffer
    .group_segment_fixed_size: 0
    .kernarg_segment_align: 8
    .kernarg_segment_size: 384
    .language:       OpenCL C
    .language_version:
      - 2
      - 0
    .max_flat_workgroup_size: 256
    .name:           _ZL13mul_mat_f_idsI7__half2Li32ELi4ELi4EEvPKT_PKfPKiS7_S7_Pfiiiiiiiiiiiiii15HIP_vector_typeIjLj3EESA_
    .private_segment_fixed_size: 16
    .sgpr_count:     40
    .sgpr_spill_count: 0
    .symbol:         _ZL13mul_mat_f_idsI7__half2Li32ELi4ELi4EEvPKT_PKfPKiS7_S7_Pfiiiiiiiiiiiiii15HIP_vector_typeIjLj3EESA_.kd
    .uniform_work_group_size: 1
    .uses_dynamic_stack: false
    .vgpr_count:     41
    .vgpr_spill_count: 0
    .wavefront_size: 64
  - .agpr_count:     0
    .args:
      - .actual_access:  read_only
        .address_space:  global
        .offset:         0
        .size:           8
        .value_kind:     global_buffer
      - .actual_access:  read_only
        .address_space:  global
        .offset:         8
        .size:           8
        .value_kind:     global_buffer
      - .actual_access:  read_only
        .address_space:  global
        .offset:         16
        .size:           8
        .value_kind:     global_buffer
      - .actual_access:  read_only
        .address_space:  global
        .offset:         24
        .size:           8
        .value_kind:     global_buffer
      - .offset:         32
        .size:           4
        .value_kind:     by_value
      - .offset:         36
        .size:           4
        .value_kind:     by_value
      - .offset:         40
        .size:           4
        .value_kind:     by_value
      - .offset:         44
        .size:           4
        .value_kind:     by_value
      - .offset:         48
        .size:           4
        .value_kind:     by_value
      - .offset:         52
        .size:           4
        .value_kind:     by_value
      - .offset:         56
        .size:           4
        .value_kind:     by_value
      - .offset:         60
        .size:           4
        .value_kind:     by_value
      - .offset:         64
        .size:           4
        .value_kind:     by_value
      - .offset:         68
        .size:           4
        .value_kind:     by_value
      - .offset:         72
        .size:           4
        .value_kind:     by_value
      - .offset:         76
        .size:           4
        .value_kind:     by_value
      - .offset:         80
        .size:           4
        .value_kind:     by_value
      - .offset:         84
        .size:           4
        .value_kind:     by_value
      - .offset:         88
        .size:           4
        .value_kind:     by_value
      - .offset:         92
        .size:           4
        .value_kind:     by_value
      - .offset:         96
        .size:           4
        .value_kind:     hidden_block_count_x
      - .offset:         100
        .size:           4
        .value_kind:     hidden_block_count_y
      - .offset:         104
        .size:           4
        .value_kind:     hidden_block_count_z
      - .offset:         108
        .size:           2
        .value_kind:     hidden_group_size_x
      - .offset:         110
        .size:           2
        .value_kind:     hidden_group_size_y
      - .offset:         112
        .size:           2
        .value_kind:     hidden_group_size_z
      - .offset:         114
        .size:           2
        .value_kind:     hidden_remainder_x
      - .offset:         116
        .size:           2
        .value_kind:     hidden_remainder_y
      - .offset:         118
        .size:           2
        .value_kind:     hidden_remainder_z
      - .offset:         136
        .size:           8
        .value_kind:     hidden_global_offset_x
      - .offset:         144
        .size:           8
        .value_kind:     hidden_global_offset_y
      - .offset:         152
        .size:           8
        .value_kind:     hidden_global_offset_z
      - .offset:         160
        .size:           2
        .value_kind:     hidden_grid_dims
      - .offset:         176
        .size:           8
        .value_kind:     hidden_hostcall_buffer
    .group_segment_fixed_size: 0
    .kernarg_segment_align: 8
    .kernarg_segment_size: 352
    .language:       OpenCL C
    .language_version:
      - 2
      - 0
    .max_flat_workgroup_size: 256
    .name:           _ZL9mul_mat_fI7__half2Li32ELi4ELi4ELb1EEvPKT_PKfPKiPfiiiiiiiiiiiiiiii
    .private_segment_fixed_size: 16
    .sgpr_count:     40
    .sgpr_spill_count: 0
    .symbol:         _ZL9mul_mat_fI7__half2Li32ELi4ELi4ELb1EEvPKT_PKfPKiPfiiiiiiiiiiiiiiii.kd
    .uniform_work_group_size: 1
    .uses_dynamic_stack: false
    .vgpr_count:     41
    .vgpr_spill_count: 0
    .wavefront_size: 64
  - .agpr_count:     0
    .args:
      - .actual_access:  read_only
        .address_space:  global
        .offset:         0
        .size:           8
        .value_kind:     global_buffer
      - .actual_access:  read_only
        .address_space:  global
        .offset:         8
        .size:           8
        .value_kind:     global_buffer
      - .actual_access:  read_only
        .address_space:  global
        .offset:         16
        .size:           8
        .value_kind:     global_buffer
      - .actual_access:  read_only
        .address_space:  global
        .offset:         24
        .size:           8
        .value_kind:     global_buffer
      - .offset:         32
        .size:           4
        .value_kind:     by_value
      - .offset:         36
        .size:           4
        .value_kind:     by_value
      - .offset:         40
        .size:           4
        .value_kind:     by_value
      - .offset:         44
        .size:           4
        .value_kind:     by_value
      - .offset:         48
        .size:           4
        .value_kind:     by_value
      - .offset:         52
        .size:           4
        .value_kind:     by_value
      - .offset:         56
        .size:           4
        .value_kind:     by_value
      - .offset:         60
        .size:           4
        .value_kind:     by_value
      - .offset:         64
        .size:           4
        .value_kind:     by_value
      - .offset:         68
        .size:           4
        .value_kind:     by_value
      - .offset:         72
        .size:           4
        .value_kind:     by_value
      - .offset:         76
        .size:           4
        .value_kind:     by_value
      - .offset:         80
        .size:           4
        .value_kind:     by_value
      - .offset:         84
        .size:           4
        .value_kind:     by_value
      - .offset:         88
        .size:           4
        .value_kind:     by_value
      - .offset:         92
        .size:           4
        .value_kind:     by_value
      - .offset:         96
        .size:           4
        .value_kind:     hidden_block_count_x
      - .offset:         100
        .size:           4
        .value_kind:     hidden_block_count_y
      - .offset:         104
        .size:           4
        .value_kind:     hidden_block_count_z
      - .offset:         108
        .size:           2
        .value_kind:     hidden_group_size_x
      - .offset:         110
        .size:           2
        .value_kind:     hidden_group_size_y
      - .offset:         112
        .size:           2
        .value_kind:     hidden_group_size_z
      - .offset:         114
        .size:           2
        .value_kind:     hidden_remainder_x
      - .offset:         116
        .size:           2
        .value_kind:     hidden_remainder_y
      - .offset:         118
        .size:           2
        .value_kind:     hidden_remainder_z
      - .offset:         136
        .size:           8
        .value_kind:     hidden_global_offset_x
      - .offset:         144
        .size:           8
        .value_kind:     hidden_global_offset_y
      - .offset:         152
        .size:           8
        .value_kind:     hidden_global_offset_z
      - .offset:         160
        .size:           2
        .value_kind:     hidden_grid_dims
      - .offset:         176
        .size:           8
        .value_kind:     hidden_hostcall_buffer
    .group_segment_fixed_size: 0
    .kernarg_segment_align: 8
    .kernarg_segment_size: 352
    .language:       OpenCL C
    .language_version:
      - 2
      - 0
    .max_flat_workgroup_size: 256
    .name:           _ZL9mul_mat_fI7__half2Li32ELi4ELi4ELb0EEvPKT_PKfPKiPfiiiiiiiiiiiiiiii
    .private_segment_fixed_size: 16
    .sgpr_count:     40
    .sgpr_spill_count: 0
    .symbol:         _ZL9mul_mat_fI7__half2Li32ELi4ELi4ELb0EEvPKT_PKfPKiPfiiiiiiiiiiiiiiii.kd
    .uniform_work_group_size: 1
    .uses_dynamic_stack: false
    .vgpr_count:     41
    .vgpr_spill_count: 0
    .wavefront_size: 64
  - .agpr_count:     0
    .args:
      - .actual_access:  read_only
        .address_space:  global
        .offset:         0
        .size:           8
        .value_kind:     global_buffer
      - .actual_access:  read_only
        .address_space:  global
        .offset:         8
        .size:           8
        .value_kind:     global_buffer
      - .actual_access:  read_only
        .address_space:  global
        .offset:         16
        .size:           8
        .value_kind:     global_buffer
      - .actual_access:  read_only
        .address_space:  global
        .offset:         24
        .size:           8
        .value_kind:     global_buffer
      - .actual_access:  read_only
        .address_space:  global
        .offset:         32
        .size:           8
        .value_kind:     global_buffer
      - .actual_access:  read_only
        .address_space:  global
        .offset:         40
        .size:           8
        .value_kind:     global_buffer
      - .offset:         48
        .size:           4
        .value_kind:     by_value
      - .offset:         52
        .size:           4
        .value_kind:     by_value
      - .offset:         56
        .size:           4
        .value_kind:     by_value
      - .offset:         60
        .size:           4
        .value_kind:     by_value
      - .offset:         64
        .size:           4
        .value_kind:     by_value
      - .offset:         68
        .size:           4
        .value_kind:     by_value
      - .offset:         72
        .size:           4
        .value_kind:     by_value
      - .offset:         76
        .size:           4
        .value_kind:     by_value
      - .offset:         80
        .size:           4
        .value_kind:     by_value
      - .offset:         84
        .size:           4
        .value_kind:     by_value
      - .offset:         88
        .size:           4
        .value_kind:     by_value
      - .offset:         92
        .size:           4
        .value_kind:     by_value
      - .offset:         96
        .size:           4
        .value_kind:     by_value
      - .offset:         100
        .size:           4
        .value_kind:     by_value
      - .offset:         104
        .size:           12
        .value_kind:     by_value
      - .offset:         116
        .size:           12
        .value_kind:     by_value
      - .offset:         128
        .size:           4
        .value_kind:     hidden_block_count_x
      - .offset:         132
        .size:           4
        .value_kind:     hidden_block_count_y
      - .offset:         136
        .size:           4
        .value_kind:     hidden_block_count_z
      - .offset:         140
        .size:           2
        .value_kind:     hidden_group_size_x
      - .offset:         142
        .size:           2
        .value_kind:     hidden_group_size_y
      - .offset:         144
        .size:           2
        .value_kind:     hidden_group_size_z
      - .offset:         146
        .size:           2
        .value_kind:     hidden_remainder_x
      - .offset:         148
        .size:           2
        .value_kind:     hidden_remainder_y
      - .offset:         150
        .size:           2
        .value_kind:     hidden_remainder_z
      - .offset:         168
        .size:           8
        .value_kind:     hidden_global_offset_x
      - .offset:         176
        .size:           8
        .value_kind:     hidden_global_offset_y
      - .offset:         184
        .size:           8
        .value_kind:     hidden_global_offset_z
      - .offset:         192
        .size:           2
        .value_kind:     hidden_grid_dims
      - .offset:         208
        .size:           8
        .value_kind:     hidden_hostcall_buffer
    .group_segment_fixed_size: 0
    .kernarg_segment_align: 8
    .kernarg_segment_size: 384
    .language:       OpenCL C
    .language_version:
      - 2
      - 0
    .max_flat_workgroup_size: 320
    .name:           _ZL13mul_mat_f_idsI7__half2Li32ELi4ELi5EEvPKT_PKfPKiS7_S7_Pfiiiiiiiiiiiiii15HIP_vector_typeIjLj3EESA_
    .private_segment_fixed_size: 16
    .sgpr_count:     40
    .sgpr_spill_count: 0
    .symbol:         _ZL13mul_mat_f_idsI7__half2Li32ELi4ELi5EEvPKT_PKfPKiS7_S7_Pfiiiiiiiiiiiiii15HIP_vector_typeIjLj3EESA_.kd
    .uniform_work_group_size: 1
    .uses_dynamic_stack: false
    .vgpr_count:     41
    .vgpr_spill_count: 0
    .wavefront_size: 64
  - .agpr_count:     0
    .args:
      - .actual_access:  read_only
        .address_space:  global
        .offset:         0
        .size:           8
        .value_kind:     global_buffer
      - .actual_access:  read_only
        .address_space:  global
        .offset:         8
        .size:           8
        .value_kind:     global_buffer
      - .actual_access:  read_only
        .address_space:  global
        .offset:         16
        .size:           8
        .value_kind:     global_buffer
      - .actual_access:  read_only
        .address_space:  global
        .offset:         24
        .size:           8
        .value_kind:     global_buffer
      - .offset:         32
        .size:           4
        .value_kind:     by_value
      - .offset:         36
        .size:           4
        .value_kind:     by_value
      - .offset:         40
        .size:           4
        .value_kind:     by_value
      - .offset:         44
        .size:           4
        .value_kind:     by_value
      - .offset:         48
        .size:           4
        .value_kind:     by_value
      - .offset:         52
        .size:           4
        .value_kind:     by_value
      - .offset:         56
        .size:           4
        .value_kind:     by_value
      - .offset:         60
        .size:           4
        .value_kind:     by_value
      - .offset:         64
        .size:           4
        .value_kind:     by_value
      - .offset:         68
        .size:           4
        .value_kind:     by_value
      - .offset:         72
        .size:           4
        .value_kind:     by_value
      - .offset:         76
        .size:           4
        .value_kind:     by_value
      - .offset:         80
        .size:           4
        .value_kind:     by_value
      - .offset:         84
        .size:           4
        .value_kind:     by_value
      - .offset:         88
        .size:           4
        .value_kind:     by_value
      - .offset:         92
        .size:           4
        .value_kind:     by_value
      - .offset:         96
        .size:           4
        .value_kind:     hidden_block_count_x
      - .offset:         100
        .size:           4
        .value_kind:     hidden_block_count_y
      - .offset:         104
        .size:           4
        .value_kind:     hidden_block_count_z
      - .offset:         108
        .size:           2
        .value_kind:     hidden_group_size_x
      - .offset:         110
        .size:           2
        .value_kind:     hidden_group_size_y
      - .offset:         112
        .size:           2
        .value_kind:     hidden_group_size_z
      - .offset:         114
        .size:           2
        .value_kind:     hidden_remainder_x
      - .offset:         116
        .size:           2
        .value_kind:     hidden_remainder_y
      - .offset:         118
        .size:           2
        .value_kind:     hidden_remainder_z
      - .offset:         136
        .size:           8
        .value_kind:     hidden_global_offset_x
      - .offset:         144
        .size:           8
        .value_kind:     hidden_global_offset_y
      - .offset:         152
        .size:           8
        .value_kind:     hidden_global_offset_z
      - .offset:         160
        .size:           2
        .value_kind:     hidden_grid_dims
      - .offset:         176
        .size:           8
        .value_kind:     hidden_hostcall_buffer
    .group_segment_fixed_size: 0
    .kernarg_segment_align: 8
    .kernarg_segment_size: 352
    .language:       OpenCL C
    .language_version:
      - 2
      - 0
    .max_flat_workgroup_size: 320
    .name:           _ZL9mul_mat_fI7__half2Li32ELi4ELi5ELb1EEvPKT_PKfPKiPfiiiiiiiiiiiiiiii
    .private_segment_fixed_size: 16
    .sgpr_count:     40
    .sgpr_spill_count: 0
    .symbol:         _ZL9mul_mat_fI7__half2Li32ELi4ELi5ELb1EEvPKT_PKfPKiPfiiiiiiiiiiiiiiii.kd
    .uniform_work_group_size: 1
    .uses_dynamic_stack: false
    .vgpr_count:     41
    .vgpr_spill_count: 0
    .wavefront_size: 64
  - .agpr_count:     0
    .args:
      - .actual_access:  read_only
        .address_space:  global
        .offset:         0
        .size:           8
        .value_kind:     global_buffer
      - .actual_access:  read_only
        .address_space:  global
        .offset:         8
        .size:           8
        .value_kind:     global_buffer
      - .actual_access:  read_only
        .address_space:  global
        .offset:         16
        .size:           8
        .value_kind:     global_buffer
      - .actual_access:  read_only
        .address_space:  global
        .offset:         24
        .size:           8
        .value_kind:     global_buffer
      - .offset:         32
        .size:           4
        .value_kind:     by_value
      - .offset:         36
        .size:           4
        .value_kind:     by_value
      - .offset:         40
        .size:           4
        .value_kind:     by_value
      - .offset:         44
        .size:           4
        .value_kind:     by_value
      - .offset:         48
        .size:           4
        .value_kind:     by_value
      - .offset:         52
        .size:           4
        .value_kind:     by_value
      - .offset:         56
        .size:           4
        .value_kind:     by_value
      - .offset:         60
        .size:           4
        .value_kind:     by_value
      - .offset:         64
        .size:           4
        .value_kind:     by_value
      - .offset:         68
        .size:           4
        .value_kind:     by_value
      - .offset:         72
        .size:           4
        .value_kind:     by_value
      - .offset:         76
        .size:           4
        .value_kind:     by_value
      - .offset:         80
        .size:           4
        .value_kind:     by_value
      - .offset:         84
        .size:           4
        .value_kind:     by_value
      - .offset:         88
        .size:           4
        .value_kind:     by_value
      - .offset:         92
        .size:           4
        .value_kind:     by_value
      - .offset:         96
        .size:           4
        .value_kind:     hidden_block_count_x
      - .offset:         100
        .size:           4
        .value_kind:     hidden_block_count_y
      - .offset:         104
        .size:           4
        .value_kind:     hidden_block_count_z
      - .offset:         108
        .size:           2
        .value_kind:     hidden_group_size_x
      - .offset:         110
        .size:           2
        .value_kind:     hidden_group_size_y
      - .offset:         112
        .size:           2
        .value_kind:     hidden_group_size_z
      - .offset:         114
        .size:           2
        .value_kind:     hidden_remainder_x
      - .offset:         116
        .size:           2
        .value_kind:     hidden_remainder_y
      - .offset:         118
        .size:           2
        .value_kind:     hidden_remainder_z
      - .offset:         136
        .size:           8
        .value_kind:     hidden_global_offset_x
      - .offset:         144
        .size:           8
        .value_kind:     hidden_global_offset_y
      - .offset:         152
        .size:           8
        .value_kind:     hidden_global_offset_z
      - .offset:         160
        .size:           2
        .value_kind:     hidden_grid_dims
      - .offset:         176
        .size:           8
        .value_kind:     hidden_hostcall_buffer
    .group_segment_fixed_size: 0
    .kernarg_segment_align: 8
    .kernarg_segment_size: 352
    .language:       OpenCL C
    .language_version:
      - 2
      - 0
    .max_flat_workgroup_size: 320
    .name:           _ZL9mul_mat_fI7__half2Li32ELi4ELi5ELb0EEvPKT_PKfPKiPfiiiiiiiiiiiiiiii
    .private_segment_fixed_size: 16
    .sgpr_count:     40
    .sgpr_spill_count: 0
    .symbol:         _ZL9mul_mat_fI7__half2Li32ELi4ELi5ELb0EEvPKT_PKfPKiPfiiiiiiiiiiiiiiii.kd
    .uniform_work_group_size: 1
    .uses_dynamic_stack: false
    .vgpr_count:     41
    .vgpr_spill_count: 0
    .wavefront_size: 64
  - .agpr_count:     0
    .args:
      - .actual_access:  read_only
        .address_space:  global
        .offset:         0
        .size:           8
        .value_kind:     global_buffer
      - .actual_access:  read_only
        .address_space:  global
        .offset:         8
        .size:           8
        .value_kind:     global_buffer
      - .actual_access:  read_only
        .address_space:  global
        .offset:         16
        .size:           8
        .value_kind:     global_buffer
      - .actual_access:  read_only
        .address_space:  global
        .offset:         24
        .size:           8
        .value_kind:     global_buffer
      - .actual_access:  read_only
        .address_space:  global
        .offset:         32
        .size:           8
        .value_kind:     global_buffer
      - .actual_access:  read_only
        .address_space:  global
        .offset:         40
        .size:           8
        .value_kind:     global_buffer
      - .offset:         48
        .size:           4
        .value_kind:     by_value
      - .offset:         52
        .size:           4
        .value_kind:     by_value
      - .offset:         56
        .size:           4
        .value_kind:     by_value
      - .offset:         60
        .size:           4
        .value_kind:     by_value
      - .offset:         64
        .size:           4
        .value_kind:     by_value
      - .offset:         68
        .size:           4
        .value_kind:     by_value
      - .offset:         72
        .size:           4
        .value_kind:     by_value
      - .offset:         76
        .size:           4
        .value_kind:     by_value
      - .offset:         80
        .size:           4
        .value_kind:     by_value
      - .offset:         84
        .size:           4
        .value_kind:     by_value
      - .offset:         88
        .size:           4
        .value_kind:     by_value
      - .offset:         92
        .size:           4
        .value_kind:     by_value
      - .offset:         96
        .size:           4
        .value_kind:     by_value
      - .offset:         100
        .size:           4
        .value_kind:     by_value
      - .offset:         104
        .size:           12
        .value_kind:     by_value
      - .offset:         116
        .size:           12
        .value_kind:     by_value
      - .offset:         128
        .size:           4
        .value_kind:     hidden_block_count_x
      - .offset:         132
        .size:           4
        .value_kind:     hidden_block_count_y
      - .offset:         136
        .size:           4
        .value_kind:     hidden_block_count_z
      - .offset:         140
        .size:           2
        .value_kind:     hidden_group_size_x
      - .offset:         142
        .size:           2
        .value_kind:     hidden_group_size_y
      - .offset:         144
        .size:           2
        .value_kind:     hidden_group_size_z
      - .offset:         146
        .size:           2
        .value_kind:     hidden_remainder_x
      - .offset:         148
        .size:           2
        .value_kind:     hidden_remainder_y
      - .offset:         150
        .size:           2
        .value_kind:     hidden_remainder_z
      - .offset:         168
        .size:           8
        .value_kind:     hidden_global_offset_x
      - .offset:         176
        .size:           8
        .value_kind:     hidden_global_offset_y
      - .offset:         184
        .size:           8
        .value_kind:     hidden_global_offset_z
      - .offset:         192
        .size:           2
        .value_kind:     hidden_grid_dims
      - .offset:         208
        .size:           8
        .value_kind:     hidden_hostcall_buffer
    .group_segment_fixed_size: 0
    .kernarg_segment_align: 8
    .kernarg_segment_size: 384
    .language:       OpenCL C
    .language_version:
      - 2
      - 0
    .max_flat_workgroup_size: 384
    .name:           _ZL13mul_mat_f_idsI7__half2Li32ELi4ELi6EEvPKT_PKfPKiS7_S7_Pfiiiiiiiiiiiiii15HIP_vector_typeIjLj3EESA_
    .private_segment_fixed_size: 16
    .sgpr_count:     40
    .sgpr_spill_count: 0
    .symbol:         _ZL13mul_mat_f_idsI7__half2Li32ELi4ELi6EEvPKT_PKfPKiS7_S7_Pfiiiiiiiiiiiiii15HIP_vector_typeIjLj3EESA_.kd
    .uniform_work_group_size: 1
    .uses_dynamic_stack: false
    .vgpr_count:     41
    .vgpr_spill_count: 0
    .wavefront_size: 64
  - .agpr_count:     0
    .args:
      - .actual_access:  read_only
        .address_space:  global
        .offset:         0
        .size:           8
        .value_kind:     global_buffer
      - .actual_access:  read_only
        .address_space:  global
        .offset:         8
        .size:           8
        .value_kind:     global_buffer
      - .actual_access:  read_only
        .address_space:  global
        .offset:         16
        .size:           8
        .value_kind:     global_buffer
      - .actual_access:  read_only
        .address_space:  global
        .offset:         24
        .size:           8
        .value_kind:     global_buffer
      - .offset:         32
        .size:           4
        .value_kind:     by_value
      - .offset:         36
        .size:           4
        .value_kind:     by_value
      - .offset:         40
        .size:           4
        .value_kind:     by_value
      - .offset:         44
        .size:           4
        .value_kind:     by_value
      - .offset:         48
        .size:           4
        .value_kind:     by_value
      - .offset:         52
        .size:           4
        .value_kind:     by_value
      - .offset:         56
        .size:           4
        .value_kind:     by_value
      - .offset:         60
        .size:           4
        .value_kind:     by_value
      - .offset:         64
        .size:           4
        .value_kind:     by_value
      - .offset:         68
        .size:           4
        .value_kind:     by_value
      - .offset:         72
        .size:           4
        .value_kind:     by_value
      - .offset:         76
        .size:           4
        .value_kind:     by_value
      - .offset:         80
        .size:           4
        .value_kind:     by_value
      - .offset:         84
        .size:           4
        .value_kind:     by_value
      - .offset:         88
        .size:           4
        .value_kind:     by_value
      - .offset:         92
        .size:           4
        .value_kind:     by_value
      - .offset:         96
        .size:           4
        .value_kind:     hidden_block_count_x
      - .offset:         100
        .size:           4
        .value_kind:     hidden_block_count_y
      - .offset:         104
        .size:           4
        .value_kind:     hidden_block_count_z
      - .offset:         108
        .size:           2
        .value_kind:     hidden_group_size_x
      - .offset:         110
        .size:           2
        .value_kind:     hidden_group_size_y
      - .offset:         112
        .size:           2
        .value_kind:     hidden_group_size_z
      - .offset:         114
        .size:           2
        .value_kind:     hidden_remainder_x
      - .offset:         116
        .size:           2
        .value_kind:     hidden_remainder_y
      - .offset:         118
        .size:           2
        .value_kind:     hidden_remainder_z
      - .offset:         136
        .size:           8
        .value_kind:     hidden_global_offset_x
      - .offset:         144
        .size:           8
        .value_kind:     hidden_global_offset_y
      - .offset:         152
        .size:           8
        .value_kind:     hidden_global_offset_z
      - .offset:         160
        .size:           2
        .value_kind:     hidden_grid_dims
      - .offset:         176
        .size:           8
        .value_kind:     hidden_hostcall_buffer
    .group_segment_fixed_size: 0
    .kernarg_segment_align: 8
    .kernarg_segment_size: 352
    .language:       OpenCL C
    .language_version:
      - 2
      - 0
    .max_flat_workgroup_size: 384
    .name:           _ZL9mul_mat_fI7__half2Li32ELi4ELi6ELb1EEvPKT_PKfPKiPfiiiiiiiiiiiiiiii
    .private_segment_fixed_size: 16
    .sgpr_count:     40
    .sgpr_spill_count: 0
    .symbol:         _ZL9mul_mat_fI7__half2Li32ELi4ELi6ELb1EEvPKT_PKfPKiPfiiiiiiiiiiiiiiii.kd
    .uniform_work_group_size: 1
    .uses_dynamic_stack: false
    .vgpr_count:     41
    .vgpr_spill_count: 0
    .wavefront_size: 64
  - .agpr_count:     0
    .args:
      - .actual_access:  read_only
        .address_space:  global
        .offset:         0
        .size:           8
        .value_kind:     global_buffer
      - .actual_access:  read_only
        .address_space:  global
        .offset:         8
        .size:           8
        .value_kind:     global_buffer
      - .actual_access:  read_only
        .address_space:  global
        .offset:         16
        .size:           8
        .value_kind:     global_buffer
      - .actual_access:  read_only
        .address_space:  global
        .offset:         24
        .size:           8
        .value_kind:     global_buffer
      - .offset:         32
        .size:           4
        .value_kind:     by_value
      - .offset:         36
        .size:           4
        .value_kind:     by_value
      - .offset:         40
        .size:           4
        .value_kind:     by_value
      - .offset:         44
        .size:           4
        .value_kind:     by_value
      - .offset:         48
        .size:           4
        .value_kind:     by_value
      - .offset:         52
        .size:           4
        .value_kind:     by_value
      - .offset:         56
        .size:           4
        .value_kind:     by_value
      - .offset:         60
        .size:           4
        .value_kind:     by_value
      - .offset:         64
        .size:           4
        .value_kind:     by_value
      - .offset:         68
        .size:           4
        .value_kind:     by_value
      - .offset:         72
        .size:           4
        .value_kind:     by_value
      - .offset:         76
        .size:           4
        .value_kind:     by_value
      - .offset:         80
        .size:           4
        .value_kind:     by_value
      - .offset:         84
        .size:           4
        .value_kind:     by_value
      - .offset:         88
        .size:           4
        .value_kind:     by_value
      - .offset:         92
        .size:           4
        .value_kind:     by_value
      - .offset:         96
        .size:           4
        .value_kind:     hidden_block_count_x
      - .offset:         100
        .size:           4
        .value_kind:     hidden_block_count_y
      - .offset:         104
        .size:           4
        .value_kind:     hidden_block_count_z
      - .offset:         108
        .size:           2
        .value_kind:     hidden_group_size_x
      - .offset:         110
        .size:           2
        .value_kind:     hidden_group_size_y
      - .offset:         112
        .size:           2
        .value_kind:     hidden_group_size_z
      - .offset:         114
        .size:           2
        .value_kind:     hidden_remainder_x
      - .offset:         116
        .size:           2
        .value_kind:     hidden_remainder_y
      - .offset:         118
        .size:           2
        .value_kind:     hidden_remainder_z
      - .offset:         136
        .size:           8
        .value_kind:     hidden_global_offset_x
      - .offset:         144
        .size:           8
        .value_kind:     hidden_global_offset_y
      - .offset:         152
        .size:           8
        .value_kind:     hidden_global_offset_z
      - .offset:         160
        .size:           2
        .value_kind:     hidden_grid_dims
      - .offset:         176
        .size:           8
        .value_kind:     hidden_hostcall_buffer
    .group_segment_fixed_size: 0
    .kernarg_segment_align: 8
    .kernarg_segment_size: 352
    .language:       OpenCL C
    .language_version:
      - 2
      - 0
    .max_flat_workgroup_size: 384
    .name:           _ZL9mul_mat_fI7__half2Li32ELi4ELi6ELb0EEvPKT_PKfPKiPfiiiiiiiiiiiiiiii
    .private_segment_fixed_size: 16
    .sgpr_count:     40
    .sgpr_spill_count: 0
    .symbol:         _ZL9mul_mat_fI7__half2Li32ELi4ELi6ELb0EEvPKT_PKfPKiPfiiiiiiiiiiiiiiii.kd
    .uniform_work_group_size: 1
    .uses_dynamic_stack: false
    .vgpr_count:     41
    .vgpr_spill_count: 0
    .wavefront_size: 64
  - .agpr_count:     0
    .args:
      - .actual_access:  read_only
        .address_space:  global
        .offset:         0
        .size:           8
        .value_kind:     global_buffer
      - .actual_access:  read_only
        .address_space:  global
        .offset:         8
        .size:           8
        .value_kind:     global_buffer
      - .actual_access:  read_only
        .address_space:  global
        .offset:         16
        .size:           8
        .value_kind:     global_buffer
      - .actual_access:  read_only
        .address_space:  global
        .offset:         24
        .size:           8
        .value_kind:     global_buffer
      - .actual_access:  read_only
        .address_space:  global
        .offset:         32
        .size:           8
        .value_kind:     global_buffer
      - .actual_access:  read_only
        .address_space:  global
        .offset:         40
        .size:           8
        .value_kind:     global_buffer
      - .offset:         48
        .size:           4
        .value_kind:     by_value
      - .offset:         52
        .size:           4
        .value_kind:     by_value
      - .offset:         56
        .size:           4
        .value_kind:     by_value
      - .offset:         60
        .size:           4
        .value_kind:     by_value
      - .offset:         64
        .size:           4
        .value_kind:     by_value
      - .offset:         68
        .size:           4
        .value_kind:     by_value
      - .offset:         72
        .size:           4
        .value_kind:     by_value
      - .offset:         76
        .size:           4
        .value_kind:     by_value
      - .offset:         80
        .size:           4
        .value_kind:     by_value
      - .offset:         84
        .size:           4
        .value_kind:     by_value
      - .offset:         88
        .size:           4
        .value_kind:     by_value
      - .offset:         92
        .size:           4
        .value_kind:     by_value
      - .offset:         96
        .size:           4
        .value_kind:     by_value
      - .offset:         100
        .size:           4
        .value_kind:     by_value
      - .offset:         104
        .size:           12
        .value_kind:     by_value
      - .offset:         116
        .size:           12
        .value_kind:     by_value
      - .offset:         128
        .size:           4
        .value_kind:     hidden_block_count_x
      - .offset:         132
        .size:           4
        .value_kind:     hidden_block_count_y
      - .offset:         136
        .size:           4
        .value_kind:     hidden_block_count_z
      - .offset:         140
        .size:           2
        .value_kind:     hidden_group_size_x
      - .offset:         142
        .size:           2
        .value_kind:     hidden_group_size_y
      - .offset:         144
        .size:           2
        .value_kind:     hidden_group_size_z
      - .offset:         146
        .size:           2
        .value_kind:     hidden_remainder_x
      - .offset:         148
        .size:           2
        .value_kind:     hidden_remainder_y
      - .offset:         150
        .size:           2
        .value_kind:     hidden_remainder_z
      - .offset:         168
        .size:           8
        .value_kind:     hidden_global_offset_x
      - .offset:         176
        .size:           8
        .value_kind:     hidden_global_offset_y
      - .offset:         184
        .size:           8
        .value_kind:     hidden_global_offset_z
      - .offset:         192
        .size:           2
        .value_kind:     hidden_grid_dims
      - .offset:         208
        .size:           8
        .value_kind:     hidden_hostcall_buffer
    .group_segment_fixed_size: 0
    .kernarg_segment_align: 8
    .kernarg_segment_size: 384
    .language:       OpenCL C
    .language_version:
      - 2
      - 0
    .max_flat_workgroup_size: 448
    .name:           _ZL13mul_mat_f_idsI7__half2Li32ELi4ELi7EEvPKT_PKfPKiS7_S7_Pfiiiiiiiiiiiiii15HIP_vector_typeIjLj3EESA_
    .private_segment_fixed_size: 16
    .sgpr_count:     40
    .sgpr_spill_count: 0
    .symbol:         _ZL13mul_mat_f_idsI7__half2Li32ELi4ELi7EEvPKT_PKfPKiS7_S7_Pfiiiiiiiiiiiiii15HIP_vector_typeIjLj3EESA_.kd
    .uniform_work_group_size: 1
    .uses_dynamic_stack: false
    .vgpr_count:     41
    .vgpr_spill_count: 0
    .wavefront_size: 64
  - .agpr_count:     0
    .args:
      - .actual_access:  read_only
        .address_space:  global
        .offset:         0
        .size:           8
        .value_kind:     global_buffer
      - .actual_access:  read_only
        .address_space:  global
        .offset:         8
        .size:           8
        .value_kind:     global_buffer
      - .actual_access:  read_only
        .address_space:  global
        .offset:         16
        .size:           8
        .value_kind:     global_buffer
      - .actual_access:  read_only
        .address_space:  global
        .offset:         24
        .size:           8
        .value_kind:     global_buffer
      - .offset:         32
        .size:           4
        .value_kind:     by_value
      - .offset:         36
        .size:           4
        .value_kind:     by_value
      - .offset:         40
        .size:           4
        .value_kind:     by_value
      - .offset:         44
        .size:           4
        .value_kind:     by_value
      - .offset:         48
        .size:           4
        .value_kind:     by_value
      - .offset:         52
        .size:           4
        .value_kind:     by_value
      - .offset:         56
        .size:           4
        .value_kind:     by_value
      - .offset:         60
        .size:           4
        .value_kind:     by_value
      - .offset:         64
        .size:           4
        .value_kind:     by_value
      - .offset:         68
        .size:           4
        .value_kind:     by_value
      - .offset:         72
        .size:           4
        .value_kind:     by_value
      - .offset:         76
        .size:           4
        .value_kind:     by_value
      - .offset:         80
        .size:           4
        .value_kind:     by_value
      - .offset:         84
        .size:           4
        .value_kind:     by_value
      - .offset:         88
        .size:           4
        .value_kind:     by_value
      - .offset:         92
        .size:           4
        .value_kind:     by_value
      - .offset:         96
        .size:           4
        .value_kind:     hidden_block_count_x
      - .offset:         100
        .size:           4
        .value_kind:     hidden_block_count_y
      - .offset:         104
        .size:           4
        .value_kind:     hidden_block_count_z
      - .offset:         108
        .size:           2
        .value_kind:     hidden_group_size_x
      - .offset:         110
        .size:           2
        .value_kind:     hidden_group_size_y
      - .offset:         112
        .size:           2
        .value_kind:     hidden_group_size_z
      - .offset:         114
        .size:           2
        .value_kind:     hidden_remainder_x
      - .offset:         116
        .size:           2
        .value_kind:     hidden_remainder_y
      - .offset:         118
        .size:           2
        .value_kind:     hidden_remainder_z
      - .offset:         136
        .size:           8
        .value_kind:     hidden_global_offset_x
      - .offset:         144
        .size:           8
        .value_kind:     hidden_global_offset_y
      - .offset:         152
        .size:           8
        .value_kind:     hidden_global_offset_z
      - .offset:         160
        .size:           2
        .value_kind:     hidden_grid_dims
      - .offset:         176
        .size:           8
        .value_kind:     hidden_hostcall_buffer
    .group_segment_fixed_size: 0
    .kernarg_segment_align: 8
    .kernarg_segment_size: 352
    .language:       OpenCL C
    .language_version:
      - 2
      - 0
    .max_flat_workgroup_size: 448
    .name:           _ZL9mul_mat_fI7__half2Li32ELi4ELi7ELb1EEvPKT_PKfPKiPfiiiiiiiiiiiiiiii
    .private_segment_fixed_size: 16
    .sgpr_count:     40
    .sgpr_spill_count: 0
    .symbol:         _ZL9mul_mat_fI7__half2Li32ELi4ELi7ELb1EEvPKT_PKfPKiPfiiiiiiiiiiiiiiii.kd
    .uniform_work_group_size: 1
    .uses_dynamic_stack: false
    .vgpr_count:     41
    .vgpr_spill_count: 0
    .wavefront_size: 64
  - .agpr_count:     0
    .args:
      - .actual_access:  read_only
        .address_space:  global
        .offset:         0
        .size:           8
        .value_kind:     global_buffer
      - .actual_access:  read_only
        .address_space:  global
        .offset:         8
        .size:           8
        .value_kind:     global_buffer
      - .actual_access:  read_only
        .address_space:  global
        .offset:         16
        .size:           8
        .value_kind:     global_buffer
      - .actual_access:  read_only
        .address_space:  global
        .offset:         24
        .size:           8
        .value_kind:     global_buffer
      - .offset:         32
        .size:           4
        .value_kind:     by_value
      - .offset:         36
        .size:           4
        .value_kind:     by_value
      - .offset:         40
        .size:           4
        .value_kind:     by_value
      - .offset:         44
        .size:           4
        .value_kind:     by_value
      - .offset:         48
        .size:           4
        .value_kind:     by_value
      - .offset:         52
        .size:           4
        .value_kind:     by_value
      - .offset:         56
        .size:           4
        .value_kind:     by_value
      - .offset:         60
        .size:           4
        .value_kind:     by_value
      - .offset:         64
        .size:           4
        .value_kind:     by_value
      - .offset:         68
        .size:           4
        .value_kind:     by_value
      - .offset:         72
        .size:           4
        .value_kind:     by_value
      - .offset:         76
        .size:           4
        .value_kind:     by_value
      - .offset:         80
        .size:           4
        .value_kind:     by_value
      - .offset:         84
        .size:           4
        .value_kind:     by_value
      - .offset:         88
        .size:           4
        .value_kind:     by_value
      - .offset:         92
        .size:           4
        .value_kind:     by_value
      - .offset:         96
        .size:           4
        .value_kind:     hidden_block_count_x
      - .offset:         100
        .size:           4
        .value_kind:     hidden_block_count_y
      - .offset:         104
        .size:           4
        .value_kind:     hidden_block_count_z
      - .offset:         108
        .size:           2
        .value_kind:     hidden_group_size_x
      - .offset:         110
        .size:           2
        .value_kind:     hidden_group_size_y
      - .offset:         112
        .size:           2
        .value_kind:     hidden_group_size_z
      - .offset:         114
        .size:           2
        .value_kind:     hidden_remainder_x
      - .offset:         116
        .size:           2
        .value_kind:     hidden_remainder_y
      - .offset:         118
        .size:           2
        .value_kind:     hidden_remainder_z
      - .offset:         136
        .size:           8
        .value_kind:     hidden_global_offset_x
      - .offset:         144
        .size:           8
        .value_kind:     hidden_global_offset_y
      - .offset:         152
        .size:           8
        .value_kind:     hidden_global_offset_z
      - .offset:         160
        .size:           2
        .value_kind:     hidden_grid_dims
      - .offset:         176
        .size:           8
        .value_kind:     hidden_hostcall_buffer
    .group_segment_fixed_size: 0
    .kernarg_segment_align: 8
    .kernarg_segment_size: 352
    .language:       OpenCL C
    .language_version:
      - 2
      - 0
    .max_flat_workgroup_size: 448
    .name:           _ZL9mul_mat_fI7__half2Li32ELi4ELi7ELb0EEvPKT_PKfPKiPfiiiiiiiiiiiiiiii
    .private_segment_fixed_size: 16
    .sgpr_count:     40
    .sgpr_spill_count: 0
    .symbol:         _ZL9mul_mat_fI7__half2Li32ELi4ELi7ELb0EEvPKT_PKfPKiPfiiiiiiiiiiiiiiii.kd
    .uniform_work_group_size: 1
    .uses_dynamic_stack: false
    .vgpr_count:     41
    .vgpr_spill_count: 0
    .wavefront_size: 64
  - .agpr_count:     0
    .args:
      - .actual_access:  read_only
        .address_space:  global
        .offset:         0
        .size:           8
        .value_kind:     global_buffer
      - .actual_access:  read_only
        .address_space:  global
        .offset:         8
        .size:           8
        .value_kind:     global_buffer
      - .actual_access:  read_only
        .address_space:  global
        .offset:         16
        .size:           8
        .value_kind:     global_buffer
      - .actual_access:  read_only
        .address_space:  global
        .offset:         24
        .size:           8
        .value_kind:     global_buffer
      - .actual_access:  read_only
        .address_space:  global
        .offset:         32
        .size:           8
        .value_kind:     global_buffer
      - .actual_access:  read_only
        .address_space:  global
        .offset:         40
        .size:           8
        .value_kind:     global_buffer
      - .offset:         48
        .size:           4
        .value_kind:     by_value
      - .offset:         52
        .size:           4
        .value_kind:     by_value
      - .offset:         56
        .size:           4
        .value_kind:     by_value
      - .offset:         60
        .size:           4
        .value_kind:     by_value
      - .offset:         64
        .size:           4
        .value_kind:     by_value
      - .offset:         68
        .size:           4
        .value_kind:     by_value
      - .offset:         72
        .size:           4
        .value_kind:     by_value
      - .offset:         76
        .size:           4
        .value_kind:     by_value
      - .offset:         80
        .size:           4
        .value_kind:     by_value
      - .offset:         84
        .size:           4
        .value_kind:     by_value
      - .offset:         88
        .size:           4
        .value_kind:     by_value
      - .offset:         92
        .size:           4
        .value_kind:     by_value
      - .offset:         96
        .size:           4
        .value_kind:     by_value
      - .offset:         100
        .size:           4
        .value_kind:     by_value
      - .offset:         104
        .size:           12
        .value_kind:     by_value
      - .offset:         116
        .size:           12
        .value_kind:     by_value
      - .offset:         128
        .size:           4
        .value_kind:     hidden_block_count_x
      - .offset:         132
        .size:           4
        .value_kind:     hidden_block_count_y
      - .offset:         136
        .size:           4
        .value_kind:     hidden_block_count_z
      - .offset:         140
        .size:           2
        .value_kind:     hidden_group_size_x
      - .offset:         142
        .size:           2
        .value_kind:     hidden_group_size_y
      - .offset:         144
        .size:           2
        .value_kind:     hidden_group_size_z
      - .offset:         146
        .size:           2
        .value_kind:     hidden_remainder_x
      - .offset:         148
        .size:           2
        .value_kind:     hidden_remainder_y
      - .offset:         150
        .size:           2
        .value_kind:     hidden_remainder_z
      - .offset:         168
        .size:           8
        .value_kind:     hidden_global_offset_x
      - .offset:         176
        .size:           8
        .value_kind:     hidden_global_offset_y
      - .offset:         184
        .size:           8
        .value_kind:     hidden_global_offset_z
      - .offset:         192
        .size:           2
        .value_kind:     hidden_grid_dims
      - .offset:         208
        .size:           8
        .value_kind:     hidden_hostcall_buffer
    .group_segment_fixed_size: 0
    .kernarg_segment_align: 8
    .kernarg_segment_size: 384
    .language:       OpenCL C
    .language_version:
      - 2
      - 0
    .max_flat_workgroup_size: 512
    .name:           _ZL13mul_mat_f_idsI7__half2Li32ELi4ELi8EEvPKT_PKfPKiS7_S7_Pfiiiiiiiiiiiiii15HIP_vector_typeIjLj3EESA_
    .private_segment_fixed_size: 16
    .sgpr_count:     40
    .sgpr_spill_count: 0
    .symbol:         _ZL13mul_mat_f_idsI7__half2Li32ELi4ELi8EEvPKT_PKfPKiS7_S7_Pfiiiiiiiiiiiiii15HIP_vector_typeIjLj3EESA_.kd
    .uniform_work_group_size: 1
    .uses_dynamic_stack: false
    .vgpr_count:     41
    .vgpr_spill_count: 0
    .wavefront_size: 64
  - .agpr_count:     0
    .args:
      - .actual_access:  read_only
        .address_space:  global
        .offset:         0
        .size:           8
        .value_kind:     global_buffer
      - .actual_access:  read_only
        .address_space:  global
        .offset:         8
        .size:           8
        .value_kind:     global_buffer
      - .actual_access:  read_only
        .address_space:  global
        .offset:         16
        .size:           8
        .value_kind:     global_buffer
      - .actual_access:  read_only
        .address_space:  global
        .offset:         24
        .size:           8
        .value_kind:     global_buffer
      - .offset:         32
        .size:           4
        .value_kind:     by_value
      - .offset:         36
        .size:           4
        .value_kind:     by_value
      - .offset:         40
        .size:           4
        .value_kind:     by_value
      - .offset:         44
        .size:           4
        .value_kind:     by_value
      - .offset:         48
        .size:           4
        .value_kind:     by_value
      - .offset:         52
        .size:           4
        .value_kind:     by_value
      - .offset:         56
        .size:           4
        .value_kind:     by_value
      - .offset:         60
        .size:           4
        .value_kind:     by_value
      - .offset:         64
        .size:           4
        .value_kind:     by_value
      - .offset:         68
        .size:           4
        .value_kind:     by_value
      - .offset:         72
        .size:           4
        .value_kind:     by_value
      - .offset:         76
        .size:           4
        .value_kind:     by_value
      - .offset:         80
        .size:           4
        .value_kind:     by_value
      - .offset:         84
        .size:           4
        .value_kind:     by_value
      - .offset:         88
        .size:           4
        .value_kind:     by_value
      - .offset:         92
        .size:           4
        .value_kind:     by_value
      - .offset:         96
        .size:           4
        .value_kind:     hidden_block_count_x
      - .offset:         100
        .size:           4
        .value_kind:     hidden_block_count_y
      - .offset:         104
        .size:           4
        .value_kind:     hidden_block_count_z
      - .offset:         108
        .size:           2
        .value_kind:     hidden_group_size_x
      - .offset:         110
        .size:           2
        .value_kind:     hidden_group_size_y
      - .offset:         112
        .size:           2
        .value_kind:     hidden_group_size_z
      - .offset:         114
        .size:           2
        .value_kind:     hidden_remainder_x
      - .offset:         116
        .size:           2
        .value_kind:     hidden_remainder_y
      - .offset:         118
        .size:           2
        .value_kind:     hidden_remainder_z
      - .offset:         136
        .size:           8
        .value_kind:     hidden_global_offset_x
      - .offset:         144
        .size:           8
        .value_kind:     hidden_global_offset_y
      - .offset:         152
        .size:           8
        .value_kind:     hidden_global_offset_z
      - .offset:         160
        .size:           2
        .value_kind:     hidden_grid_dims
      - .offset:         176
        .size:           8
        .value_kind:     hidden_hostcall_buffer
    .group_segment_fixed_size: 0
    .kernarg_segment_align: 8
    .kernarg_segment_size: 352
    .language:       OpenCL C
    .language_version:
      - 2
      - 0
    .max_flat_workgroup_size: 512
    .name:           _ZL9mul_mat_fI7__half2Li32ELi4ELi8ELb1EEvPKT_PKfPKiPfiiiiiiiiiiiiiiii
    .private_segment_fixed_size: 16
    .sgpr_count:     40
    .sgpr_spill_count: 0
    .symbol:         _ZL9mul_mat_fI7__half2Li32ELi4ELi8ELb1EEvPKT_PKfPKiPfiiiiiiiiiiiiiiii.kd
    .uniform_work_group_size: 1
    .uses_dynamic_stack: false
    .vgpr_count:     41
    .vgpr_spill_count: 0
    .wavefront_size: 64
  - .agpr_count:     0
    .args:
      - .actual_access:  read_only
        .address_space:  global
        .offset:         0
        .size:           8
        .value_kind:     global_buffer
      - .actual_access:  read_only
        .address_space:  global
        .offset:         8
        .size:           8
        .value_kind:     global_buffer
      - .actual_access:  read_only
        .address_space:  global
        .offset:         16
        .size:           8
        .value_kind:     global_buffer
      - .actual_access:  read_only
        .address_space:  global
        .offset:         24
        .size:           8
        .value_kind:     global_buffer
      - .offset:         32
        .size:           4
        .value_kind:     by_value
      - .offset:         36
        .size:           4
        .value_kind:     by_value
      - .offset:         40
        .size:           4
        .value_kind:     by_value
      - .offset:         44
        .size:           4
        .value_kind:     by_value
      - .offset:         48
        .size:           4
        .value_kind:     by_value
      - .offset:         52
        .size:           4
        .value_kind:     by_value
      - .offset:         56
        .size:           4
        .value_kind:     by_value
      - .offset:         60
        .size:           4
        .value_kind:     by_value
      - .offset:         64
        .size:           4
        .value_kind:     by_value
      - .offset:         68
        .size:           4
        .value_kind:     by_value
      - .offset:         72
        .size:           4
        .value_kind:     by_value
      - .offset:         76
        .size:           4
        .value_kind:     by_value
      - .offset:         80
        .size:           4
        .value_kind:     by_value
      - .offset:         84
        .size:           4
        .value_kind:     by_value
      - .offset:         88
        .size:           4
        .value_kind:     by_value
      - .offset:         92
        .size:           4
        .value_kind:     by_value
      - .offset:         96
        .size:           4
        .value_kind:     hidden_block_count_x
      - .offset:         100
        .size:           4
        .value_kind:     hidden_block_count_y
      - .offset:         104
        .size:           4
        .value_kind:     hidden_block_count_z
      - .offset:         108
        .size:           2
        .value_kind:     hidden_group_size_x
      - .offset:         110
        .size:           2
        .value_kind:     hidden_group_size_y
      - .offset:         112
        .size:           2
        .value_kind:     hidden_group_size_z
      - .offset:         114
        .size:           2
        .value_kind:     hidden_remainder_x
      - .offset:         116
        .size:           2
        .value_kind:     hidden_remainder_y
      - .offset:         118
        .size:           2
        .value_kind:     hidden_remainder_z
      - .offset:         136
        .size:           8
        .value_kind:     hidden_global_offset_x
      - .offset:         144
        .size:           8
        .value_kind:     hidden_global_offset_y
      - .offset:         152
        .size:           8
        .value_kind:     hidden_global_offset_z
      - .offset:         160
        .size:           2
        .value_kind:     hidden_grid_dims
      - .offset:         176
        .size:           8
        .value_kind:     hidden_hostcall_buffer
    .group_segment_fixed_size: 0
    .kernarg_segment_align: 8
    .kernarg_segment_size: 352
    .language:       OpenCL C
    .language_version:
      - 2
      - 0
    .max_flat_workgroup_size: 512
    .name:           _ZL9mul_mat_fI7__half2Li32ELi4ELi8ELb0EEvPKT_PKfPKiPfiiiiiiiiiiiiiiii
    .private_segment_fixed_size: 16
    .sgpr_count:     40
    .sgpr_spill_count: 0
    .symbol:         _ZL9mul_mat_fI7__half2Li32ELi4ELi8ELb0EEvPKT_PKfPKiPfiiiiiiiiiiiiiiii.kd
    .uniform_work_group_size: 1
    .uses_dynamic_stack: false
    .vgpr_count:     41
    .vgpr_spill_count: 0
    .wavefront_size: 64
  - .agpr_count:     0
    .args:
      - .actual_access:  read_only
        .address_space:  global
        .offset:         0
        .size:           8
        .value_kind:     global_buffer
      - .actual_access:  read_only
        .address_space:  global
        .offset:         8
        .size:           8
        .value_kind:     global_buffer
      - .actual_access:  read_only
        .address_space:  global
        .offset:         16
        .size:           8
        .value_kind:     global_buffer
      - .actual_access:  read_only
        .address_space:  global
        .offset:         24
        .size:           8
        .value_kind:     global_buffer
      - .actual_access:  read_only
        .address_space:  global
        .offset:         32
        .size:           8
        .value_kind:     global_buffer
      - .actual_access:  read_only
        .address_space:  global
        .offset:         40
        .size:           8
        .value_kind:     global_buffer
      - .offset:         48
        .size:           4
        .value_kind:     by_value
      - .offset:         52
        .size:           4
        .value_kind:     by_value
      - .offset:         56
        .size:           4
        .value_kind:     by_value
      - .offset:         60
        .size:           4
        .value_kind:     by_value
      - .offset:         64
        .size:           4
        .value_kind:     by_value
      - .offset:         68
        .size:           4
        .value_kind:     by_value
      - .offset:         72
        .size:           4
        .value_kind:     by_value
      - .offset:         76
        .size:           4
        .value_kind:     by_value
      - .offset:         80
        .size:           4
        .value_kind:     by_value
      - .offset:         84
        .size:           4
        .value_kind:     by_value
      - .offset:         88
        .size:           4
        .value_kind:     by_value
      - .offset:         92
        .size:           4
        .value_kind:     by_value
      - .offset:         96
        .size:           4
        .value_kind:     by_value
      - .offset:         100
        .size:           4
        .value_kind:     by_value
      - .offset:         104
        .size:           12
        .value_kind:     by_value
      - .offset:         116
        .size:           12
        .value_kind:     by_value
      - .offset:         128
        .size:           4
        .value_kind:     hidden_block_count_x
      - .offset:         132
        .size:           4
        .value_kind:     hidden_block_count_y
      - .offset:         136
        .size:           4
        .value_kind:     hidden_block_count_z
      - .offset:         140
        .size:           2
        .value_kind:     hidden_group_size_x
      - .offset:         142
        .size:           2
        .value_kind:     hidden_group_size_y
      - .offset:         144
        .size:           2
        .value_kind:     hidden_group_size_z
      - .offset:         146
        .size:           2
        .value_kind:     hidden_remainder_x
      - .offset:         148
        .size:           2
        .value_kind:     hidden_remainder_y
      - .offset:         150
        .size:           2
        .value_kind:     hidden_remainder_z
      - .offset:         168
        .size:           8
        .value_kind:     hidden_global_offset_x
      - .offset:         176
        .size:           8
        .value_kind:     hidden_global_offset_y
      - .offset:         184
        .size:           8
        .value_kind:     hidden_global_offset_z
      - .offset:         192
        .size:           2
        .value_kind:     hidden_grid_dims
      - .offset:         208
        .size:           8
        .value_kind:     hidden_hostcall_buffer
    .group_segment_fixed_size: 0
    .kernarg_segment_align: 8
    .kernarg_segment_size: 384
    .language:       OpenCL C
    .language_version:
      - 2
      - 0
    .max_flat_workgroup_size: 64
    .name:           _ZL13mul_mat_f_idsI15__hip_bfloat162Li32ELi4ELi1EEvPKT_PKfPKiS7_S7_Pfiiiiiiiiiiiiii15HIP_vector_typeIjLj3EESA_
    .private_segment_fixed_size: 16
    .sgpr_count:     40
    .sgpr_spill_count: 0
    .symbol:         _ZL13mul_mat_f_idsI15__hip_bfloat162Li32ELi4ELi1EEvPKT_PKfPKiS7_S7_Pfiiiiiiiiiiiiii15HIP_vector_typeIjLj3EESA_.kd
    .uniform_work_group_size: 1
    .uses_dynamic_stack: false
    .vgpr_count:     41
    .vgpr_spill_count: 0
    .wavefront_size: 64
  - .agpr_count:     0
    .args:
      - .actual_access:  read_only
        .address_space:  global
        .offset:         0
        .size:           8
        .value_kind:     global_buffer
      - .actual_access:  read_only
        .address_space:  global
        .offset:         8
        .size:           8
        .value_kind:     global_buffer
      - .actual_access:  read_only
        .address_space:  global
        .offset:         16
        .size:           8
        .value_kind:     global_buffer
      - .actual_access:  read_only
        .address_space:  global
        .offset:         24
        .size:           8
        .value_kind:     global_buffer
      - .offset:         32
        .size:           4
        .value_kind:     by_value
      - .offset:         36
        .size:           4
        .value_kind:     by_value
      - .offset:         40
        .size:           4
        .value_kind:     by_value
      - .offset:         44
        .size:           4
        .value_kind:     by_value
      - .offset:         48
        .size:           4
        .value_kind:     by_value
      - .offset:         52
        .size:           4
        .value_kind:     by_value
      - .offset:         56
        .size:           4
        .value_kind:     by_value
      - .offset:         60
        .size:           4
        .value_kind:     by_value
      - .offset:         64
        .size:           4
        .value_kind:     by_value
      - .offset:         68
        .size:           4
        .value_kind:     by_value
      - .offset:         72
        .size:           4
        .value_kind:     by_value
      - .offset:         76
        .size:           4
        .value_kind:     by_value
      - .offset:         80
        .size:           4
        .value_kind:     by_value
      - .offset:         84
        .size:           4
        .value_kind:     by_value
      - .offset:         88
        .size:           4
        .value_kind:     by_value
      - .offset:         92
        .size:           4
        .value_kind:     by_value
      - .offset:         96
        .size:           4
        .value_kind:     hidden_block_count_x
      - .offset:         100
        .size:           4
        .value_kind:     hidden_block_count_y
      - .offset:         104
        .size:           4
        .value_kind:     hidden_block_count_z
      - .offset:         108
        .size:           2
        .value_kind:     hidden_group_size_x
      - .offset:         110
        .size:           2
        .value_kind:     hidden_group_size_y
      - .offset:         112
        .size:           2
        .value_kind:     hidden_group_size_z
      - .offset:         114
        .size:           2
        .value_kind:     hidden_remainder_x
      - .offset:         116
        .size:           2
        .value_kind:     hidden_remainder_y
      - .offset:         118
        .size:           2
        .value_kind:     hidden_remainder_z
      - .offset:         136
        .size:           8
        .value_kind:     hidden_global_offset_x
      - .offset:         144
        .size:           8
        .value_kind:     hidden_global_offset_y
      - .offset:         152
        .size:           8
        .value_kind:     hidden_global_offset_z
      - .offset:         160
        .size:           2
        .value_kind:     hidden_grid_dims
      - .offset:         176
        .size:           8
        .value_kind:     hidden_hostcall_buffer
    .group_segment_fixed_size: 0
    .kernarg_segment_align: 8
    .kernarg_segment_size: 352
    .language:       OpenCL C
    .language_version:
      - 2
      - 0
    .max_flat_workgroup_size: 64
    .name:           _ZL9mul_mat_fI15__hip_bfloat162Li32ELi4ELi1ELb1EEvPKT_PKfPKiPfiiiiiiiiiiiiiiii
    .private_segment_fixed_size: 16
    .sgpr_count:     40
    .sgpr_spill_count: 0
    .symbol:         _ZL9mul_mat_fI15__hip_bfloat162Li32ELi4ELi1ELb1EEvPKT_PKfPKiPfiiiiiiiiiiiiiiii.kd
    .uniform_work_group_size: 1
    .uses_dynamic_stack: false
    .vgpr_count:     41
    .vgpr_spill_count: 0
    .wavefront_size: 64
  - .agpr_count:     0
    .args:
      - .actual_access:  read_only
        .address_space:  global
        .offset:         0
        .size:           8
        .value_kind:     global_buffer
      - .actual_access:  read_only
        .address_space:  global
        .offset:         8
        .size:           8
        .value_kind:     global_buffer
      - .actual_access:  read_only
        .address_space:  global
        .offset:         16
        .size:           8
        .value_kind:     global_buffer
      - .actual_access:  read_only
        .address_space:  global
        .offset:         24
        .size:           8
        .value_kind:     global_buffer
      - .offset:         32
        .size:           4
        .value_kind:     by_value
      - .offset:         36
        .size:           4
        .value_kind:     by_value
      - .offset:         40
        .size:           4
        .value_kind:     by_value
      - .offset:         44
        .size:           4
        .value_kind:     by_value
      - .offset:         48
        .size:           4
        .value_kind:     by_value
      - .offset:         52
        .size:           4
        .value_kind:     by_value
      - .offset:         56
        .size:           4
        .value_kind:     by_value
      - .offset:         60
        .size:           4
        .value_kind:     by_value
      - .offset:         64
        .size:           4
        .value_kind:     by_value
      - .offset:         68
        .size:           4
        .value_kind:     by_value
      - .offset:         72
        .size:           4
        .value_kind:     by_value
      - .offset:         76
        .size:           4
        .value_kind:     by_value
      - .offset:         80
        .size:           4
        .value_kind:     by_value
      - .offset:         84
        .size:           4
        .value_kind:     by_value
      - .offset:         88
        .size:           4
        .value_kind:     by_value
      - .offset:         92
        .size:           4
        .value_kind:     by_value
      - .offset:         96
        .size:           4
        .value_kind:     hidden_block_count_x
      - .offset:         100
        .size:           4
        .value_kind:     hidden_block_count_y
      - .offset:         104
        .size:           4
        .value_kind:     hidden_block_count_z
      - .offset:         108
        .size:           2
        .value_kind:     hidden_group_size_x
      - .offset:         110
        .size:           2
        .value_kind:     hidden_group_size_y
      - .offset:         112
        .size:           2
        .value_kind:     hidden_group_size_z
      - .offset:         114
        .size:           2
        .value_kind:     hidden_remainder_x
      - .offset:         116
        .size:           2
        .value_kind:     hidden_remainder_y
      - .offset:         118
        .size:           2
        .value_kind:     hidden_remainder_z
      - .offset:         136
        .size:           8
        .value_kind:     hidden_global_offset_x
      - .offset:         144
        .size:           8
        .value_kind:     hidden_global_offset_y
      - .offset:         152
        .size:           8
        .value_kind:     hidden_global_offset_z
      - .offset:         160
        .size:           2
        .value_kind:     hidden_grid_dims
      - .offset:         176
        .size:           8
        .value_kind:     hidden_hostcall_buffer
    .group_segment_fixed_size: 0
    .kernarg_segment_align: 8
    .kernarg_segment_size: 352
    .language:       OpenCL C
    .language_version:
      - 2
      - 0
    .max_flat_workgroup_size: 64
    .name:           _ZL9mul_mat_fI15__hip_bfloat162Li32ELi4ELi1ELb0EEvPKT_PKfPKiPfiiiiiiiiiiiiiiii
    .private_segment_fixed_size: 16
    .sgpr_count:     40
    .sgpr_spill_count: 0
    .symbol:         _ZL9mul_mat_fI15__hip_bfloat162Li32ELi4ELi1ELb0EEvPKT_PKfPKiPfiiiiiiiiiiiiiiii.kd
    .uniform_work_group_size: 1
    .uses_dynamic_stack: false
    .vgpr_count:     41
    .vgpr_spill_count: 0
    .wavefront_size: 64
  - .agpr_count:     0
    .args:
      - .actual_access:  read_only
        .address_space:  global
        .offset:         0
        .size:           8
        .value_kind:     global_buffer
      - .actual_access:  read_only
        .address_space:  global
        .offset:         8
        .size:           8
        .value_kind:     global_buffer
      - .actual_access:  read_only
        .address_space:  global
        .offset:         16
        .size:           8
        .value_kind:     global_buffer
      - .actual_access:  read_only
        .address_space:  global
        .offset:         24
        .size:           8
        .value_kind:     global_buffer
      - .actual_access:  read_only
        .address_space:  global
        .offset:         32
        .size:           8
        .value_kind:     global_buffer
      - .actual_access:  read_only
        .address_space:  global
        .offset:         40
        .size:           8
        .value_kind:     global_buffer
      - .offset:         48
        .size:           4
        .value_kind:     by_value
      - .offset:         52
        .size:           4
        .value_kind:     by_value
      - .offset:         56
        .size:           4
        .value_kind:     by_value
      - .offset:         60
        .size:           4
        .value_kind:     by_value
      - .offset:         64
        .size:           4
        .value_kind:     by_value
      - .offset:         68
        .size:           4
        .value_kind:     by_value
      - .offset:         72
        .size:           4
        .value_kind:     by_value
      - .offset:         76
        .size:           4
        .value_kind:     by_value
      - .offset:         80
        .size:           4
        .value_kind:     by_value
      - .offset:         84
        .size:           4
        .value_kind:     by_value
      - .offset:         88
        .size:           4
        .value_kind:     by_value
      - .offset:         92
        .size:           4
        .value_kind:     by_value
      - .offset:         96
        .size:           4
        .value_kind:     by_value
      - .offset:         100
        .size:           4
        .value_kind:     by_value
      - .offset:         104
        .size:           12
        .value_kind:     by_value
      - .offset:         116
        .size:           12
        .value_kind:     by_value
      - .offset:         128
        .size:           4
        .value_kind:     hidden_block_count_x
      - .offset:         132
        .size:           4
        .value_kind:     hidden_block_count_y
      - .offset:         136
        .size:           4
        .value_kind:     hidden_block_count_z
      - .offset:         140
        .size:           2
        .value_kind:     hidden_group_size_x
      - .offset:         142
        .size:           2
        .value_kind:     hidden_group_size_y
      - .offset:         144
        .size:           2
        .value_kind:     hidden_group_size_z
      - .offset:         146
        .size:           2
        .value_kind:     hidden_remainder_x
      - .offset:         148
        .size:           2
        .value_kind:     hidden_remainder_y
      - .offset:         150
        .size:           2
        .value_kind:     hidden_remainder_z
      - .offset:         168
        .size:           8
        .value_kind:     hidden_global_offset_x
      - .offset:         176
        .size:           8
        .value_kind:     hidden_global_offset_y
      - .offset:         184
        .size:           8
        .value_kind:     hidden_global_offset_z
      - .offset:         192
        .size:           2
        .value_kind:     hidden_grid_dims
      - .offset:         208
        .size:           8
        .value_kind:     hidden_hostcall_buffer
    .group_segment_fixed_size: 0
    .kernarg_segment_align: 8
    .kernarg_segment_size: 384
    .language:       OpenCL C
    .language_version:
      - 2
      - 0
    .max_flat_workgroup_size: 128
    .name:           _ZL13mul_mat_f_idsI15__hip_bfloat162Li32ELi4ELi2EEvPKT_PKfPKiS7_S7_Pfiiiiiiiiiiiiii15HIP_vector_typeIjLj3EESA_
    .private_segment_fixed_size: 16
    .sgpr_count:     40
    .sgpr_spill_count: 0
    .symbol:         _ZL13mul_mat_f_idsI15__hip_bfloat162Li32ELi4ELi2EEvPKT_PKfPKiS7_S7_Pfiiiiiiiiiiiiii15HIP_vector_typeIjLj3EESA_.kd
    .uniform_work_group_size: 1
    .uses_dynamic_stack: false
    .vgpr_count:     41
    .vgpr_spill_count: 0
    .wavefront_size: 64
  - .agpr_count:     0
    .args:
      - .actual_access:  read_only
        .address_space:  global
        .offset:         0
        .size:           8
        .value_kind:     global_buffer
      - .actual_access:  read_only
        .address_space:  global
        .offset:         8
        .size:           8
        .value_kind:     global_buffer
      - .actual_access:  read_only
        .address_space:  global
        .offset:         16
        .size:           8
        .value_kind:     global_buffer
      - .actual_access:  read_only
        .address_space:  global
        .offset:         24
        .size:           8
        .value_kind:     global_buffer
      - .offset:         32
        .size:           4
        .value_kind:     by_value
      - .offset:         36
        .size:           4
        .value_kind:     by_value
      - .offset:         40
        .size:           4
        .value_kind:     by_value
      - .offset:         44
        .size:           4
        .value_kind:     by_value
      - .offset:         48
        .size:           4
        .value_kind:     by_value
      - .offset:         52
        .size:           4
        .value_kind:     by_value
      - .offset:         56
        .size:           4
        .value_kind:     by_value
      - .offset:         60
        .size:           4
        .value_kind:     by_value
      - .offset:         64
        .size:           4
        .value_kind:     by_value
      - .offset:         68
        .size:           4
        .value_kind:     by_value
      - .offset:         72
        .size:           4
        .value_kind:     by_value
      - .offset:         76
        .size:           4
        .value_kind:     by_value
      - .offset:         80
        .size:           4
        .value_kind:     by_value
      - .offset:         84
        .size:           4
        .value_kind:     by_value
      - .offset:         88
        .size:           4
        .value_kind:     by_value
      - .offset:         92
        .size:           4
        .value_kind:     by_value
      - .offset:         96
        .size:           4
        .value_kind:     hidden_block_count_x
      - .offset:         100
        .size:           4
        .value_kind:     hidden_block_count_y
      - .offset:         104
        .size:           4
        .value_kind:     hidden_block_count_z
      - .offset:         108
        .size:           2
        .value_kind:     hidden_group_size_x
      - .offset:         110
        .size:           2
        .value_kind:     hidden_group_size_y
      - .offset:         112
        .size:           2
        .value_kind:     hidden_group_size_z
      - .offset:         114
        .size:           2
        .value_kind:     hidden_remainder_x
      - .offset:         116
        .size:           2
        .value_kind:     hidden_remainder_y
      - .offset:         118
        .size:           2
        .value_kind:     hidden_remainder_z
      - .offset:         136
        .size:           8
        .value_kind:     hidden_global_offset_x
      - .offset:         144
        .size:           8
        .value_kind:     hidden_global_offset_y
      - .offset:         152
        .size:           8
        .value_kind:     hidden_global_offset_z
      - .offset:         160
        .size:           2
        .value_kind:     hidden_grid_dims
      - .offset:         176
        .size:           8
        .value_kind:     hidden_hostcall_buffer
    .group_segment_fixed_size: 0
    .kernarg_segment_align: 8
    .kernarg_segment_size: 352
    .language:       OpenCL C
    .language_version:
      - 2
      - 0
    .max_flat_workgroup_size: 128
    .name:           _ZL9mul_mat_fI15__hip_bfloat162Li32ELi4ELi2ELb1EEvPKT_PKfPKiPfiiiiiiiiiiiiiiii
    .private_segment_fixed_size: 16
    .sgpr_count:     40
    .sgpr_spill_count: 0
    .symbol:         _ZL9mul_mat_fI15__hip_bfloat162Li32ELi4ELi2ELb1EEvPKT_PKfPKiPfiiiiiiiiiiiiiiii.kd
    .uniform_work_group_size: 1
    .uses_dynamic_stack: false
    .vgpr_count:     41
    .vgpr_spill_count: 0
    .wavefront_size: 64
  - .agpr_count:     0
    .args:
      - .actual_access:  read_only
        .address_space:  global
        .offset:         0
        .size:           8
        .value_kind:     global_buffer
      - .actual_access:  read_only
        .address_space:  global
        .offset:         8
        .size:           8
        .value_kind:     global_buffer
      - .actual_access:  read_only
        .address_space:  global
        .offset:         16
        .size:           8
        .value_kind:     global_buffer
      - .actual_access:  read_only
        .address_space:  global
        .offset:         24
        .size:           8
        .value_kind:     global_buffer
      - .offset:         32
        .size:           4
        .value_kind:     by_value
      - .offset:         36
        .size:           4
        .value_kind:     by_value
      - .offset:         40
        .size:           4
        .value_kind:     by_value
      - .offset:         44
        .size:           4
        .value_kind:     by_value
      - .offset:         48
        .size:           4
        .value_kind:     by_value
      - .offset:         52
        .size:           4
        .value_kind:     by_value
      - .offset:         56
        .size:           4
        .value_kind:     by_value
      - .offset:         60
        .size:           4
        .value_kind:     by_value
      - .offset:         64
        .size:           4
        .value_kind:     by_value
      - .offset:         68
        .size:           4
        .value_kind:     by_value
      - .offset:         72
        .size:           4
        .value_kind:     by_value
      - .offset:         76
        .size:           4
        .value_kind:     by_value
      - .offset:         80
        .size:           4
        .value_kind:     by_value
      - .offset:         84
        .size:           4
        .value_kind:     by_value
      - .offset:         88
        .size:           4
        .value_kind:     by_value
      - .offset:         92
        .size:           4
        .value_kind:     by_value
      - .offset:         96
        .size:           4
        .value_kind:     hidden_block_count_x
      - .offset:         100
        .size:           4
        .value_kind:     hidden_block_count_y
      - .offset:         104
        .size:           4
        .value_kind:     hidden_block_count_z
      - .offset:         108
        .size:           2
        .value_kind:     hidden_group_size_x
      - .offset:         110
        .size:           2
        .value_kind:     hidden_group_size_y
      - .offset:         112
        .size:           2
        .value_kind:     hidden_group_size_z
      - .offset:         114
        .size:           2
        .value_kind:     hidden_remainder_x
      - .offset:         116
        .size:           2
        .value_kind:     hidden_remainder_y
      - .offset:         118
        .size:           2
        .value_kind:     hidden_remainder_z
      - .offset:         136
        .size:           8
        .value_kind:     hidden_global_offset_x
      - .offset:         144
        .size:           8
        .value_kind:     hidden_global_offset_y
      - .offset:         152
        .size:           8
        .value_kind:     hidden_global_offset_z
      - .offset:         160
        .size:           2
        .value_kind:     hidden_grid_dims
      - .offset:         176
        .size:           8
        .value_kind:     hidden_hostcall_buffer
    .group_segment_fixed_size: 0
    .kernarg_segment_align: 8
    .kernarg_segment_size: 352
    .language:       OpenCL C
    .language_version:
      - 2
      - 0
    .max_flat_workgroup_size: 128
    .name:           _ZL9mul_mat_fI15__hip_bfloat162Li32ELi4ELi2ELb0EEvPKT_PKfPKiPfiiiiiiiiiiiiiiii
    .private_segment_fixed_size: 16
    .sgpr_count:     40
    .sgpr_spill_count: 0
    .symbol:         _ZL9mul_mat_fI15__hip_bfloat162Li32ELi4ELi2ELb0EEvPKT_PKfPKiPfiiiiiiiiiiiiiiii.kd
    .uniform_work_group_size: 1
    .uses_dynamic_stack: false
    .vgpr_count:     41
    .vgpr_spill_count: 0
    .wavefront_size: 64
  - .agpr_count:     0
    .args:
      - .actual_access:  read_only
        .address_space:  global
        .offset:         0
        .size:           8
        .value_kind:     global_buffer
      - .actual_access:  read_only
        .address_space:  global
        .offset:         8
        .size:           8
        .value_kind:     global_buffer
      - .actual_access:  read_only
        .address_space:  global
        .offset:         16
        .size:           8
        .value_kind:     global_buffer
      - .actual_access:  read_only
        .address_space:  global
        .offset:         24
        .size:           8
        .value_kind:     global_buffer
      - .actual_access:  read_only
        .address_space:  global
        .offset:         32
        .size:           8
        .value_kind:     global_buffer
      - .actual_access:  read_only
        .address_space:  global
        .offset:         40
        .size:           8
        .value_kind:     global_buffer
      - .offset:         48
        .size:           4
        .value_kind:     by_value
      - .offset:         52
        .size:           4
        .value_kind:     by_value
      - .offset:         56
        .size:           4
        .value_kind:     by_value
      - .offset:         60
        .size:           4
        .value_kind:     by_value
      - .offset:         64
        .size:           4
        .value_kind:     by_value
      - .offset:         68
        .size:           4
        .value_kind:     by_value
      - .offset:         72
        .size:           4
        .value_kind:     by_value
      - .offset:         76
        .size:           4
        .value_kind:     by_value
      - .offset:         80
        .size:           4
        .value_kind:     by_value
      - .offset:         84
        .size:           4
        .value_kind:     by_value
      - .offset:         88
        .size:           4
        .value_kind:     by_value
      - .offset:         92
        .size:           4
        .value_kind:     by_value
      - .offset:         96
        .size:           4
        .value_kind:     by_value
      - .offset:         100
        .size:           4
        .value_kind:     by_value
      - .offset:         104
        .size:           12
        .value_kind:     by_value
      - .offset:         116
        .size:           12
        .value_kind:     by_value
      - .offset:         128
        .size:           4
        .value_kind:     hidden_block_count_x
      - .offset:         132
        .size:           4
        .value_kind:     hidden_block_count_y
      - .offset:         136
        .size:           4
        .value_kind:     hidden_block_count_z
      - .offset:         140
        .size:           2
        .value_kind:     hidden_group_size_x
      - .offset:         142
        .size:           2
        .value_kind:     hidden_group_size_y
      - .offset:         144
        .size:           2
        .value_kind:     hidden_group_size_z
      - .offset:         146
        .size:           2
        .value_kind:     hidden_remainder_x
      - .offset:         148
        .size:           2
        .value_kind:     hidden_remainder_y
      - .offset:         150
        .size:           2
        .value_kind:     hidden_remainder_z
      - .offset:         168
        .size:           8
        .value_kind:     hidden_global_offset_x
      - .offset:         176
        .size:           8
        .value_kind:     hidden_global_offset_y
      - .offset:         184
        .size:           8
        .value_kind:     hidden_global_offset_z
      - .offset:         192
        .size:           2
        .value_kind:     hidden_grid_dims
      - .offset:         208
        .size:           8
        .value_kind:     hidden_hostcall_buffer
    .group_segment_fixed_size: 0
    .kernarg_segment_align: 8
    .kernarg_segment_size: 384
    .language:       OpenCL C
    .language_version:
      - 2
      - 0
    .max_flat_workgroup_size: 192
    .name:           _ZL13mul_mat_f_idsI15__hip_bfloat162Li32ELi4ELi3EEvPKT_PKfPKiS7_S7_Pfiiiiiiiiiiiiii15HIP_vector_typeIjLj3EESA_
    .private_segment_fixed_size: 16
    .sgpr_count:     40
    .sgpr_spill_count: 0
    .symbol:         _ZL13mul_mat_f_idsI15__hip_bfloat162Li32ELi4ELi3EEvPKT_PKfPKiS7_S7_Pfiiiiiiiiiiiiii15HIP_vector_typeIjLj3EESA_.kd
    .uniform_work_group_size: 1
    .uses_dynamic_stack: false
    .vgpr_count:     41
    .vgpr_spill_count: 0
    .wavefront_size: 64
  - .agpr_count:     0
    .args:
      - .actual_access:  read_only
        .address_space:  global
        .offset:         0
        .size:           8
        .value_kind:     global_buffer
      - .actual_access:  read_only
        .address_space:  global
        .offset:         8
        .size:           8
        .value_kind:     global_buffer
      - .actual_access:  read_only
        .address_space:  global
        .offset:         16
        .size:           8
        .value_kind:     global_buffer
      - .actual_access:  read_only
        .address_space:  global
        .offset:         24
        .size:           8
        .value_kind:     global_buffer
      - .offset:         32
        .size:           4
        .value_kind:     by_value
      - .offset:         36
        .size:           4
        .value_kind:     by_value
      - .offset:         40
        .size:           4
        .value_kind:     by_value
      - .offset:         44
        .size:           4
        .value_kind:     by_value
      - .offset:         48
        .size:           4
        .value_kind:     by_value
      - .offset:         52
        .size:           4
        .value_kind:     by_value
      - .offset:         56
        .size:           4
        .value_kind:     by_value
      - .offset:         60
        .size:           4
        .value_kind:     by_value
      - .offset:         64
        .size:           4
        .value_kind:     by_value
      - .offset:         68
        .size:           4
        .value_kind:     by_value
      - .offset:         72
        .size:           4
        .value_kind:     by_value
      - .offset:         76
        .size:           4
        .value_kind:     by_value
      - .offset:         80
        .size:           4
        .value_kind:     by_value
      - .offset:         84
        .size:           4
        .value_kind:     by_value
      - .offset:         88
        .size:           4
        .value_kind:     by_value
      - .offset:         92
        .size:           4
        .value_kind:     by_value
      - .offset:         96
        .size:           4
        .value_kind:     hidden_block_count_x
      - .offset:         100
        .size:           4
        .value_kind:     hidden_block_count_y
      - .offset:         104
        .size:           4
        .value_kind:     hidden_block_count_z
      - .offset:         108
        .size:           2
        .value_kind:     hidden_group_size_x
      - .offset:         110
        .size:           2
        .value_kind:     hidden_group_size_y
      - .offset:         112
        .size:           2
        .value_kind:     hidden_group_size_z
      - .offset:         114
        .size:           2
        .value_kind:     hidden_remainder_x
      - .offset:         116
        .size:           2
        .value_kind:     hidden_remainder_y
      - .offset:         118
        .size:           2
        .value_kind:     hidden_remainder_z
      - .offset:         136
        .size:           8
        .value_kind:     hidden_global_offset_x
      - .offset:         144
        .size:           8
        .value_kind:     hidden_global_offset_y
      - .offset:         152
        .size:           8
        .value_kind:     hidden_global_offset_z
      - .offset:         160
        .size:           2
        .value_kind:     hidden_grid_dims
      - .offset:         176
        .size:           8
        .value_kind:     hidden_hostcall_buffer
    .group_segment_fixed_size: 0
    .kernarg_segment_align: 8
    .kernarg_segment_size: 352
    .language:       OpenCL C
    .language_version:
      - 2
      - 0
    .max_flat_workgroup_size: 192
    .name:           _ZL9mul_mat_fI15__hip_bfloat162Li32ELi4ELi3ELb1EEvPKT_PKfPKiPfiiiiiiiiiiiiiiii
    .private_segment_fixed_size: 16
    .sgpr_count:     40
    .sgpr_spill_count: 0
    .symbol:         _ZL9mul_mat_fI15__hip_bfloat162Li32ELi4ELi3ELb1EEvPKT_PKfPKiPfiiiiiiiiiiiiiiii.kd
    .uniform_work_group_size: 1
    .uses_dynamic_stack: false
    .vgpr_count:     41
    .vgpr_spill_count: 0
    .wavefront_size: 64
  - .agpr_count:     0
    .args:
      - .actual_access:  read_only
        .address_space:  global
        .offset:         0
        .size:           8
        .value_kind:     global_buffer
      - .actual_access:  read_only
        .address_space:  global
        .offset:         8
        .size:           8
        .value_kind:     global_buffer
      - .actual_access:  read_only
        .address_space:  global
        .offset:         16
        .size:           8
        .value_kind:     global_buffer
      - .actual_access:  read_only
        .address_space:  global
        .offset:         24
        .size:           8
        .value_kind:     global_buffer
      - .offset:         32
        .size:           4
        .value_kind:     by_value
      - .offset:         36
        .size:           4
        .value_kind:     by_value
      - .offset:         40
        .size:           4
        .value_kind:     by_value
      - .offset:         44
        .size:           4
        .value_kind:     by_value
      - .offset:         48
        .size:           4
        .value_kind:     by_value
      - .offset:         52
        .size:           4
        .value_kind:     by_value
      - .offset:         56
        .size:           4
        .value_kind:     by_value
      - .offset:         60
        .size:           4
        .value_kind:     by_value
      - .offset:         64
        .size:           4
        .value_kind:     by_value
      - .offset:         68
        .size:           4
        .value_kind:     by_value
      - .offset:         72
        .size:           4
        .value_kind:     by_value
      - .offset:         76
        .size:           4
        .value_kind:     by_value
      - .offset:         80
        .size:           4
        .value_kind:     by_value
      - .offset:         84
        .size:           4
        .value_kind:     by_value
      - .offset:         88
        .size:           4
        .value_kind:     by_value
      - .offset:         92
        .size:           4
        .value_kind:     by_value
      - .offset:         96
        .size:           4
        .value_kind:     hidden_block_count_x
      - .offset:         100
        .size:           4
        .value_kind:     hidden_block_count_y
      - .offset:         104
        .size:           4
        .value_kind:     hidden_block_count_z
      - .offset:         108
        .size:           2
        .value_kind:     hidden_group_size_x
      - .offset:         110
        .size:           2
        .value_kind:     hidden_group_size_y
      - .offset:         112
        .size:           2
        .value_kind:     hidden_group_size_z
      - .offset:         114
        .size:           2
        .value_kind:     hidden_remainder_x
      - .offset:         116
        .size:           2
        .value_kind:     hidden_remainder_y
      - .offset:         118
        .size:           2
        .value_kind:     hidden_remainder_z
      - .offset:         136
        .size:           8
        .value_kind:     hidden_global_offset_x
      - .offset:         144
        .size:           8
        .value_kind:     hidden_global_offset_y
      - .offset:         152
        .size:           8
        .value_kind:     hidden_global_offset_z
      - .offset:         160
        .size:           2
        .value_kind:     hidden_grid_dims
      - .offset:         176
        .size:           8
        .value_kind:     hidden_hostcall_buffer
    .group_segment_fixed_size: 0
    .kernarg_segment_align: 8
    .kernarg_segment_size: 352
    .language:       OpenCL C
    .language_version:
      - 2
      - 0
    .max_flat_workgroup_size: 192
    .name:           _ZL9mul_mat_fI15__hip_bfloat162Li32ELi4ELi3ELb0EEvPKT_PKfPKiPfiiiiiiiiiiiiiiii
    .private_segment_fixed_size: 16
    .sgpr_count:     40
    .sgpr_spill_count: 0
    .symbol:         _ZL9mul_mat_fI15__hip_bfloat162Li32ELi4ELi3ELb0EEvPKT_PKfPKiPfiiiiiiiiiiiiiiii.kd
    .uniform_work_group_size: 1
    .uses_dynamic_stack: false
    .vgpr_count:     41
    .vgpr_spill_count: 0
    .wavefront_size: 64
  - .agpr_count:     0
    .args:
      - .actual_access:  read_only
        .address_space:  global
        .offset:         0
        .size:           8
        .value_kind:     global_buffer
      - .actual_access:  read_only
        .address_space:  global
        .offset:         8
        .size:           8
        .value_kind:     global_buffer
      - .actual_access:  read_only
        .address_space:  global
        .offset:         16
        .size:           8
        .value_kind:     global_buffer
      - .actual_access:  read_only
        .address_space:  global
        .offset:         24
        .size:           8
        .value_kind:     global_buffer
      - .actual_access:  read_only
        .address_space:  global
        .offset:         32
        .size:           8
        .value_kind:     global_buffer
      - .actual_access:  read_only
        .address_space:  global
        .offset:         40
        .size:           8
        .value_kind:     global_buffer
      - .offset:         48
        .size:           4
        .value_kind:     by_value
      - .offset:         52
        .size:           4
        .value_kind:     by_value
      - .offset:         56
        .size:           4
        .value_kind:     by_value
      - .offset:         60
        .size:           4
        .value_kind:     by_value
      - .offset:         64
        .size:           4
        .value_kind:     by_value
      - .offset:         68
        .size:           4
        .value_kind:     by_value
      - .offset:         72
        .size:           4
        .value_kind:     by_value
      - .offset:         76
        .size:           4
        .value_kind:     by_value
      - .offset:         80
        .size:           4
        .value_kind:     by_value
      - .offset:         84
        .size:           4
        .value_kind:     by_value
      - .offset:         88
        .size:           4
        .value_kind:     by_value
      - .offset:         92
        .size:           4
        .value_kind:     by_value
      - .offset:         96
        .size:           4
        .value_kind:     by_value
      - .offset:         100
        .size:           4
        .value_kind:     by_value
      - .offset:         104
        .size:           12
        .value_kind:     by_value
      - .offset:         116
        .size:           12
        .value_kind:     by_value
      - .offset:         128
        .size:           4
        .value_kind:     hidden_block_count_x
      - .offset:         132
        .size:           4
        .value_kind:     hidden_block_count_y
      - .offset:         136
        .size:           4
        .value_kind:     hidden_block_count_z
      - .offset:         140
        .size:           2
        .value_kind:     hidden_group_size_x
      - .offset:         142
        .size:           2
        .value_kind:     hidden_group_size_y
      - .offset:         144
        .size:           2
        .value_kind:     hidden_group_size_z
      - .offset:         146
        .size:           2
        .value_kind:     hidden_remainder_x
      - .offset:         148
        .size:           2
        .value_kind:     hidden_remainder_y
      - .offset:         150
        .size:           2
        .value_kind:     hidden_remainder_z
      - .offset:         168
        .size:           8
        .value_kind:     hidden_global_offset_x
      - .offset:         176
        .size:           8
        .value_kind:     hidden_global_offset_y
      - .offset:         184
        .size:           8
        .value_kind:     hidden_global_offset_z
      - .offset:         192
        .size:           2
        .value_kind:     hidden_grid_dims
      - .offset:         208
        .size:           8
        .value_kind:     hidden_hostcall_buffer
    .group_segment_fixed_size: 0
    .kernarg_segment_align: 8
    .kernarg_segment_size: 384
    .language:       OpenCL C
    .language_version:
      - 2
      - 0
    .max_flat_workgroup_size: 256
    .name:           _ZL13mul_mat_f_idsI15__hip_bfloat162Li32ELi4ELi4EEvPKT_PKfPKiS7_S7_Pfiiiiiiiiiiiiii15HIP_vector_typeIjLj3EESA_
    .private_segment_fixed_size: 16
    .sgpr_count:     40
    .sgpr_spill_count: 0
    .symbol:         _ZL13mul_mat_f_idsI15__hip_bfloat162Li32ELi4ELi4EEvPKT_PKfPKiS7_S7_Pfiiiiiiiiiiiiii15HIP_vector_typeIjLj3EESA_.kd
    .uniform_work_group_size: 1
    .uses_dynamic_stack: false
    .vgpr_count:     41
    .vgpr_spill_count: 0
    .wavefront_size: 64
  - .agpr_count:     0
    .args:
      - .actual_access:  read_only
        .address_space:  global
        .offset:         0
        .size:           8
        .value_kind:     global_buffer
      - .actual_access:  read_only
        .address_space:  global
        .offset:         8
        .size:           8
        .value_kind:     global_buffer
      - .actual_access:  read_only
        .address_space:  global
        .offset:         16
        .size:           8
        .value_kind:     global_buffer
      - .actual_access:  read_only
        .address_space:  global
        .offset:         24
        .size:           8
        .value_kind:     global_buffer
      - .offset:         32
        .size:           4
        .value_kind:     by_value
      - .offset:         36
        .size:           4
        .value_kind:     by_value
      - .offset:         40
        .size:           4
        .value_kind:     by_value
      - .offset:         44
        .size:           4
        .value_kind:     by_value
      - .offset:         48
        .size:           4
        .value_kind:     by_value
      - .offset:         52
        .size:           4
        .value_kind:     by_value
      - .offset:         56
        .size:           4
        .value_kind:     by_value
      - .offset:         60
        .size:           4
        .value_kind:     by_value
      - .offset:         64
        .size:           4
        .value_kind:     by_value
      - .offset:         68
        .size:           4
        .value_kind:     by_value
      - .offset:         72
        .size:           4
        .value_kind:     by_value
      - .offset:         76
        .size:           4
        .value_kind:     by_value
      - .offset:         80
        .size:           4
        .value_kind:     by_value
      - .offset:         84
        .size:           4
        .value_kind:     by_value
      - .offset:         88
        .size:           4
        .value_kind:     by_value
      - .offset:         92
        .size:           4
        .value_kind:     by_value
      - .offset:         96
        .size:           4
        .value_kind:     hidden_block_count_x
      - .offset:         100
        .size:           4
        .value_kind:     hidden_block_count_y
      - .offset:         104
        .size:           4
        .value_kind:     hidden_block_count_z
      - .offset:         108
        .size:           2
        .value_kind:     hidden_group_size_x
      - .offset:         110
        .size:           2
        .value_kind:     hidden_group_size_y
      - .offset:         112
        .size:           2
        .value_kind:     hidden_group_size_z
      - .offset:         114
        .size:           2
        .value_kind:     hidden_remainder_x
      - .offset:         116
        .size:           2
        .value_kind:     hidden_remainder_y
      - .offset:         118
        .size:           2
        .value_kind:     hidden_remainder_z
      - .offset:         136
        .size:           8
        .value_kind:     hidden_global_offset_x
      - .offset:         144
        .size:           8
        .value_kind:     hidden_global_offset_y
      - .offset:         152
        .size:           8
        .value_kind:     hidden_global_offset_z
      - .offset:         160
        .size:           2
        .value_kind:     hidden_grid_dims
      - .offset:         176
        .size:           8
        .value_kind:     hidden_hostcall_buffer
    .group_segment_fixed_size: 0
    .kernarg_segment_align: 8
    .kernarg_segment_size: 352
    .language:       OpenCL C
    .language_version:
      - 2
      - 0
    .max_flat_workgroup_size: 256
    .name:           _ZL9mul_mat_fI15__hip_bfloat162Li32ELi4ELi4ELb1EEvPKT_PKfPKiPfiiiiiiiiiiiiiiii
    .private_segment_fixed_size: 16
    .sgpr_count:     40
    .sgpr_spill_count: 0
    .symbol:         _ZL9mul_mat_fI15__hip_bfloat162Li32ELi4ELi4ELb1EEvPKT_PKfPKiPfiiiiiiiiiiiiiiii.kd
    .uniform_work_group_size: 1
    .uses_dynamic_stack: false
    .vgpr_count:     41
    .vgpr_spill_count: 0
    .wavefront_size: 64
  - .agpr_count:     0
    .args:
      - .actual_access:  read_only
        .address_space:  global
        .offset:         0
        .size:           8
        .value_kind:     global_buffer
      - .actual_access:  read_only
        .address_space:  global
        .offset:         8
        .size:           8
        .value_kind:     global_buffer
      - .actual_access:  read_only
        .address_space:  global
        .offset:         16
        .size:           8
        .value_kind:     global_buffer
      - .actual_access:  read_only
        .address_space:  global
        .offset:         24
        .size:           8
        .value_kind:     global_buffer
      - .offset:         32
        .size:           4
        .value_kind:     by_value
      - .offset:         36
        .size:           4
        .value_kind:     by_value
      - .offset:         40
        .size:           4
        .value_kind:     by_value
      - .offset:         44
        .size:           4
        .value_kind:     by_value
      - .offset:         48
        .size:           4
        .value_kind:     by_value
      - .offset:         52
        .size:           4
        .value_kind:     by_value
      - .offset:         56
        .size:           4
        .value_kind:     by_value
      - .offset:         60
        .size:           4
        .value_kind:     by_value
      - .offset:         64
        .size:           4
        .value_kind:     by_value
      - .offset:         68
        .size:           4
        .value_kind:     by_value
      - .offset:         72
        .size:           4
        .value_kind:     by_value
      - .offset:         76
        .size:           4
        .value_kind:     by_value
      - .offset:         80
        .size:           4
        .value_kind:     by_value
      - .offset:         84
        .size:           4
        .value_kind:     by_value
      - .offset:         88
        .size:           4
        .value_kind:     by_value
      - .offset:         92
        .size:           4
        .value_kind:     by_value
      - .offset:         96
        .size:           4
        .value_kind:     hidden_block_count_x
      - .offset:         100
        .size:           4
        .value_kind:     hidden_block_count_y
      - .offset:         104
        .size:           4
        .value_kind:     hidden_block_count_z
      - .offset:         108
        .size:           2
        .value_kind:     hidden_group_size_x
      - .offset:         110
        .size:           2
        .value_kind:     hidden_group_size_y
      - .offset:         112
        .size:           2
        .value_kind:     hidden_group_size_z
      - .offset:         114
        .size:           2
        .value_kind:     hidden_remainder_x
      - .offset:         116
        .size:           2
        .value_kind:     hidden_remainder_y
      - .offset:         118
        .size:           2
        .value_kind:     hidden_remainder_z
      - .offset:         136
        .size:           8
        .value_kind:     hidden_global_offset_x
      - .offset:         144
        .size:           8
        .value_kind:     hidden_global_offset_y
      - .offset:         152
        .size:           8
        .value_kind:     hidden_global_offset_z
      - .offset:         160
        .size:           2
        .value_kind:     hidden_grid_dims
      - .offset:         176
        .size:           8
        .value_kind:     hidden_hostcall_buffer
    .group_segment_fixed_size: 0
    .kernarg_segment_align: 8
    .kernarg_segment_size: 352
    .language:       OpenCL C
    .language_version:
      - 2
      - 0
    .max_flat_workgroup_size: 256
    .name:           _ZL9mul_mat_fI15__hip_bfloat162Li32ELi4ELi4ELb0EEvPKT_PKfPKiPfiiiiiiiiiiiiiiii
    .private_segment_fixed_size: 16
    .sgpr_count:     40
    .sgpr_spill_count: 0
    .symbol:         _ZL9mul_mat_fI15__hip_bfloat162Li32ELi4ELi4ELb0EEvPKT_PKfPKiPfiiiiiiiiiiiiiiii.kd
    .uniform_work_group_size: 1
    .uses_dynamic_stack: false
    .vgpr_count:     41
    .vgpr_spill_count: 0
    .wavefront_size: 64
  - .agpr_count:     0
    .args:
      - .actual_access:  read_only
        .address_space:  global
        .offset:         0
        .size:           8
        .value_kind:     global_buffer
      - .actual_access:  read_only
        .address_space:  global
        .offset:         8
        .size:           8
        .value_kind:     global_buffer
      - .actual_access:  read_only
        .address_space:  global
        .offset:         16
        .size:           8
        .value_kind:     global_buffer
      - .actual_access:  read_only
        .address_space:  global
        .offset:         24
        .size:           8
        .value_kind:     global_buffer
      - .actual_access:  read_only
        .address_space:  global
        .offset:         32
        .size:           8
        .value_kind:     global_buffer
      - .actual_access:  read_only
        .address_space:  global
        .offset:         40
        .size:           8
        .value_kind:     global_buffer
      - .offset:         48
        .size:           4
        .value_kind:     by_value
      - .offset:         52
        .size:           4
        .value_kind:     by_value
      - .offset:         56
        .size:           4
        .value_kind:     by_value
      - .offset:         60
        .size:           4
        .value_kind:     by_value
      - .offset:         64
        .size:           4
        .value_kind:     by_value
      - .offset:         68
        .size:           4
        .value_kind:     by_value
      - .offset:         72
        .size:           4
        .value_kind:     by_value
      - .offset:         76
        .size:           4
        .value_kind:     by_value
      - .offset:         80
        .size:           4
        .value_kind:     by_value
      - .offset:         84
        .size:           4
        .value_kind:     by_value
      - .offset:         88
        .size:           4
        .value_kind:     by_value
      - .offset:         92
        .size:           4
        .value_kind:     by_value
      - .offset:         96
        .size:           4
        .value_kind:     by_value
      - .offset:         100
        .size:           4
        .value_kind:     by_value
      - .offset:         104
        .size:           12
        .value_kind:     by_value
      - .offset:         116
        .size:           12
        .value_kind:     by_value
      - .offset:         128
        .size:           4
        .value_kind:     hidden_block_count_x
      - .offset:         132
        .size:           4
        .value_kind:     hidden_block_count_y
      - .offset:         136
        .size:           4
        .value_kind:     hidden_block_count_z
      - .offset:         140
        .size:           2
        .value_kind:     hidden_group_size_x
      - .offset:         142
        .size:           2
        .value_kind:     hidden_group_size_y
      - .offset:         144
        .size:           2
        .value_kind:     hidden_group_size_z
      - .offset:         146
        .size:           2
        .value_kind:     hidden_remainder_x
      - .offset:         148
        .size:           2
        .value_kind:     hidden_remainder_y
      - .offset:         150
        .size:           2
        .value_kind:     hidden_remainder_z
      - .offset:         168
        .size:           8
        .value_kind:     hidden_global_offset_x
      - .offset:         176
        .size:           8
        .value_kind:     hidden_global_offset_y
      - .offset:         184
        .size:           8
        .value_kind:     hidden_global_offset_z
      - .offset:         192
        .size:           2
        .value_kind:     hidden_grid_dims
      - .offset:         208
        .size:           8
        .value_kind:     hidden_hostcall_buffer
    .group_segment_fixed_size: 0
    .kernarg_segment_align: 8
    .kernarg_segment_size: 384
    .language:       OpenCL C
    .language_version:
      - 2
      - 0
    .max_flat_workgroup_size: 320
    .name:           _ZL13mul_mat_f_idsI15__hip_bfloat162Li32ELi4ELi5EEvPKT_PKfPKiS7_S7_Pfiiiiiiiiiiiiii15HIP_vector_typeIjLj3EESA_
    .private_segment_fixed_size: 16
    .sgpr_count:     40
    .sgpr_spill_count: 0
    .symbol:         _ZL13mul_mat_f_idsI15__hip_bfloat162Li32ELi4ELi5EEvPKT_PKfPKiS7_S7_Pfiiiiiiiiiiiiii15HIP_vector_typeIjLj3EESA_.kd
    .uniform_work_group_size: 1
    .uses_dynamic_stack: false
    .vgpr_count:     41
    .vgpr_spill_count: 0
    .wavefront_size: 64
  - .agpr_count:     0
    .args:
      - .actual_access:  read_only
        .address_space:  global
        .offset:         0
        .size:           8
        .value_kind:     global_buffer
      - .actual_access:  read_only
        .address_space:  global
        .offset:         8
        .size:           8
        .value_kind:     global_buffer
      - .actual_access:  read_only
        .address_space:  global
        .offset:         16
        .size:           8
        .value_kind:     global_buffer
      - .actual_access:  read_only
        .address_space:  global
        .offset:         24
        .size:           8
        .value_kind:     global_buffer
      - .offset:         32
        .size:           4
        .value_kind:     by_value
      - .offset:         36
        .size:           4
        .value_kind:     by_value
      - .offset:         40
        .size:           4
        .value_kind:     by_value
      - .offset:         44
        .size:           4
        .value_kind:     by_value
      - .offset:         48
        .size:           4
        .value_kind:     by_value
      - .offset:         52
        .size:           4
        .value_kind:     by_value
      - .offset:         56
        .size:           4
        .value_kind:     by_value
      - .offset:         60
        .size:           4
        .value_kind:     by_value
      - .offset:         64
        .size:           4
        .value_kind:     by_value
      - .offset:         68
        .size:           4
        .value_kind:     by_value
      - .offset:         72
        .size:           4
        .value_kind:     by_value
      - .offset:         76
        .size:           4
        .value_kind:     by_value
      - .offset:         80
        .size:           4
        .value_kind:     by_value
      - .offset:         84
        .size:           4
        .value_kind:     by_value
      - .offset:         88
        .size:           4
        .value_kind:     by_value
      - .offset:         92
        .size:           4
        .value_kind:     by_value
      - .offset:         96
        .size:           4
        .value_kind:     hidden_block_count_x
      - .offset:         100
        .size:           4
        .value_kind:     hidden_block_count_y
      - .offset:         104
        .size:           4
        .value_kind:     hidden_block_count_z
      - .offset:         108
        .size:           2
        .value_kind:     hidden_group_size_x
      - .offset:         110
        .size:           2
        .value_kind:     hidden_group_size_y
      - .offset:         112
        .size:           2
        .value_kind:     hidden_group_size_z
      - .offset:         114
        .size:           2
        .value_kind:     hidden_remainder_x
      - .offset:         116
        .size:           2
        .value_kind:     hidden_remainder_y
      - .offset:         118
        .size:           2
        .value_kind:     hidden_remainder_z
      - .offset:         136
        .size:           8
        .value_kind:     hidden_global_offset_x
      - .offset:         144
        .size:           8
        .value_kind:     hidden_global_offset_y
      - .offset:         152
        .size:           8
        .value_kind:     hidden_global_offset_z
      - .offset:         160
        .size:           2
        .value_kind:     hidden_grid_dims
      - .offset:         176
        .size:           8
        .value_kind:     hidden_hostcall_buffer
    .group_segment_fixed_size: 0
    .kernarg_segment_align: 8
    .kernarg_segment_size: 352
    .language:       OpenCL C
    .language_version:
      - 2
      - 0
    .max_flat_workgroup_size: 320
    .name:           _ZL9mul_mat_fI15__hip_bfloat162Li32ELi4ELi5ELb1EEvPKT_PKfPKiPfiiiiiiiiiiiiiiii
    .private_segment_fixed_size: 16
    .sgpr_count:     40
    .sgpr_spill_count: 0
    .symbol:         _ZL9mul_mat_fI15__hip_bfloat162Li32ELi4ELi5ELb1EEvPKT_PKfPKiPfiiiiiiiiiiiiiiii.kd
    .uniform_work_group_size: 1
    .uses_dynamic_stack: false
    .vgpr_count:     41
    .vgpr_spill_count: 0
    .wavefront_size: 64
  - .agpr_count:     0
    .args:
      - .actual_access:  read_only
        .address_space:  global
        .offset:         0
        .size:           8
        .value_kind:     global_buffer
      - .actual_access:  read_only
        .address_space:  global
        .offset:         8
        .size:           8
        .value_kind:     global_buffer
      - .actual_access:  read_only
        .address_space:  global
        .offset:         16
        .size:           8
        .value_kind:     global_buffer
      - .actual_access:  read_only
        .address_space:  global
        .offset:         24
        .size:           8
        .value_kind:     global_buffer
      - .offset:         32
        .size:           4
        .value_kind:     by_value
      - .offset:         36
        .size:           4
        .value_kind:     by_value
      - .offset:         40
        .size:           4
        .value_kind:     by_value
      - .offset:         44
        .size:           4
        .value_kind:     by_value
      - .offset:         48
        .size:           4
        .value_kind:     by_value
      - .offset:         52
        .size:           4
        .value_kind:     by_value
      - .offset:         56
        .size:           4
        .value_kind:     by_value
      - .offset:         60
        .size:           4
        .value_kind:     by_value
      - .offset:         64
        .size:           4
        .value_kind:     by_value
      - .offset:         68
        .size:           4
        .value_kind:     by_value
      - .offset:         72
        .size:           4
        .value_kind:     by_value
      - .offset:         76
        .size:           4
        .value_kind:     by_value
      - .offset:         80
        .size:           4
        .value_kind:     by_value
      - .offset:         84
        .size:           4
        .value_kind:     by_value
      - .offset:         88
        .size:           4
        .value_kind:     by_value
      - .offset:         92
        .size:           4
        .value_kind:     by_value
      - .offset:         96
        .size:           4
        .value_kind:     hidden_block_count_x
      - .offset:         100
        .size:           4
        .value_kind:     hidden_block_count_y
      - .offset:         104
        .size:           4
        .value_kind:     hidden_block_count_z
      - .offset:         108
        .size:           2
        .value_kind:     hidden_group_size_x
      - .offset:         110
        .size:           2
        .value_kind:     hidden_group_size_y
      - .offset:         112
        .size:           2
        .value_kind:     hidden_group_size_z
      - .offset:         114
        .size:           2
        .value_kind:     hidden_remainder_x
      - .offset:         116
        .size:           2
        .value_kind:     hidden_remainder_y
      - .offset:         118
        .size:           2
        .value_kind:     hidden_remainder_z
      - .offset:         136
        .size:           8
        .value_kind:     hidden_global_offset_x
      - .offset:         144
        .size:           8
        .value_kind:     hidden_global_offset_y
      - .offset:         152
        .size:           8
        .value_kind:     hidden_global_offset_z
      - .offset:         160
        .size:           2
        .value_kind:     hidden_grid_dims
      - .offset:         176
        .size:           8
        .value_kind:     hidden_hostcall_buffer
    .group_segment_fixed_size: 0
    .kernarg_segment_align: 8
    .kernarg_segment_size: 352
    .language:       OpenCL C
    .language_version:
      - 2
      - 0
    .max_flat_workgroup_size: 320
    .name:           _ZL9mul_mat_fI15__hip_bfloat162Li32ELi4ELi5ELb0EEvPKT_PKfPKiPfiiiiiiiiiiiiiiii
    .private_segment_fixed_size: 16
    .sgpr_count:     40
    .sgpr_spill_count: 0
    .symbol:         _ZL9mul_mat_fI15__hip_bfloat162Li32ELi4ELi5ELb0EEvPKT_PKfPKiPfiiiiiiiiiiiiiiii.kd
    .uniform_work_group_size: 1
    .uses_dynamic_stack: false
    .vgpr_count:     41
    .vgpr_spill_count: 0
    .wavefront_size: 64
  - .agpr_count:     0
    .args:
      - .actual_access:  read_only
        .address_space:  global
        .offset:         0
        .size:           8
        .value_kind:     global_buffer
      - .actual_access:  read_only
        .address_space:  global
        .offset:         8
        .size:           8
        .value_kind:     global_buffer
      - .actual_access:  read_only
        .address_space:  global
        .offset:         16
        .size:           8
        .value_kind:     global_buffer
      - .actual_access:  read_only
        .address_space:  global
        .offset:         24
        .size:           8
        .value_kind:     global_buffer
      - .actual_access:  read_only
        .address_space:  global
        .offset:         32
        .size:           8
        .value_kind:     global_buffer
      - .actual_access:  read_only
        .address_space:  global
        .offset:         40
        .size:           8
        .value_kind:     global_buffer
      - .offset:         48
        .size:           4
        .value_kind:     by_value
      - .offset:         52
        .size:           4
        .value_kind:     by_value
      - .offset:         56
        .size:           4
        .value_kind:     by_value
      - .offset:         60
        .size:           4
        .value_kind:     by_value
      - .offset:         64
        .size:           4
        .value_kind:     by_value
      - .offset:         68
        .size:           4
        .value_kind:     by_value
      - .offset:         72
        .size:           4
        .value_kind:     by_value
      - .offset:         76
        .size:           4
        .value_kind:     by_value
      - .offset:         80
        .size:           4
        .value_kind:     by_value
      - .offset:         84
        .size:           4
        .value_kind:     by_value
      - .offset:         88
        .size:           4
        .value_kind:     by_value
      - .offset:         92
        .size:           4
        .value_kind:     by_value
      - .offset:         96
        .size:           4
        .value_kind:     by_value
      - .offset:         100
        .size:           4
        .value_kind:     by_value
      - .offset:         104
        .size:           12
        .value_kind:     by_value
      - .offset:         116
        .size:           12
        .value_kind:     by_value
      - .offset:         128
        .size:           4
        .value_kind:     hidden_block_count_x
      - .offset:         132
        .size:           4
        .value_kind:     hidden_block_count_y
      - .offset:         136
        .size:           4
        .value_kind:     hidden_block_count_z
      - .offset:         140
        .size:           2
        .value_kind:     hidden_group_size_x
      - .offset:         142
        .size:           2
        .value_kind:     hidden_group_size_y
      - .offset:         144
        .size:           2
        .value_kind:     hidden_group_size_z
      - .offset:         146
        .size:           2
        .value_kind:     hidden_remainder_x
      - .offset:         148
        .size:           2
        .value_kind:     hidden_remainder_y
      - .offset:         150
        .size:           2
        .value_kind:     hidden_remainder_z
      - .offset:         168
        .size:           8
        .value_kind:     hidden_global_offset_x
      - .offset:         176
        .size:           8
        .value_kind:     hidden_global_offset_y
      - .offset:         184
        .size:           8
        .value_kind:     hidden_global_offset_z
      - .offset:         192
        .size:           2
        .value_kind:     hidden_grid_dims
      - .offset:         208
        .size:           8
        .value_kind:     hidden_hostcall_buffer
    .group_segment_fixed_size: 0
    .kernarg_segment_align: 8
    .kernarg_segment_size: 384
    .language:       OpenCL C
    .language_version:
      - 2
      - 0
    .max_flat_workgroup_size: 384
    .name:           _ZL13mul_mat_f_idsI15__hip_bfloat162Li32ELi4ELi6EEvPKT_PKfPKiS7_S7_Pfiiiiiiiiiiiiii15HIP_vector_typeIjLj3EESA_
    .private_segment_fixed_size: 16
    .sgpr_count:     40
    .sgpr_spill_count: 0
    .symbol:         _ZL13mul_mat_f_idsI15__hip_bfloat162Li32ELi4ELi6EEvPKT_PKfPKiS7_S7_Pfiiiiiiiiiiiiii15HIP_vector_typeIjLj3EESA_.kd
    .uniform_work_group_size: 1
    .uses_dynamic_stack: false
    .vgpr_count:     41
    .vgpr_spill_count: 0
    .wavefront_size: 64
  - .agpr_count:     0
    .args:
      - .actual_access:  read_only
        .address_space:  global
        .offset:         0
        .size:           8
        .value_kind:     global_buffer
      - .actual_access:  read_only
        .address_space:  global
        .offset:         8
        .size:           8
        .value_kind:     global_buffer
      - .actual_access:  read_only
        .address_space:  global
        .offset:         16
        .size:           8
        .value_kind:     global_buffer
      - .actual_access:  read_only
        .address_space:  global
        .offset:         24
        .size:           8
        .value_kind:     global_buffer
      - .offset:         32
        .size:           4
        .value_kind:     by_value
      - .offset:         36
        .size:           4
        .value_kind:     by_value
      - .offset:         40
        .size:           4
        .value_kind:     by_value
      - .offset:         44
        .size:           4
        .value_kind:     by_value
      - .offset:         48
        .size:           4
        .value_kind:     by_value
      - .offset:         52
        .size:           4
        .value_kind:     by_value
      - .offset:         56
        .size:           4
        .value_kind:     by_value
      - .offset:         60
        .size:           4
        .value_kind:     by_value
      - .offset:         64
        .size:           4
        .value_kind:     by_value
      - .offset:         68
        .size:           4
        .value_kind:     by_value
      - .offset:         72
        .size:           4
        .value_kind:     by_value
      - .offset:         76
        .size:           4
        .value_kind:     by_value
      - .offset:         80
        .size:           4
        .value_kind:     by_value
      - .offset:         84
        .size:           4
        .value_kind:     by_value
      - .offset:         88
        .size:           4
        .value_kind:     by_value
      - .offset:         92
        .size:           4
        .value_kind:     by_value
      - .offset:         96
        .size:           4
        .value_kind:     hidden_block_count_x
      - .offset:         100
        .size:           4
        .value_kind:     hidden_block_count_y
      - .offset:         104
        .size:           4
        .value_kind:     hidden_block_count_z
      - .offset:         108
        .size:           2
        .value_kind:     hidden_group_size_x
      - .offset:         110
        .size:           2
        .value_kind:     hidden_group_size_y
      - .offset:         112
        .size:           2
        .value_kind:     hidden_group_size_z
      - .offset:         114
        .size:           2
        .value_kind:     hidden_remainder_x
      - .offset:         116
        .size:           2
        .value_kind:     hidden_remainder_y
      - .offset:         118
        .size:           2
        .value_kind:     hidden_remainder_z
      - .offset:         136
        .size:           8
        .value_kind:     hidden_global_offset_x
      - .offset:         144
        .size:           8
        .value_kind:     hidden_global_offset_y
      - .offset:         152
        .size:           8
        .value_kind:     hidden_global_offset_z
      - .offset:         160
        .size:           2
        .value_kind:     hidden_grid_dims
      - .offset:         176
        .size:           8
        .value_kind:     hidden_hostcall_buffer
    .group_segment_fixed_size: 0
    .kernarg_segment_align: 8
    .kernarg_segment_size: 352
    .language:       OpenCL C
    .language_version:
      - 2
      - 0
    .max_flat_workgroup_size: 384
    .name:           _ZL9mul_mat_fI15__hip_bfloat162Li32ELi4ELi6ELb1EEvPKT_PKfPKiPfiiiiiiiiiiiiiiii
    .private_segment_fixed_size: 16
    .sgpr_count:     40
    .sgpr_spill_count: 0
    .symbol:         _ZL9mul_mat_fI15__hip_bfloat162Li32ELi4ELi6ELb1EEvPKT_PKfPKiPfiiiiiiiiiiiiiiii.kd
    .uniform_work_group_size: 1
    .uses_dynamic_stack: false
    .vgpr_count:     41
    .vgpr_spill_count: 0
    .wavefront_size: 64
  - .agpr_count:     0
    .args:
      - .actual_access:  read_only
        .address_space:  global
        .offset:         0
        .size:           8
        .value_kind:     global_buffer
      - .actual_access:  read_only
        .address_space:  global
        .offset:         8
        .size:           8
        .value_kind:     global_buffer
      - .actual_access:  read_only
        .address_space:  global
        .offset:         16
        .size:           8
        .value_kind:     global_buffer
      - .actual_access:  read_only
        .address_space:  global
        .offset:         24
        .size:           8
        .value_kind:     global_buffer
      - .offset:         32
        .size:           4
        .value_kind:     by_value
      - .offset:         36
        .size:           4
        .value_kind:     by_value
      - .offset:         40
        .size:           4
        .value_kind:     by_value
      - .offset:         44
        .size:           4
        .value_kind:     by_value
      - .offset:         48
        .size:           4
        .value_kind:     by_value
      - .offset:         52
        .size:           4
        .value_kind:     by_value
      - .offset:         56
        .size:           4
        .value_kind:     by_value
      - .offset:         60
        .size:           4
        .value_kind:     by_value
      - .offset:         64
        .size:           4
        .value_kind:     by_value
      - .offset:         68
        .size:           4
        .value_kind:     by_value
      - .offset:         72
        .size:           4
        .value_kind:     by_value
      - .offset:         76
        .size:           4
        .value_kind:     by_value
      - .offset:         80
        .size:           4
        .value_kind:     by_value
      - .offset:         84
        .size:           4
        .value_kind:     by_value
      - .offset:         88
        .size:           4
        .value_kind:     by_value
      - .offset:         92
        .size:           4
        .value_kind:     by_value
      - .offset:         96
        .size:           4
        .value_kind:     hidden_block_count_x
      - .offset:         100
        .size:           4
        .value_kind:     hidden_block_count_y
      - .offset:         104
        .size:           4
        .value_kind:     hidden_block_count_z
      - .offset:         108
        .size:           2
        .value_kind:     hidden_group_size_x
      - .offset:         110
        .size:           2
        .value_kind:     hidden_group_size_y
      - .offset:         112
        .size:           2
        .value_kind:     hidden_group_size_z
      - .offset:         114
        .size:           2
        .value_kind:     hidden_remainder_x
      - .offset:         116
        .size:           2
        .value_kind:     hidden_remainder_y
      - .offset:         118
        .size:           2
        .value_kind:     hidden_remainder_z
      - .offset:         136
        .size:           8
        .value_kind:     hidden_global_offset_x
      - .offset:         144
        .size:           8
        .value_kind:     hidden_global_offset_y
      - .offset:         152
        .size:           8
        .value_kind:     hidden_global_offset_z
      - .offset:         160
        .size:           2
        .value_kind:     hidden_grid_dims
      - .offset:         176
        .size:           8
        .value_kind:     hidden_hostcall_buffer
    .group_segment_fixed_size: 0
    .kernarg_segment_align: 8
    .kernarg_segment_size: 352
    .language:       OpenCL C
    .language_version:
      - 2
      - 0
    .max_flat_workgroup_size: 384
    .name:           _ZL9mul_mat_fI15__hip_bfloat162Li32ELi4ELi6ELb0EEvPKT_PKfPKiPfiiiiiiiiiiiiiiii
    .private_segment_fixed_size: 16
    .sgpr_count:     40
    .sgpr_spill_count: 0
    .symbol:         _ZL9mul_mat_fI15__hip_bfloat162Li32ELi4ELi6ELb0EEvPKT_PKfPKiPfiiiiiiiiiiiiiiii.kd
    .uniform_work_group_size: 1
    .uses_dynamic_stack: false
    .vgpr_count:     41
    .vgpr_spill_count: 0
    .wavefront_size: 64
  - .agpr_count:     0
    .args:
      - .actual_access:  read_only
        .address_space:  global
        .offset:         0
        .size:           8
        .value_kind:     global_buffer
      - .actual_access:  read_only
        .address_space:  global
        .offset:         8
        .size:           8
        .value_kind:     global_buffer
      - .actual_access:  read_only
        .address_space:  global
        .offset:         16
        .size:           8
        .value_kind:     global_buffer
      - .actual_access:  read_only
        .address_space:  global
        .offset:         24
        .size:           8
        .value_kind:     global_buffer
      - .actual_access:  read_only
        .address_space:  global
        .offset:         32
        .size:           8
        .value_kind:     global_buffer
      - .actual_access:  read_only
        .address_space:  global
        .offset:         40
        .size:           8
        .value_kind:     global_buffer
      - .offset:         48
        .size:           4
        .value_kind:     by_value
      - .offset:         52
        .size:           4
        .value_kind:     by_value
      - .offset:         56
        .size:           4
        .value_kind:     by_value
      - .offset:         60
        .size:           4
        .value_kind:     by_value
      - .offset:         64
        .size:           4
        .value_kind:     by_value
      - .offset:         68
        .size:           4
        .value_kind:     by_value
      - .offset:         72
        .size:           4
        .value_kind:     by_value
      - .offset:         76
        .size:           4
        .value_kind:     by_value
      - .offset:         80
        .size:           4
        .value_kind:     by_value
      - .offset:         84
        .size:           4
        .value_kind:     by_value
      - .offset:         88
        .size:           4
        .value_kind:     by_value
      - .offset:         92
        .size:           4
        .value_kind:     by_value
      - .offset:         96
        .size:           4
        .value_kind:     by_value
      - .offset:         100
        .size:           4
        .value_kind:     by_value
      - .offset:         104
        .size:           12
        .value_kind:     by_value
      - .offset:         116
        .size:           12
        .value_kind:     by_value
      - .offset:         128
        .size:           4
        .value_kind:     hidden_block_count_x
      - .offset:         132
        .size:           4
        .value_kind:     hidden_block_count_y
      - .offset:         136
        .size:           4
        .value_kind:     hidden_block_count_z
      - .offset:         140
        .size:           2
        .value_kind:     hidden_group_size_x
      - .offset:         142
        .size:           2
        .value_kind:     hidden_group_size_y
      - .offset:         144
        .size:           2
        .value_kind:     hidden_group_size_z
      - .offset:         146
        .size:           2
        .value_kind:     hidden_remainder_x
      - .offset:         148
        .size:           2
        .value_kind:     hidden_remainder_y
      - .offset:         150
        .size:           2
        .value_kind:     hidden_remainder_z
      - .offset:         168
        .size:           8
        .value_kind:     hidden_global_offset_x
      - .offset:         176
        .size:           8
        .value_kind:     hidden_global_offset_y
      - .offset:         184
        .size:           8
        .value_kind:     hidden_global_offset_z
      - .offset:         192
        .size:           2
        .value_kind:     hidden_grid_dims
      - .offset:         208
        .size:           8
        .value_kind:     hidden_hostcall_buffer
    .group_segment_fixed_size: 0
    .kernarg_segment_align: 8
    .kernarg_segment_size: 384
    .language:       OpenCL C
    .language_version:
      - 2
      - 0
    .max_flat_workgroup_size: 448
    .name:           _ZL13mul_mat_f_idsI15__hip_bfloat162Li32ELi4ELi7EEvPKT_PKfPKiS7_S7_Pfiiiiiiiiiiiiii15HIP_vector_typeIjLj3EESA_
    .private_segment_fixed_size: 16
    .sgpr_count:     40
    .sgpr_spill_count: 0
    .symbol:         _ZL13mul_mat_f_idsI15__hip_bfloat162Li32ELi4ELi7EEvPKT_PKfPKiS7_S7_Pfiiiiiiiiiiiiii15HIP_vector_typeIjLj3EESA_.kd
    .uniform_work_group_size: 1
    .uses_dynamic_stack: false
    .vgpr_count:     41
    .vgpr_spill_count: 0
    .wavefront_size: 64
  - .agpr_count:     0
    .args:
      - .actual_access:  read_only
        .address_space:  global
        .offset:         0
        .size:           8
        .value_kind:     global_buffer
      - .actual_access:  read_only
        .address_space:  global
        .offset:         8
        .size:           8
        .value_kind:     global_buffer
      - .actual_access:  read_only
        .address_space:  global
        .offset:         16
        .size:           8
        .value_kind:     global_buffer
      - .actual_access:  read_only
        .address_space:  global
        .offset:         24
        .size:           8
        .value_kind:     global_buffer
      - .offset:         32
        .size:           4
        .value_kind:     by_value
      - .offset:         36
        .size:           4
        .value_kind:     by_value
      - .offset:         40
        .size:           4
        .value_kind:     by_value
      - .offset:         44
        .size:           4
        .value_kind:     by_value
      - .offset:         48
        .size:           4
        .value_kind:     by_value
      - .offset:         52
        .size:           4
        .value_kind:     by_value
      - .offset:         56
        .size:           4
        .value_kind:     by_value
      - .offset:         60
        .size:           4
        .value_kind:     by_value
      - .offset:         64
        .size:           4
        .value_kind:     by_value
      - .offset:         68
        .size:           4
        .value_kind:     by_value
      - .offset:         72
        .size:           4
        .value_kind:     by_value
      - .offset:         76
        .size:           4
        .value_kind:     by_value
      - .offset:         80
        .size:           4
        .value_kind:     by_value
      - .offset:         84
        .size:           4
        .value_kind:     by_value
      - .offset:         88
        .size:           4
        .value_kind:     by_value
      - .offset:         92
        .size:           4
        .value_kind:     by_value
      - .offset:         96
        .size:           4
        .value_kind:     hidden_block_count_x
      - .offset:         100
        .size:           4
        .value_kind:     hidden_block_count_y
      - .offset:         104
        .size:           4
        .value_kind:     hidden_block_count_z
      - .offset:         108
        .size:           2
        .value_kind:     hidden_group_size_x
      - .offset:         110
        .size:           2
        .value_kind:     hidden_group_size_y
      - .offset:         112
        .size:           2
        .value_kind:     hidden_group_size_z
      - .offset:         114
        .size:           2
        .value_kind:     hidden_remainder_x
      - .offset:         116
        .size:           2
        .value_kind:     hidden_remainder_y
      - .offset:         118
        .size:           2
        .value_kind:     hidden_remainder_z
      - .offset:         136
        .size:           8
        .value_kind:     hidden_global_offset_x
      - .offset:         144
        .size:           8
        .value_kind:     hidden_global_offset_y
      - .offset:         152
        .size:           8
        .value_kind:     hidden_global_offset_z
      - .offset:         160
        .size:           2
        .value_kind:     hidden_grid_dims
      - .offset:         176
        .size:           8
        .value_kind:     hidden_hostcall_buffer
    .group_segment_fixed_size: 0
    .kernarg_segment_align: 8
    .kernarg_segment_size: 352
    .language:       OpenCL C
    .language_version:
      - 2
      - 0
    .max_flat_workgroup_size: 448
    .name:           _ZL9mul_mat_fI15__hip_bfloat162Li32ELi4ELi7ELb1EEvPKT_PKfPKiPfiiiiiiiiiiiiiiii
    .private_segment_fixed_size: 16
    .sgpr_count:     40
    .sgpr_spill_count: 0
    .symbol:         _ZL9mul_mat_fI15__hip_bfloat162Li32ELi4ELi7ELb1EEvPKT_PKfPKiPfiiiiiiiiiiiiiiii.kd
    .uniform_work_group_size: 1
    .uses_dynamic_stack: false
    .vgpr_count:     41
    .vgpr_spill_count: 0
    .wavefront_size: 64
  - .agpr_count:     0
    .args:
      - .actual_access:  read_only
        .address_space:  global
        .offset:         0
        .size:           8
        .value_kind:     global_buffer
      - .actual_access:  read_only
        .address_space:  global
        .offset:         8
        .size:           8
        .value_kind:     global_buffer
      - .actual_access:  read_only
        .address_space:  global
        .offset:         16
        .size:           8
        .value_kind:     global_buffer
      - .actual_access:  read_only
        .address_space:  global
        .offset:         24
        .size:           8
        .value_kind:     global_buffer
      - .offset:         32
        .size:           4
        .value_kind:     by_value
      - .offset:         36
        .size:           4
        .value_kind:     by_value
      - .offset:         40
        .size:           4
        .value_kind:     by_value
      - .offset:         44
        .size:           4
        .value_kind:     by_value
      - .offset:         48
        .size:           4
        .value_kind:     by_value
      - .offset:         52
        .size:           4
        .value_kind:     by_value
      - .offset:         56
        .size:           4
        .value_kind:     by_value
      - .offset:         60
        .size:           4
        .value_kind:     by_value
      - .offset:         64
        .size:           4
        .value_kind:     by_value
      - .offset:         68
        .size:           4
        .value_kind:     by_value
      - .offset:         72
        .size:           4
        .value_kind:     by_value
      - .offset:         76
        .size:           4
        .value_kind:     by_value
      - .offset:         80
        .size:           4
        .value_kind:     by_value
      - .offset:         84
        .size:           4
        .value_kind:     by_value
      - .offset:         88
        .size:           4
        .value_kind:     by_value
      - .offset:         92
        .size:           4
        .value_kind:     by_value
      - .offset:         96
        .size:           4
        .value_kind:     hidden_block_count_x
      - .offset:         100
        .size:           4
        .value_kind:     hidden_block_count_y
      - .offset:         104
        .size:           4
        .value_kind:     hidden_block_count_z
      - .offset:         108
        .size:           2
        .value_kind:     hidden_group_size_x
      - .offset:         110
        .size:           2
        .value_kind:     hidden_group_size_y
      - .offset:         112
        .size:           2
        .value_kind:     hidden_group_size_z
      - .offset:         114
        .size:           2
        .value_kind:     hidden_remainder_x
      - .offset:         116
        .size:           2
        .value_kind:     hidden_remainder_y
      - .offset:         118
        .size:           2
        .value_kind:     hidden_remainder_z
      - .offset:         136
        .size:           8
        .value_kind:     hidden_global_offset_x
      - .offset:         144
        .size:           8
        .value_kind:     hidden_global_offset_y
      - .offset:         152
        .size:           8
        .value_kind:     hidden_global_offset_z
      - .offset:         160
        .size:           2
        .value_kind:     hidden_grid_dims
      - .offset:         176
        .size:           8
        .value_kind:     hidden_hostcall_buffer
    .group_segment_fixed_size: 0
    .kernarg_segment_align: 8
    .kernarg_segment_size: 352
    .language:       OpenCL C
    .language_version:
      - 2
      - 0
    .max_flat_workgroup_size: 448
    .name:           _ZL9mul_mat_fI15__hip_bfloat162Li32ELi4ELi7ELb0EEvPKT_PKfPKiPfiiiiiiiiiiiiiiii
    .private_segment_fixed_size: 16
    .sgpr_count:     40
    .sgpr_spill_count: 0
    .symbol:         _ZL9mul_mat_fI15__hip_bfloat162Li32ELi4ELi7ELb0EEvPKT_PKfPKiPfiiiiiiiiiiiiiiii.kd
    .uniform_work_group_size: 1
    .uses_dynamic_stack: false
    .vgpr_count:     41
    .vgpr_spill_count: 0
    .wavefront_size: 64
  - .agpr_count:     0
    .args:
      - .actual_access:  read_only
        .address_space:  global
        .offset:         0
        .size:           8
        .value_kind:     global_buffer
      - .actual_access:  read_only
        .address_space:  global
        .offset:         8
        .size:           8
        .value_kind:     global_buffer
      - .actual_access:  read_only
        .address_space:  global
        .offset:         16
        .size:           8
        .value_kind:     global_buffer
      - .actual_access:  read_only
        .address_space:  global
        .offset:         24
        .size:           8
        .value_kind:     global_buffer
      - .actual_access:  read_only
        .address_space:  global
        .offset:         32
        .size:           8
        .value_kind:     global_buffer
      - .actual_access:  read_only
        .address_space:  global
        .offset:         40
        .size:           8
        .value_kind:     global_buffer
      - .offset:         48
        .size:           4
        .value_kind:     by_value
      - .offset:         52
        .size:           4
        .value_kind:     by_value
      - .offset:         56
        .size:           4
        .value_kind:     by_value
      - .offset:         60
        .size:           4
        .value_kind:     by_value
      - .offset:         64
        .size:           4
        .value_kind:     by_value
      - .offset:         68
        .size:           4
        .value_kind:     by_value
      - .offset:         72
        .size:           4
        .value_kind:     by_value
      - .offset:         76
        .size:           4
        .value_kind:     by_value
      - .offset:         80
        .size:           4
        .value_kind:     by_value
      - .offset:         84
        .size:           4
        .value_kind:     by_value
      - .offset:         88
        .size:           4
        .value_kind:     by_value
      - .offset:         92
        .size:           4
        .value_kind:     by_value
      - .offset:         96
        .size:           4
        .value_kind:     by_value
      - .offset:         100
        .size:           4
        .value_kind:     by_value
      - .offset:         104
        .size:           12
        .value_kind:     by_value
      - .offset:         116
        .size:           12
        .value_kind:     by_value
      - .offset:         128
        .size:           4
        .value_kind:     hidden_block_count_x
      - .offset:         132
        .size:           4
        .value_kind:     hidden_block_count_y
      - .offset:         136
        .size:           4
        .value_kind:     hidden_block_count_z
      - .offset:         140
        .size:           2
        .value_kind:     hidden_group_size_x
      - .offset:         142
        .size:           2
        .value_kind:     hidden_group_size_y
      - .offset:         144
        .size:           2
        .value_kind:     hidden_group_size_z
      - .offset:         146
        .size:           2
        .value_kind:     hidden_remainder_x
      - .offset:         148
        .size:           2
        .value_kind:     hidden_remainder_y
      - .offset:         150
        .size:           2
        .value_kind:     hidden_remainder_z
      - .offset:         168
        .size:           8
        .value_kind:     hidden_global_offset_x
      - .offset:         176
        .size:           8
        .value_kind:     hidden_global_offset_y
      - .offset:         184
        .size:           8
        .value_kind:     hidden_global_offset_z
      - .offset:         192
        .size:           2
        .value_kind:     hidden_grid_dims
      - .offset:         208
        .size:           8
        .value_kind:     hidden_hostcall_buffer
    .group_segment_fixed_size: 0
    .kernarg_segment_align: 8
    .kernarg_segment_size: 384
    .language:       OpenCL C
    .language_version:
      - 2
      - 0
    .max_flat_workgroup_size: 512
    .name:           _ZL13mul_mat_f_idsI15__hip_bfloat162Li32ELi4ELi8EEvPKT_PKfPKiS7_S7_Pfiiiiiiiiiiiiii15HIP_vector_typeIjLj3EESA_
    .private_segment_fixed_size: 16
    .sgpr_count:     40
    .sgpr_spill_count: 0
    .symbol:         _ZL13mul_mat_f_idsI15__hip_bfloat162Li32ELi4ELi8EEvPKT_PKfPKiS7_S7_Pfiiiiiiiiiiiiii15HIP_vector_typeIjLj3EESA_.kd
    .uniform_work_group_size: 1
    .uses_dynamic_stack: false
    .vgpr_count:     41
    .vgpr_spill_count: 0
    .wavefront_size: 64
  - .agpr_count:     0
    .args:
      - .actual_access:  read_only
        .address_space:  global
        .offset:         0
        .size:           8
        .value_kind:     global_buffer
      - .actual_access:  read_only
        .address_space:  global
        .offset:         8
        .size:           8
        .value_kind:     global_buffer
      - .actual_access:  read_only
        .address_space:  global
        .offset:         16
        .size:           8
        .value_kind:     global_buffer
      - .actual_access:  read_only
        .address_space:  global
        .offset:         24
        .size:           8
        .value_kind:     global_buffer
      - .offset:         32
        .size:           4
        .value_kind:     by_value
      - .offset:         36
        .size:           4
        .value_kind:     by_value
      - .offset:         40
        .size:           4
        .value_kind:     by_value
      - .offset:         44
        .size:           4
        .value_kind:     by_value
      - .offset:         48
        .size:           4
        .value_kind:     by_value
      - .offset:         52
        .size:           4
        .value_kind:     by_value
      - .offset:         56
        .size:           4
        .value_kind:     by_value
      - .offset:         60
        .size:           4
        .value_kind:     by_value
      - .offset:         64
        .size:           4
        .value_kind:     by_value
      - .offset:         68
        .size:           4
        .value_kind:     by_value
      - .offset:         72
        .size:           4
        .value_kind:     by_value
      - .offset:         76
        .size:           4
        .value_kind:     by_value
      - .offset:         80
        .size:           4
        .value_kind:     by_value
      - .offset:         84
        .size:           4
        .value_kind:     by_value
      - .offset:         88
        .size:           4
        .value_kind:     by_value
      - .offset:         92
        .size:           4
        .value_kind:     by_value
      - .offset:         96
        .size:           4
        .value_kind:     hidden_block_count_x
      - .offset:         100
        .size:           4
        .value_kind:     hidden_block_count_y
      - .offset:         104
        .size:           4
        .value_kind:     hidden_block_count_z
      - .offset:         108
        .size:           2
        .value_kind:     hidden_group_size_x
      - .offset:         110
        .size:           2
        .value_kind:     hidden_group_size_y
      - .offset:         112
        .size:           2
        .value_kind:     hidden_group_size_z
      - .offset:         114
        .size:           2
        .value_kind:     hidden_remainder_x
      - .offset:         116
        .size:           2
        .value_kind:     hidden_remainder_y
      - .offset:         118
        .size:           2
        .value_kind:     hidden_remainder_z
      - .offset:         136
        .size:           8
        .value_kind:     hidden_global_offset_x
      - .offset:         144
        .size:           8
        .value_kind:     hidden_global_offset_y
      - .offset:         152
        .size:           8
        .value_kind:     hidden_global_offset_z
      - .offset:         160
        .size:           2
        .value_kind:     hidden_grid_dims
      - .offset:         176
        .size:           8
        .value_kind:     hidden_hostcall_buffer
    .group_segment_fixed_size: 0
    .kernarg_segment_align: 8
    .kernarg_segment_size: 352
    .language:       OpenCL C
    .language_version:
      - 2
      - 0
    .max_flat_workgroup_size: 512
    .name:           _ZL9mul_mat_fI15__hip_bfloat162Li32ELi4ELi8ELb1EEvPKT_PKfPKiPfiiiiiiiiiiiiiiii
    .private_segment_fixed_size: 16
    .sgpr_count:     40
    .sgpr_spill_count: 0
    .symbol:         _ZL9mul_mat_fI15__hip_bfloat162Li32ELi4ELi8ELb1EEvPKT_PKfPKiPfiiiiiiiiiiiiiiii.kd
    .uniform_work_group_size: 1
    .uses_dynamic_stack: false
    .vgpr_count:     41
    .vgpr_spill_count: 0
    .wavefront_size: 64
  - .agpr_count:     0
    .args:
      - .actual_access:  read_only
        .address_space:  global
        .offset:         0
        .size:           8
        .value_kind:     global_buffer
      - .actual_access:  read_only
        .address_space:  global
        .offset:         8
        .size:           8
        .value_kind:     global_buffer
      - .actual_access:  read_only
        .address_space:  global
        .offset:         16
        .size:           8
        .value_kind:     global_buffer
      - .actual_access:  read_only
        .address_space:  global
        .offset:         24
        .size:           8
        .value_kind:     global_buffer
      - .offset:         32
        .size:           4
        .value_kind:     by_value
      - .offset:         36
        .size:           4
        .value_kind:     by_value
      - .offset:         40
        .size:           4
        .value_kind:     by_value
      - .offset:         44
        .size:           4
        .value_kind:     by_value
      - .offset:         48
        .size:           4
        .value_kind:     by_value
      - .offset:         52
        .size:           4
        .value_kind:     by_value
      - .offset:         56
        .size:           4
        .value_kind:     by_value
      - .offset:         60
        .size:           4
        .value_kind:     by_value
      - .offset:         64
        .size:           4
        .value_kind:     by_value
      - .offset:         68
        .size:           4
        .value_kind:     by_value
      - .offset:         72
        .size:           4
        .value_kind:     by_value
      - .offset:         76
        .size:           4
        .value_kind:     by_value
      - .offset:         80
        .size:           4
        .value_kind:     by_value
      - .offset:         84
        .size:           4
        .value_kind:     by_value
      - .offset:         88
        .size:           4
        .value_kind:     by_value
      - .offset:         92
        .size:           4
        .value_kind:     by_value
      - .offset:         96
        .size:           4
        .value_kind:     hidden_block_count_x
      - .offset:         100
        .size:           4
        .value_kind:     hidden_block_count_y
      - .offset:         104
        .size:           4
        .value_kind:     hidden_block_count_z
      - .offset:         108
        .size:           2
        .value_kind:     hidden_group_size_x
      - .offset:         110
        .size:           2
        .value_kind:     hidden_group_size_y
      - .offset:         112
        .size:           2
        .value_kind:     hidden_group_size_z
      - .offset:         114
        .size:           2
        .value_kind:     hidden_remainder_x
      - .offset:         116
        .size:           2
        .value_kind:     hidden_remainder_y
      - .offset:         118
        .size:           2
        .value_kind:     hidden_remainder_z
      - .offset:         136
        .size:           8
        .value_kind:     hidden_global_offset_x
      - .offset:         144
        .size:           8
        .value_kind:     hidden_global_offset_y
      - .offset:         152
        .size:           8
        .value_kind:     hidden_global_offset_z
      - .offset:         160
        .size:           2
        .value_kind:     hidden_grid_dims
      - .offset:         176
        .size:           8
        .value_kind:     hidden_hostcall_buffer
    .group_segment_fixed_size: 0
    .kernarg_segment_align: 8
    .kernarg_segment_size: 352
    .language:       OpenCL C
    .language_version:
      - 2
      - 0
    .max_flat_workgroup_size: 512
    .name:           _ZL9mul_mat_fI15__hip_bfloat162Li32ELi4ELi8ELb0EEvPKT_PKfPKiPfiiiiiiiiiiiiiiii
    .private_segment_fixed_size: 16
    .sgpr_count:     40
    .sgpr_spill_count: 0
    .symbol:         _ZL9mul_mat_fI15__hip_bfloat162Li32ELi4ELi8ELb0EEvPKT_PKfPKiPfiiiiiiiiiiiiiiii.kd
    .uniform_work_group_size: 1
    .uses_dynamic_stack: false
    .vgpr_count:     41
    .vgpr_spill_count: 0
    .wavefront_size: 64
  - .agpr_count:     16
    .args:
      - .actual_access:  read_only
        .address_space:  global
        .offset:         0
        .size:           8
        .value_kind:     global_buffer
      - .actual_access:  read_only
        .address_space:  global
        .offset:         8
        .size:           8
        .value_kind:     global_buffer
      - .actual_access:  read_only
        .address_space:  global
        .offset:         16
        .size:           8
        .value_kind:     global_buffer
      - .actual_access:  read_only
        .address_space:  global
        .offset:         24
        .size:           8
        .value_kind:     global_buffer
      - .actual_access:  read_only
        .address_space:  global
        .offset:         32
        .size:           8
        .value_kind:     global_buffer
      - .actual_access:  write_only
        .address_space:  global
        .offset:         40
        .size:           8
        .value_kind:     global_buffer
      - .offset:         48
        .size:           4
        .value_kind:     by_value
      - .offset:         52
        .size:           4
        .value_kind:     by_value
      - .offset:         56
        .size:           4
        .value_kind:     by_value
      - .offset:         60
        .size:           4
        .value_kind:     by_value
      - .offset:         64
        .size:           4
        .value_kind:     by_value
      - .offset:         68
        .size:           4
        .value_kind:     by_value
      - .offset:         72
        .size:           4
        .value_kind:     by_value
      - .offset:         76
        .size:           4
        .value_kind:     by_value
      - .offset:         80
        .size:           4
        .value_kind:     by_value
      - .offset:         84
        .size:           4
        .value_kind:     by_value
      - .offset:         88
        .size:           4
        .value_kind:     by_value
      - .offset:         92
        .size:           4
        .value_kind:     by_value
      - .offset:         96
        .size:           4
        .value_kind:     by_value
      - .offset:         100
        .size:           4
        .value_kind:     by_value
      - .offset:         104
        .size:           12
        .value_kind:     by_value
      - .offset:         116
        .size:           12
        .value_kind:     by_value
    .group_segment_fixed_size: 0
    .kernarg_segment_align: 8
    .kernarg_segment_size: 128
    .language:       OpenCL C
    .language_version:
      - 2
      - 0
    .max_flat_workgroup_size: 64
    .name:           _ZL13mul_mat_f_idsIfLi64ELi4ELi1EEvPKT_PKfPKiS6_S6_Pfiiiiiiiiiiiiii15HIP_vector_typeIjLj3EES9_
    .private_segment_fixed_size: 0
    .sgpr_count:     100
    .sgpr_spill_count: 9
    .symbol:         _ZL13mul_mat_f_idsIfLi64ELi4ELi1EEvPKT_PKfPKiS6_S6_Pfiiiiiiiiiiiiii15HIP_vector_typeIjLj3EES9_.kd
    .uniform_work_group_size: 1
    .uses_dynamic_stack: false
    .vgpr_count:     116
    .vgpr_spill_count: 0
    .wavefront_size: 64
  - .agpr_count:     20
    .args:
      - .actual_access:  read_only
        .address_space:  global
        .offset:         0
        .size:           8
        .value_kind:     global_buffer
      - .actual_access:  read_only
        .address_space:  global
        .offset:         8
        .size:           8
        .value_kind:     global_buffer
      - .actual_access:  read_only
        .address_space:  global
        .offset:         16
        .size:           8
        .value_kind:     global_buffer
      - .actual_access:  write_only
        .address_space:  global
        .offset:         24
        .size:           8
        .value_kind:     global_buffer
      - .offset:         32
        .size:           4
        .value_kind:     by_value
      - .offset:         36
        .size:           4
        .value_kind:     by_value
      - .offset:         40
        .size:           4
        .value_kind:     by_value
      - .offset:         44
        .size:           4
        .value_kind:     by_value
      - .offset:         48
        .size:           4
        .value_kind:     by_value
      - .offset:         52
        .size:           4
        .value_kind:     by_value
      - .offset:         56
        .size:           4
        .value_kind:     by_value
      - .offset:         60
        .size:           4
        .value_kind:     by_value
      - .offset:         64
        .size:           4
        .value_kind:     by_value
      - .offset:         68
        .size:           4
        .value_kind:     by_value
      - .offset:         72
        .size:           4
        .value_kind:     by_value
      - .offset:         76
        .size:           4
        .value_kind:     by_value
      - .offset:         80
        .size:           4
        .value_kind:     by_value
      - .offset:         84
        .size:           4
        .value_kind:     by_value
      - .offset:         88
        .size:           4
        .value_kind:     by_value
      - .offset:         92
        .size:           4
        .value_kind:     by_value
      - .offset:         96
        .size:           4
        .value_kind:     hidden_block_count_x
      - .offset:         100
        .size:           4
        .value_kind:     hidden_block_count_y
      - .offset:         104
        .size:           4
        .value_kind:     hidden_block_count_z
      - .offset:         108
        .size:           2
        .value_kind:     hidden_group_size_x
      - .offset:         110
        .size:           2
        .value_kind:     hidden_group_size_y
      - .offset:         112
        .size:           2
        .value_kind:     hidden_group_size_z
      - .offset:         114
        .size:           2
        .value_kind:     hidden_remainder_x
      - .offset:         116
        .size:           2
        .value_kind:     hidden_remainder_y
      - .offset:         118
        .size:           2
        .value_kind:     hidden_remainder_z
      - .offset:         136
        .size:           8
        .value_kind:     hidden_global_offset_x
      - .offset:         144
        .size:           8
        .value_kind:     hidden_global_offset_y
      - .offset:         152
        .size:           8
        .value_kind:     hidden_global_offset_z
      - .offset:         160
        .size:           2
        .value_kind:     hidden_grid_dims
      - .offset:         216
        .size:           4
        .value_kind:     hidden_dynamic_lds_size
    .group_segment_fixed_size: 256
    .kernarg_segment_align: 8
    .kernarg_segment_size: 352
    .language:       OpenCL C
    .language_version:
      - 2
      - 0
    .max_flat_workgroup_size: 64
    .name:           _ZL9mul_mat_fIfLi64ELi4ELi1ELb1EEvPKT_PKfPKiPfiiiiiiiiiiiiiiii
    .private_segment_fixed_size: 0
    .sgpr_count:     100
    .sgpr_spill_count: 7
    .symbol:         _ZL9mul_mat_fIfLi64ELi4ELi1ELb1EEvPKT_PKfPKiPfiiiiiiiiiiiiiiii.kd
    .uniform_work_group_size: 1
    .uses_dynamic_stack: false
    .vgpr_count:     124
    .vgpr_spill_count: 0
    .wavefront_size: 64
  - .agpr_count:     24
    .args:
      - .actual_access:  read_only
        .address_space:  global
        .offset:         0
        .size:           8
        .value_kind:     global_buffer
      - .actual_access:  read_only
        .address_space:  global
        .offset:         8
        .size:           8
        .value_kind:     global_buffer
      - .actual_access:  read_only
        .address_space:  global
        .offset:         16
        .size:           8
        .value_kind:     global_buffer
      - .actual_access:  write_only
        .address_space:  global
        .offset:         24
        .size:           8
        .value_kind:     global_buffer
      - .offset:         32
        .size:           4
        .value_kind:     by_value
      - .offset:         36
        .size:           4
        .value_kind:     by_value
      - .offset:         40
        .size:           4
        .value_kind:     by_value
      - .offset:         44
        .size:           4
        .value_kind:     by_value
      - .offset:         48
        .size:           4
        .value_kind:     by_value
      - .offset:         52
        .size:           4
        .value_kind:     by_value
      - .offset:         56
        .size:           4
        .value_kind:     by_value
      - .offset:         60
        .size:           4
        .value_kind:     by_value
      - .offset:         64
        .size:           4
        .value_kind:     by_value
      - .offset:         68
        .size:           4
        .value_kind:     by_value
      - .offset:         72
        .size:           4
        .value_kind:     by_value
      - .offset:         76
        .size:           4
        .value_kind:     by_value
      - .offset:         80
        .size:           4
        .value_kind:     by_value
      - .offset:         84
        .size:           4
        .value_kind:     by_value
      - .offset:         88
        .size:           4
        .value_kind:     by_value
      - .offset:         92
        .size:           4
        .value_kind:     by_value
    .group_segment_fixed_size: 0
    .kernarg_segment_align: 8
    .kernarg_segment_size: 96
    .language:       OpenCL C
    .language_version:
      - 2
      - 0
    .max_flat_workgroup_size: 64
    .name:           _ZL9mul_mat_fIfLi64ELi4ELi1ELb0EEvPKT_PKfPKiPfiiiiiiiiiiiiiiii
    .private_segment_fixed_size: 0
    .sgpr_count:     85
    .sgpr_spill_count: 0
    .symbol:         _ZL9mul_mat_fIfLi64ELi4ELi1ELb0EEvPKT_PKfPKiPfiiiiiiiiiiiiiiii.kd
    .uniform_work_group_size: 1
    .uses_dynamic_stack: false
    .vgpr_count:     128
    .vgpr_spill_count: 0
    .wavefront_size: 64
  - .agpr_count:     16
    .args:
      - .actual_access:  read_only
        .address_space:  global
        .offset:         0
        .size:           8
        .value_kind:     global_buffer
      - .actual_access:  read_only
        .address_space:  global
        .offset:         8
        .size:           8
        .value_kind:     global_buffer
      - .actual_access:  read_only
        .address_space:  global
        .offset:         16
        .size:           8
        .value_kind:     global_buffer
      - .actual_access:  read_only
        .address_space:  global
        .offset:         24
        .size:           8
        .value_kind:     global_buffer
      - .actual_access:  read_only
        .address_space:  global
        .offset:         32
        .size:           8
        .value_kind:     global_buffer
      - .actual_access:  write_only
        .address_space:  global
        .offset:         40
        .size:           8
        .value_kind:     global_buffer
      - .offset:         48
        .size:           4
        .value_kind:     by_value
      - .offset:         52
        .size:           4
        .value_kind:     by_value
      - .offset:         56
        .size:           4
        .value_kind:     by_value
      - .offset:         60
        .size:           4
        .value_kind:     by_value
      - .offset:         64
        .size:           4
        .value_kind:     by_value
      - .offset:         68
        .size:           4
        .value_kind:     by_value
      - .offset:         72
        .size:           4
        .value_kind:     by_value
      - .offset:         76
        .size:           4
        .value_kind:     by_value
      - .offset:         80
        .size:           4
        .value_kind:     by_value
      - .offset:         84
        .size:           4
        .value_kind:     by_value
      - .offset:         88
        .size:           4
        .value_kind:     by_value
      - .offset:         92
        .size:           4
        .value_kind:     by_value
      - .offset:         96
        .size:           4
        .value_kind:     by_value
      - .offset:         100
        .size:           4
        .value_kind:     by_value
      - .offset:         104
        .size:           12
        .value_kind:     by_value
      - .offset:         116
        .size:           12
        .value_kind:     by_value
    .group_segment_fixed_size: 0
    .kernarg_segment_align: 8
    .kernarg_segment_size: 128
    .language:       OpenCL C
    .language_version:
      - 2
      - 0
    .max_flat_workgroup_size: 128
    .name:           _ZL13mul_mat_f_idsIfLi64ELi4ELi2EEvPKT_PKfPKiS6_S6_Pfiiiiiiiiiiiiii15HIP_vector_typeIjLj3EES9_
    .private_segment_fixed_size: 0
    .sgpr_count:     100
    .sgpr_spill_count: 9
    .symbol:         _ZL13mul_mat_f_idsIfLi64ELi4ELi2EEvPKT_PKfPKiS6_S6_Pfiiiiiiiiiiiiii15HIP_vector_typeIjLj3EES9_.kd
    .uniform_work_group_size: 1
    .uses_dynamic_stack: false
    .vgpr_count:     116
    .vgpr_spill_count: 0
    .wavefront_size: 64
  - .agpr_count:     20
    .args:
      - .actual_access:  read_only
        .address_space:  global
        .offset:         0
        .size:           8
        .value_kind:     global_buffer
      - .actual_access:  read_only
        .address_space:  global
        .offset:         8
        .size:           8
        .value_kind:     global_buffer
      - .actual_access:  read_only
        .address_space:  global
        .offset:         16
        .size:           8
        .value_kind:     global_buffer
      - .actual_access:  write_only
        .address_space:  global
        .offset:         24
        .size:           8
        .value_kind:     global_buffer
      - .offset:         32
        .size:           4
        .value_kind:     by_value
      - .offset:         36
        .size:           4
        .value_kind:     by_value
      - .offset:         40
        .size:           4
        .value_kind:     by_value
      - .offset:         44
        .size:           4
        .value_kind:     by_value
      - .offset:         48
        .size:           4
        .value_kind:     by_value
      - .offset:         52
        .size:           4
        .value_kind:     by_value
      - .offset:         56
        .size:           4
        .value_kind:     by_value
      - .offset:         60
        .size:           4
        .value_kind:     by_value
      - .offset:         64
        .size:           4
        .value_kind:     by_value
      - .offset:         68
        .size:           4
        .value_kind:     by_value
      - .offset:         72
        .size:           4
        .value_kind:     by_value
      - .offset:         76
        .size:           4
        .value_kind:     by_value
      - .offset:         80
        .size:           4
        .value_kind:     by_value
      - .offset:         84
        .size:           4
        .value_kind:     by_value
      - .offset:         88
        .size:           4
        .value_kind:     by_value
      - .offset:         92
        .size:           4
        .value_kind:     by_value
      - .offset:         96
        .size:           4
        .value_kind:     hidden_block_count_x
      - .offset:         100
        .size:           4
        .value_kind:     hidden_block_count_y
      - .offset:         104
        .size:           4
        .value_kind:     hidden_block_count_z
      - .offset:         108
        .size:           2
        .value_kind:     hidden_group_size_x
      - .offset:         110
        .size:           2
        .value_kind:     hidden_group_size_y
      - .offset:         112
        .size:           2
        .value_kind:     hidden_group_size_z
      - .offset:         114
        .size:           2
        .value_kind:     hidden_remainder_x
      - .offset:         116
        .size:           2
        .value_kind:     hidden_remainder_y
      - .offset:         118
        .size:           2
        .value_kind:     hidden_remainder_z
      - .offset:         136
        .size:           8
        .value_kind:     hidden_global_offset_x
      - .offset:         144
        .size:           8
        .value_kind:     hidden_global_offset_y
      - .offset:         152
        .size:           8
        .value_kind:     hidden_global_offset_z
      - .offset:         160
        .size:           2
        .value_kind:     hidden_grid_dims
      - .offset:         216
        .size:           4
        .value_kind:     hidden_dynamic_lds_size
    .group_segment_fixed_size: 256
    .kernarg_segment_align: 8
    .kernarg_segment_size: 352
    .language:       OpenCL C
    .language_version:
      - 2
      - 0
    .max_flat_workgroup_size: 128
    .name:           _ZL9mul_mat_fIfLi64ELi4ELi2ELb1EEvPKT_PKfPKiPfiiiiiiiiiiiiiiii
    .private_segment_fixed_size: 0
    .sgpr_count:     100
    .sgpr_spill_count: 0
    .symbol:         _ZL9mul_mat_fIfLi64ELi4ELi2ELb1EEvPKT_PKfPKiPfiiiiiiiiiiiiiiii.kd
    .uniform_work_group_size: 1
    .uses_dynamic_stack: false
    .vgpr_count:     120
    .vgpr_spill_count: 0
    .wavefront_size: 64
  - .agpr_count:     24
    .args:
      - .actual_access:  read_only
        .address_space:  global
        .offset:         0
        .size:           8
        .value_kind:     global_buffer
      - .actual_access:  read_only
        .address_space:  global
        .offset:         8
        .size:           8
        .value_kind:     global_buffer
      - .actual_access:  read_only
        .address_space:  global
        .offset:         16
        .size:           8
        .value_kind:     global_buffer
      - .actual_access:  write_only
        .address_space:  global
        .offset:         24
        .size:           8
        .value_kind:     global_buffer
      - .offset:         32
        .size:           4
        .value_kind:     by_value
      - .offset:         36
        .size:           4
        .value_kind:     by_value
      - .offset:         40
        .size:           4
        .value_kind:     by_value
      - .offset:         44
        .size:           4
        .value_kind:     by_value
      - .offset:         48
        .size:           4
        .value_kind:     by_value
      - .offset:         52
        .size:           4
        .value_kind:     by_value
      - .offset:         56
        .size:           4
        .value_kind:     by_value
      - .offset:         60
        .size:           4
        .value_kind:     by_value
      - .offset:         64
        .size:           4
        .value_kind:     by_value
      - .offset:         68
        .size:           4
        .value_kind:     by_value
      - .offset:         72
        .size:           4
        .value_kind:     by_value
      - .offset:         76
        .size:           4
        .value_kind:     by_value
      - .offset:         80
        .size:           4
        .value_kind:     by_value
      - .offset:         84
        .size:           4
        .value_kind:     by_value
      - .offset:         88
        .size:           4
        .value_kind:     by_value
      - .offset:         92
        .size:           4
        .value_kind:     by_value
    .group_segment_fixed_size: 0
    .kernarg_segment_align: 8
    .kernarg_segment_size: 96
    .language:       OpenCL C
    .language_version:
      - 2
      - 0
    .max_flat_workgroup_size: 128
    .name:           _ZL9mul_mat_fIfLi64ELi4ELi2ELb0EEvPKT_PKfPKiPfiiiiiiiiiiiiiiii
    .private_segment_fixed_size: 0
    .sgpr_count:     85
    .sgpr_spill_count: 0
    .symbol:         _ZL9mul_mat_fIfLi64ELi4ELi2ELb0EEvPKT_PKfPKiPfiiiiiiiiiiiiiiii.kd
    .uniform_work_group_size: 1
    .uses_dynamic_stack: false
    .vgpr_count:     128
    .vgpr_spill_count: 0
    .wavefront_size: 64
  - .agpr_count:     16
    .args:
      - .actual_access:  read_only
        .address_space:  global
        .offset:         0
        .size:           8
        .value_kind:     global_buffer
      - .actual_access:  read_only
        .address_space:  global
        .offset:         8
        .size:           8
        .value_kind:     global_buffer
      - .actual_access:  read_only
        .address_space:  global
        .offset:         16
        .size:           8
        .value_kind:     global_buffer
      - .actual_access:  read_only
        .address_space:  global
        .offset:         24
        .size:           8
        .value_kind:     global_buffer
      - .actual_access:  read_only
        .address_space:  global
        .offset:         32
        .size:           8
        .value_kind:     global_buffer
      - .actual_access:  write_only
        .address_space:  global
        .offset:         40
        .size:           8
        .value_kind:     global_buffer
      - .offset:         48
        .size:           4
        .value_kind:     by_value
      - .offset:         52
        .size:           4
        .value_kind:     by_value
      - .offset:         56
        .size:           4
        .value_kind:     by_value
      - .offset:         60
        .size:           4
        .value_kind:     by_value
      - .offset:         64
        .size:           4
        .value_kind:     by_value
      - .offset:         68
        .size:           4
        .value_kind:     by_value
      - .offset:         72
        .size:           4
        .value_kind:     by_value
      - .offset:         76
        .size:           4
        .value_kind:     by_value
      - .offset:         80
        .size:           4
        .value_kind:     by_value
      - .offset:         84
        .size:           4
        .value_kind:     by_value
      - .offset:         88
        .size:           4
        .value_kind:     by_value
      - .offset:         92
        .size:           4
        .value_kind:     by_value
      - .offset:         96
        .size:           4
        .value_kind:     by_value
      - .offset:         100
        .size:           4
        .value_kind:     by_value
      - .offset:         104
        .size:           12
        .value_kind:     by_value
      - .offset:         116
        .size:           12
        .value_kind:     by_value
    .group_segment_fixed_size: 0
    .kernarg_segment_align: 8
    .kernarg_segment_size: 128
    .language:       OpenCL C
    .language_version:
      - 2
      - 0
    .max_flat_workgroup_size: 192
    .name:           _ZL13mul_mat_f_idsIfLi64ELi4ELi3EEvPKT_PKfPKiS6_S6_Pfiiiiiiiiiiiiii15HIP_vector_typeIjLj3EES9_
    .private_segment_fixed_size: 0
    .sgpr_count:     100
    .sgpr_spill_count: 9
    .symbol:         _ZL13mul_mat_f_idsIfLi64ELi4ELi3EEvPKT_PKfPKiS6_S6_Pfiiiiiiiiiiiiii15HIP_vector_typeIjLj3EES9_.kd
    .uniform_work_group_size: 1
    .uses_dynamic_stack: false
    .vgpr_count:     116
    .vgpr_spill_count: 0
    .wavefront_size: 64
  - .agpr_count:     20
    .args:
      - .actual_access:  read_only
        .address_space:  global
        .offset:         0
        .size:           8
        .value_kind:     global_buffer
      - .actual_access:  read_only
        .address_space:  global
        .offset:         8
        .size:           8
        .value_kind:     global_buffer
      - .actual_access:  read_only
        .address_space:  global
        .offset:         16
        .size:           8
        .value_kind:     global_buffer
      - .actual_access:  write_only
        .address_space:  global
        .offset:         24
        .size:           8
        .value_kind:     global_buffer
      - .offset:         32
        .size:           4
        .value_kind:     by_value
      - .offset:         36
        .size:           4
        .value_kind:     by_value
      - .offset:         40
        .size:           4
        .value_kind:     by_value
      - .offset:         44
        .size:           4
        .value_kind:     by_value
      - .offset:         48
        .size:           4
        .value_kind:     by_value
      - .offset:         52
        .size:           4
        .value_kind:     by_value
      - .offset:         56
        .size:           4
        .value_kind:     by_value
      - .offset:         60
        .size:           4
        .value_kind:     by_value
      - .offset:         64
        .size:           4
        .value_kind:     by_value
      - .offset:         68
        .size:           4
        .value_kind:     by_value
      - .offset:         72
        .size:           4
        .value_kind:     by_value
      - .offset:         76
        .size:           4
        .value_kind:     by_value
      - .offset:         80
        .size:           4
        .value_kind:     by_value
      - .offset:         84
        .size:           4
        .value_kind:     by_value
      - .offset:         88
        .size:           4
        .value_kind:     by_value
      - .offset:         92
        .size:           4
        .value_kind:     by_value
      - .offset:         96
        .size:           4
        .value_kind:     hidden_block_count_x
      - .offset:         100
        .size:           4
        .value_kind:     hidden_block_count_y
      - .offset:         104
        .size:           4
        .value_kind:     hidden_block_count_z
      - .offset:         108
        .size:           2
        .value_kind:     hidden_group_size_x
      - .offset:         110
        .size:           2
        .value_kind:     hidden_group_size_y
      - .offset:         112
        .size:           2
        .value_kind:     hidden_group_size_z
      - .offset:         114
        .size:           2
        .value_kind:     hidden_remainder_x
      - .offset:         116
        .size:           2
        .value_kind:     hidden_remainder_y
      - .offset:         118
        .size:           2
        .value_kind:     hidden_remainder_z
      - .offset:         136
        .size:           8
        .value_kind:     hidden_global_offset_x
      - .offset:         144
        .size:           8
        .value_kind:     hidden_global_offset_y
      - .offset:         152
        .size:           8
        .value_kind:     hidden_global_offset_z
      - .offset:         160
        .size:           2
        .value_kind:     hidden_grid_dims
      - .offset:         216
        .size:           4
        .value_kind:     hidden_dynamic_lds_size
    .group_segment_fixed_size: 256
    .kernarg_segment_align: 8
    .kernarg_segment_size: 352
    .language:       OpenCL C
    .language_version:
      - 2
      - 0
    .max_flat_workgroup_size: 192
    .name:           _ZL9mul_mat_fIfLi64ELi4ELi3ELb1EEvPKT_PKfPKiPfiiiiiiiiiiiiiiii
    .private_segment_fixed_size: 0
    .sgpr_count:     100
    .sgpr_spill_count: 0
    .symbol:         _ZL9mul_mat_fIfLi64ELi4ELi3ELb1EEvPKT_PKfPKiPfiiiiiiiiiiiiiiii.kd
    .uniform_work_group_size: 1
    .uses_dynamic_stack: false
    .vgpr_count:     120
    .vgpr_spill_count: 0
    .wavefront_size: 64
  - .agpr_count:     24
    .args:
      - .actual_access:  read_only
        .address_space:  global
        .offset:         0
        .size:           8
        .value_kind:     global_buffer
      - .actual_access:  read_only
        .address_space:  global
        .offset:         8
        .size:           8
        .value_kind:     global_buffer
      - .actual_access:  read_only
        .address_space:  global
        .offset:         16
        .size:           8
        .value_kind:     global_buffer
      - .actual_access:  write_only
        .address_space:  global
        .offset:         24
        .size:           8
        .value_kind:     global_buffer
      - .offset:         32
        .size:           4
        .value_kind:     by_value
      - .offset:         36
        .size:           4
        .value_kind:     by_value
      - .offset:         40
        .size:           4
        .value_kind:     by_value
      - .offset:         44
        .size:           4
        .value_kind:     by_value
      - .offset:         48
        .size:           4
        .value_kind:     by_value
      - .offset:         52
        .size:           4
        .value_kind:     by_value
      - .offset:         56
        .size:           4
        .value_kind:     by_value
      - .offset:         60
        .size:           4
        .value_kind:     by_value
      - .offset:         64
        .size:           4
        .value_kind:     by_value
      - .offset:         68
        .size:           4
        .value_kind:     by_value
      - .offset:         72
        .size:           4
        .value_kind:     by_value
      - .offset:         76
        .size:           4
        .value_kind:     by_value
      - .offset:         80
        .size:           4
        .value_kind:     by_value
      - .offset:         84
        .size:           4
        .value_kind:     by_value
      - .offset:         88
        .size:           4
        .value_kind:     by_value
      - .offset:         92
        .size:           4
        .value_kind:     by_value
    .group_segment_fixed_size: 0
    .kernarg_segment_align: 8
    .kernarg_segment_size: 96
    .language:       OpenCL C
    .language_version:
      - 2
      - 0
    .max_flat_workgroup_size: 192
    .name:           _ZL9mul_mat_fIfLi64ELi4ELi3ELb0EEvPKT_PKfPKiPfiiiiiiiiiiiiiiii
    .private_segment_fixed_size: 0
    .sgpr_count:     85
    .sgpr_spill_count: 0
    .symbol:         _ZL9mul_mat_fIfLi64ELi4ELi3ELb0EEvPKT_PKfPKiPfiiiiiiiiiiiiiiii.kd
    .uniform_work_group_size: 1
    .uses_dynamic_stack: false
    .vgpr_count:     128
    .vgpr_spill_count: 0
    .wavefront_size: 64
  - .agpr_count:     16
    .args:
      - .actual_access:  read_only
        .address_space:  global
        .offset:         0
        .size:           8
        .value_kind:     global_buffer
      - .actual_access:  read_only
        .address_space:  global
        .offset:         8
        .size:           8
        .value_kind:     global_buffer
      - .actual_access:  read_only
        .address_space:  global
        .offset:         16
        .size:           8
        .value_kind:     global_buffer
      - .actual_access:  read_only
        .address_space:  global
        .offset:         24
        .size:           8
        .value_kind:     global_buffer
      - .actual_access:  read_only
        .address_space:  global
        .offset:         32
        .size:           8
        .value_kind:     global_buffer
      - .actual_access:  write_only
        .address_space:  global
        .offset:         40
        .size:           8
        .value_kind:     global_buffer
      - .offset:         48
        .size:           4
        .value_kind:     by_value
      - .offset:         52
        .size:           4
        .value_kind:     by_value
      - .offset:         56
        .size:           4
        .value_kind:     by_value
      - .offset:         60
        .size:           4
        .value_kind:     by_value
      - .offset:         64
        .size:           4
        .value_kind:     by_value
      - .offset:         68
        .size:           4
        .value_kind:     by_value
      - .offset:         72
        .size:           4
        .value_kind:     by_value
      - .offset:         76
        .size:           4
        .value_kind:     by_value
      - .offset:         80
        .size:           4
        .value_kind:     by_value
      - .offset:         84
        .size:           4
        .value_kind:     by_value
      - .offset:         88
        .size:           4
        .value_kind:     by_value
      - .offset:         92
        .size:           4
        .value_kind:     by_value
      - .offset:         96
        .size:           4
        .value_kind:     by_value
      - .offset:         100
        .size:           4
        .value_kind:     by_value
      - .offset:         104
        .size:           12
        .value_kind:     by_value
      - .offset:         116
        .size:           12
        .value_kind:     by_value
    .group_segment_fixed_size: 0
    .kernarg_segment_align: 8
    .kernarg_segment_size: 128
    .language:       OpenCL C
    .language_version:
      - 2
      - 0
    .max_flat_workgroup_size: 256
    .name:           _ZL13mul_mat_f_idsIfLi64ELi4ELi4EEvPKT_PKfPKiS6_S6_Pfiiiiiiiiiiiiii15HIP_vector_typeIjLj3EES9_
    .private_segment_fixed_size: 0
    .sgpr_count:     100
    .sgpr_spill_count: 9
    .symbol:         _ZL13mul_mat_f_idsIfLi64ELi4ELi4EEvPKT_PKfPKiS6_S6_Pfiiiiiiiiiiiiii15HIP_vector_typeIjLj3EES9_.kd
    .uniform_work_group_size: 1
    .uses_dynamic_stack: false
    .vgpr_count:     116
    .vgpr_spill_count: 0
    .wavefront_size: 64
  - .agpr_count:     20
    .args:
      - .actual_access:  read_only
        .address_space:  global
        .offset:         0
        .size:           8
        .value_kind:     global_buffer
      - .actual_access:  read_only
        .address_space:  global
        .offset:         8
        .size:           8
        .value_kind:     global_buffer
      - .actual_access:  read_only
        .address_space:  global
        .offset:         16
        .size:           8
        .value_kind:     global_buffer
      - .actual_access:  write_only
        .address_space:  global
        .offset:         24
        .size:           8
        .value_kind:     global_buffer
      - .offset:         32
        .size:           4
        .value_kind:     by_value
      - .offset:         36
        .size:           4
        .value_kind:     by_value
      - .offset:         40
        .size:           4
        .value_kind:     by_value
      - .offset:         44
        .size:           4
        .value_kind:     by_value
      - .offset:         48
        .size:           4
        .value_kind:     by_value
      - .offset:         52
        .size:           4
        .value_kind:     by_value
      - .offset:         56
        .size:           4
        .value_kind:     by_value
      - .offset:         60
        .size:           4
        .value_kind:     by_value
      - .offset:         64
        .size:           4
        .value_kind:     by_value
      - .offset:         68
        .size:           4
        .value_kind:     by_value
      - .offset:         72
        .size:           4
        .value_kind:     by_value
      - .offset:         76
        .size:           4
        .value_kind:     by_value
      - .offset:         80
        .size:           4
        .value_kind:     by_value
      - .offset:         84
        .size:           4
        .value_kind:     by_value
      - .offset:         88
        .size:           4
        .value_kind:     by_value
      - .offset:         92
        .size:           4
        .value_kind:     by_value
      - .offset:         96
        .size:           4
        .value_kind:     hidden_block_count_x
      - .offset:         100
        .size:           4
        .value_kind:     hidden_block_count_y
      - .offset:         104
        .size:           4
        .value_kind:     hidden_block_count_z
      - .offset:         108
        .size:           2
        .value_kind:     hidden_group_size_x
      - .offset:         110
        .size:           2
        .value_kind:     hidden_group_size_y
      - .offset:         112
        .size:           2
        .value_kind:     hidden_group_size_z
      - .offset:         114
        .size:           2
        .value_kind:     hidden_remainder_x
      - .offset:         116
        .size:           2
        .value_kind:     hidden_remainder_y
      - .offset:         118
        .size:           2
        .value_kind:     hidden_remainder_z
      - .offset:         136
        .size:           8
        .value_kind:     hidden_global_offset_x
      - .offset:         144
        .size:           8
        .value_kind:     hidden_global_offset_y
      - .offset:         152
        .size:           8
        .value_kind:     hidden_global_offset_z
      - .offset:         160
        .size:           2
        .value_kind:     hidden_grid_dims
      - .offset:         216
        .size:           4
        .value_kind:     hidden_dynamic_lds_size
    .group_segment_fixed_size: 256
    .kernarg_segment_align: 8
    .kernarg_segment_size: 352
    .language:       OpenCL C
    .language_version:
      - 2
      - 0
    .max_flat_workgroup_size: 256
    .name:           _ZL9mul_mat_fIfLi64ELi4ELi4ELb1EEvPKT_PKfPKiPfiiiiiiiiiiiiiiii
    .private_segment_fixed_size: 0
    .sgpr_count:     97
    .sgpr_spill_count: 0
    .symbol:         _ZL9mul_mat_fIfLi64ELi4ELi4ELb1EEvPKT_PKfPKiPfiiiiiiiiiiiiiiii.kd
    .uniform_work_group_size: 1
    .uses_dynamic_stack: false
    .vgpr_count:     120
    .vgpr_spill_count: 0
    .wavefront_size: 64
  - .agpr_count:     24
    .args:
      - .actual_access:  read_only
        .address_space:  global
        .offset:         0
        .size:           8
        .value_kind:     global_buffer
      - .actual_access:  read_only
        .address_space:  global
        .offset:         8
        .size:           8
        .value_kind:     global_buffer
      - .actual_access:  read_only
        .address_space:  global
        .offset:         16
        .size:           8
        .value_kind:     global_buffer
      - .actual_access:  write_only
        .address_space:  global
        .offset:         24
        .size:           8
        .value_kind:     global_buffer
      - .offset:         32
        .size:           4
        .value_kind:     by_value
      - .offset:         36
        .size:           4
        .value_kind:     by_value
      - .offset:         40
        .size:           4
        .value_kind:     by_value
      - .offset:         44
        .size:           4
        .value_kind:     by_value
      - .offset:         48
        .size:           4
        .value_kind:     by_value
      - .offset:         52
        .size:           4
        .value_kind:     by_value
      - .offset:         56
        .size:           4
        .value_kind:     by_value
      - .offset:         60
        .size:           4
        .value_kind:     by_value
      - .offset:         64
        .size:           4
        .value_kind:     by_value
      - .offset:         68
        .size:           4
        .value_kind:     by_value
      - .offset:         72
        .size:           4
        .value_kind:     by_value
      - .offset:         76
        .size:           4
        .value_kind:     by_value
      - .offset:         80
        .size:           4
        .value_kind:     by_value
      - .offset:         84
        .size:           4
        .value_kind:     by_value
      - .offset:         88
        .size:           4
        .value_kind:     by_value
      - .offset:         92
        .size:           4
        .value_kind:     by_value
    .group_segment_fixed_size: 0
    .kernarg_segment_align: 8
    .kernarg_segment_size: 96
    .language:       OpenCL C
    .language_version:
      - 2
      - 0
    .max_flat_workgroup_size: 256
    .name:           _ZL9mul_mat_fIfLi64ELi4ELi4ELb0EEvPKT_PKfPKiPfiiiiiiiiiiiiiiii
    .private_segment_fixed_size: 0
    .sgpr_count:     85
    .sgpr_spill_count: 0
    .symbol:         _ZL9mul_mat_fIfLi64ELi4ELi4ELb0EEvPKT_PKfPKiPfiiiiiiiiiiiiiiii.kd
    .uniform_work_group_size: 1
    .uses_dynamic_stack: false
    .vgpr_count:     128
    .vgpr_spill_count: 0
    .wavefront_size: 64
  - .agpr_count:     0
    .args:
      - .actual_access:  read_only
        .address_space:  global
        .offset:         0
        .size:           8
        .value_kind:     global_buffer
      - .actual_access:  read_only
        .address_space:  global
        .offset:         8
        .size:           8
        .value_kind:     global_buffer
      - .actual_access:  read_only
        .address_space:  global
        .offset:         16
        .size:           8
        .value_kind:     global_buffer
      - .actual_access:  read_only
        .address_space:  global
        .offset:         24
        .size:           8
        .value_kind:     global_buffer
      - .actual_access:  read_only
        .address_space:  global
        .offset:         32
        .size:           8
        .value_kind:     global_buffer
      - .actual_access:  write_only
        .address_space:  global
        .offset:         40
        .size:           8
        .value_kind:     global_buffer
      - .offset:         48
        .size:           4
        .value_kind:     by_value
      - .offset:         52
        .size:           4
        .value_kind:     by_value
      - .offset:         56
        .size:           4
        .value_kind:     by_value
      - .offset:         60
        .size:           4
        .value_kind:     by_value
      - .offset:         64
        .size:           4
        .value_kind:     by_value
      - .offset:         68
        .size:           4
        .value_kind:     by_value
      - .offset:         72
        .size:           4
        .value_kind:     by_value
      - .offset:         76
        .size:           4
        .value_kind:     by_value
      - .offset:         80
        .size:           4
        .value_kind:     by_value
      - .offset:         84
        .size:           4
        .value_kind:     by_value
      - .offset:         88
        .size:           4
        .value_kind:     by_value
      - .offset:         92
        .size:           4
        .value_kind:     by_value
      - .offset:         96
        .size:           4
        .value_kind:     by_value
      - .offset:         100
        .size:           4
        .value_kind:     by_value
      - .offset:         104
        .size:           12
        .value_kind:     by_value
      - .offset:         116
        .size:           12
        .value_kind:     by_value
    .group_segment_fixed_size: 0
    .kernarg_segment_align: 8
    .kernarg_segment_size: 128
    .language:       OpenCL C
    .language_version:
      - 2
      - 0
    .max_flat_workgroup_size: 320
    .name:           _ZL13mul_mat_f_idsIfLi64ELi4ELi5EEvPKT_PKfPKiS6_S6_Pfiiiiiiiiiiiiii15HIP_vector_typeIjLj3EES9_
    .private_segment_fixed_size: 0
    .sgpr_count:     100
    .sgpr_spill_count: 9
    .symbol:         _ZL13mul_mat_f_idsIfLi64ELi4ELi5EEvPKT_PKfPKiS6_S6_Pfiiiiiiiiiiiiii15HIP_vector_typeIjLj3EES9_.kd
    .uniform_work_group_size: 1
    .uses_dynamic_stack: false
    .vgpr_count:     101
    .vgpr_spill_count: 0
    .wavefront_size: 64
  - .agpr_count:     0
    .args:
      - .actual_access:  read_only
        .address_space:  global
        .offset:         0
        .size:           8
        .value_kind:     global_buffer
      - .actual_access:  read_only
        .address_space:  global
        .offset:         8
        .size:           8
        .value_kind:     global_buffer
      - .actual_access:  read_only
        .address_space:  global
        .offset:         16
        .size:           8
        .value_kind:     global_buffer
      - .actual_access:  write_only
        .address_space:  global
        .offset:         24
        .size:           8
        .value_kind:     global_buffer
      - .offset:         32
        .size:           4
        .value_kind:     by_value
      - .offset:         36
        .size:           4
        .value_kind:     by_value
      - .offset:         40
        .size:           4
        .value_kind:     by_value
      - .offset:         44
        .size:           4
        .value_kind:     by_value
      - .offset:         48
        .size:           4
        .value_kind:     by_value
      - .offset:         52
        .size:           4
        .value_kind:     by_value
      - .offset:         56
        .size:           4
        .value_kind:     by_value
      - .offset:         60
        .size:           4
        .value_kind:     by_value
      - .offset:         64
        .size:           4
        .value_kind:     by_value
      - .offset:         68
        .size:           4
        .value_kind:     by_value
      - .offset:         72
        .size:           4
        .value_kind:     by_value
      - .offset:         76
        .size:           4
        .value_kind:     by_value
      - .offset:         80
        .size:           4
        .value_kind:     by_value
      - .offset:         84
        .size:           4
        .value_kind:     by_value
      - .offset:         88
        .size:           4
        .value_kind:     by_value
      - .offset:         92
        .size:           4
        .value_kind:     by_value
      - .offset:         96
        .size:           4
        .value_kind:     hidden_block_count_x
      - .offset:         100
        .size:           4
        .value_kind:     hidden_block_count_y
      - .offset:         104
        .size:           4
        .value_kind:     hidden_block_count_z
      - .offset:         108
        .size:           2
        .value_kind:     hidden_group_size_x
      - .offset:         110
        .size:           2
        .value_kind:     hidden_group_size_y
      - .offset:         112
        .size:           2
        .value_kind:     hidden_group_size_z
      - .offset:         114
        .size:           2
        .value_kind:     hidden_remainder_x
      - .offset:         116
        .size:           2
        .value_kind:     hidden_remainder_y
      - .offset:         118
        .size:           2
        .value_kind:     hidden_remainder_z
      - .offset:         136
        .size:           8
        .value_kind:     hidden_global_offset_x
      - .offset:         144
        .size:           8
        .value_kind:     hidden_global_offset_y
      - .offset:         152
        .size:           8
        .value_kind:     hidden_global_offset_z
      - .offset:         160
        .size:           2
        .value_kind:     hidden_grid_dims
      - .offset:         216
        .size:           4
        .value_kind:     hidden_dynamic_lds_size
    .group_segment_fixed_size: 256
    .kernarg_segment_align: 8
    .kernarg_segment_size: 352
    .language:       OpenCL C
    .language_version:
      - 2
      - 0
    .max_flat_workgroup_size: 320
    .name:           _ZL9mul_mat_fIfLi64ELi4ELi5ELb1EEvPKT_PKfPKiPfiiiiiiiiiiiiiiii
    .private_segment_fixed_size: 0
    .sgpr_count:     97
    .sgpr_spill_count: 0
    .symbol:         _ZL9mul_mat_fIfLi64ELi4ELi5ELb1EEvPKT_PKfPKiPfiiiiiiiiiiiiiiii.kd
    .uniform_work_group_size: 1
    .uses_dynamic_stack: false
    .vgpr_count:     101
    .vgpr_spill_count: 0
    .wavefront_size: 64
  - .agpr_count:     0
    .args:
      - .actual_access:  read_only
        .address_space:  global
        .offset:         0
        .size:           8
        .value_kind:     global_buffer
      - .actual_access:  read_only
        .address_space:  global
        .offset:         8
        .size:           8
        .value_kind:     global_buffer
      - .actual_access:  read_only
        .address_space:  global
        .offset:         16
        .size:           8
        .value_kind:     global_buffer
      - .actual_access:  write_only
        .address_space:  global
        .offset:         24
        .size:           8
        .value_kind:     global_buffer
      - .offset:         32
        .size:           4
        .value_kind:     by_value
      - .offset:         36
        .size:           4
        .value_kind:     by_value
      - .offset:         40
        .size:           4
        .value_kind:     by_value
      - .offset:         44
        .size:           4
        .value_kind:     by_value
      - .offset:         48
        .size:           4
        .value_kind:     by_value
      - .offset:         52
        .size:           4
        .value_kind:     by_value
      - .offset:         56
        .size:           4
        .value_kind:     by_value
      - .offset:         60
        .size:           4
        .value_kind:     by_value
      - .offset:         64
        .size:           4
        .value_kind:     by_value
      - .offset:         68
        .size:           4
        .value_kind:     by_value
      - .offset:         72
        .size:           4
        .value_kind:     by_value
      - .offset:         76
        .size:           4
        .value_kind:     by_value
      - .offset:         80
        .size:           4
        .value_kind:     by_value
      - .offset:         84
        .size:           4
        .value_kind:     by_value
      - .offset:         88
        .size:           4
        .value_kind:     by_value
      - .offset:         92
        .size:           4
        .value_kind:     by_value
    .group_segment_fixed_size: 0
    .kernarg_segment_align: 8
    .kernarg_segment_size: 96
    .language:       OpenCL C
    .language_version:
      - 2
      - 0
    .max_flat_workgroup_size: 320
    .name:           _ZL9mul_mat_fIfLi64ELi4ELi5ELb0EEvPKT_PKfPKiPfiiiiiiiiiiiiiiii
    .private_segment_fixed_size: 0
    .sgpr_count:     85
    .sgpr_spill_count: 0
    .symbol:         _ZL9mul_mat_fIfLi64ELi4ELi5ELb0EEvPKT_PKfPKiPfiiiiiiiiiiiiiiii.kd
    .uniform_work_group_size: 1
    .uses_dynamic_stack: false
    .vgpr_count:     104
    .vgpr_spill_count: 0
    .wavefront_size: 64
  - .agpr_count:     0
    .args:
      - .actual_access:  read_only
        .address_space:  global
        .offset:         0
        .size:           8
        .value_kind:     global_buffer
      - .actual_access:  read_only
        .address_space:  global
        .offset:         8
        .size:           8
        .value_kind:     global_buffer
      - .actual_access:  read_only
        .address_space:  global
        .offset:         16
        .size:           8
        .value_kind:     global_buffer
      - .actual_access:  read_only
        .address_space:  global
        .offset:         24
        .size:           8
        .value_kind:     global_buffer
      - .actual_access:  read_only
        .address_space:  global
        .offset:         32
        .size:           8
        .value_kind:     global_buffer
      - .actual_access:  write_only
        .address_space:  global
        .offset:         40
        .size:           8
        .value_kind:     global_buffer
      - .offset:         48
        .size:           4
        .value_kind:     by_value
      - .offset:         52
        .size:           4
        .value_kind:     by_value
      - .offset:         56
        .size:           4
        .value_kind:     by_value
      - .offset:         60
        .size:           4
        .value_kind:     by_value
      - .offset:         64
        .size:           4
        .value_kind:     by_value
      - .offset:         68
        .size:           4
        .value_kind:     by_value
      - .offset:         72
        .size:           4
        .value_kind:     by_value
      - .offset:         76
        .size:           4
        .value_kind:     by_value
      - .offset:         80
        .size:           4
        .value_kind:     by_value
      - .offset:         84
        .size:           4
        .value_kind:     by_value
      - .offset:         88
        .size:           4
        .value_kind:     by_value
      - .offset:         92
        .size:           4
        .value_kind:     by_value
      - .offset:         96
        .size:           4
        .value_kind:     by_value
      - .offset:         100
        .size:           4
        .value_kind:     by_value
      - .offset:         104
        .size:           12
        .value_kind:     by_value
      - .offset:         116
        .size:           12
        .value_kind:     by_value
    .group_segment_fixed_size: 0
    .kernarg_segment_align: 8
    .kernarg_segment_size: 128
    .language:       OpenCL C
    .language_version:
      - 2
      - 0
    .max_flat_workgroup_size: 384
    .name:           _ZL13mul_mat_f_idsIfLi64ELi4ELi6EEvPKT_PKfPKiS6_S6_Pfiiiiiiiiiiiiii15HIP_vector_typeIjLj3EES9_
    .private_segment_fixed_size: 0
    .sgpr_count:     100
    .sgpr_spill_count: 9
    .symbol:         _ZL13mul_mat_f_idsIfLi64ELi4ELi6EEvPKT_PKfPKiS6_S6_Pfiiiiiiiiiiiiii15HIP_vector_typeIjLj3EES9_.kd
    .uniform_work_group_size: 1
    .uses_dynamic_stack: false
    .vgpr_count:     101
    .vgpr_spill_count: 0
    .wavefront_size: 64
  - .agpr_count:     0
    .args:
      - .actual_access:  read_only
        .address_space:  global
        .offset:         0
        .size:           8
        .value_kind:     global_buffer
      - .actual_access:  read_only
        .address_space:  global
        .offset:         8
        .size:           8
        .value_kind:     global_buffer
      - .actual_access:  read_only
        .address_space:  global
        .offset:         16
        .size:           8
        .value_kind:     global_buffer
      - .actual_access:  write_only
        .address_space:  global
        .offset:         24
        .size:           8
        .value_kind:     global_buffer
      - .offset:         32
        .size:           4
        .value_kind:     by_value
      - .offset:         36
        .size:           4
        .value_kind:     by_value
      - .offset:         40
        .size:           4
        .value_kind:     by_value
      - .offset:         44
        .size:           4
        .value_kind:     by_value
      - .offset:         48
        .size:           4
        .value_kind:     by_value
      - .offset:         52
        .size:           4
        .value_kind:     by_value
      - .offset:         56
        .size:           4
        .value_kind:     by_value
      - .offset:         60
        .size:           4
        .value_kind:     by_value
      - .offset:         64
        .size:           4
        .value_kind:     by_value
      - .offset:         68
        .size:           4
        .value_kind:     by_value
      - .offset:         72
        .size:           4
        .value_kind:     by_value
      - .offset:         76
        .size:           4
        .value_kind:     by_value
      - .offset:         80
        .size:           4
        .value_kind:     by_value
      - .offset:         84
        .size:           4
        .value_kind:     by_value
      - .offset:         88
        .size:           4
        .value_kind:     by_value
      - .offset:         92
        .size:           4
        .value_kind:     by_value
      - .offset:         96
        .size:           4
        .value_kind:     hidden_block_count_x
      - .offset:         100
        .size:           4
        .value_kind:     hidden_block_count_y
      - .offset:         104
        .size:           4
        .value_kind:     hidden_block_count_z
      - .offset:         108
        .size:           2
        .value_kind:     hidden_group_size_x
      - .offset:         110
        .size:           2
        .value_kind:     hidden_group_size_y
      - .offset:         112
        .size:           2
        .value_kind:     hidden_group_size_z
      - .offset:         114
        .size:           2
        .value_kind:     hidden_remainder_x
      - .offset:         116
        .size:           2
        .value_kind:     hidden_remainder_y
      - .offset:         118
        .size:           2
        .value_kind:     hidden_remainder_z
      - .offset:         136
        .size:           8
        .value_kind:     hidden_global_offset_x
      - .offset:         144
        .size:           8
        .value_kind:     hidden_global_offset_y
      - .offset:         152
        .size:           8
        .value_kind:     hidden_global_offset_z
      - .offset:         160
        .size:           2
        .value_kind:     hidden_grid_dims
      - .offset:         216
        .size:           4
        .value_kind:     hidden_dynamic_lds_size
    .group_segment_fixed_size: 256
    .kernarg_segment_align: 8
    .kernarg_segment_size: 352
    .language:       OpenCL C
    .language_version:
      - 2
      - 0
    .max_flat_workgroup_size: 384
    .name:           _ZL9mul_mat_fIfLi64ELi4ELi6ELb1EEvPKT_PKfPKiPfiiiiiiiiiiiiiiii
    .private_segment_fixed_size: 0
    .sgpr_count:     97
    .sgpr_spill_count: 0
    .symbol:         _ZL9mul_mat_fIfLi64ELi4ELi6ELb1EEvPKT_PKfPKiPfiiiiiiiiiiiiiiii.kd
    .uniform_work_group_size: 1
    .uses_dynamic_stack: false
    .vgpr_count:     101
    .vgpr_spill_count: 0
    .wavefront_size: 64
  - .agpr_count:     0
    .args:
      - .actual_access:  read_only
        .address_space:  global
        .offset:         0
        .size:           8
        .value_kind:     global_buffer
      - .actual_access:  read_only
        .address_space:  global
        .offset:         8
        .size:           8
        .value_kind:     global_buffer
      - .actual_access:  read_only
        .address_space:  global
        .offset:         16
        .size:           8
        .value_kind:     global_buffer
      - .actual_access:  write_only
        .address_space:  global
        .offset:         24
        .size:           8
        .value_kind:     global_buffer
      - .offset:         32
        .size:           4
        .value_kind:     by_value
      - .offset:         36
        .size:           4
        .value_kind:     by_value
      - .offset:         40
        .size:           4
        .value_kind:     by_value
      - .offset:         44
        .size:           4
        .value_kind:     by_value
      - .offset:         48
        .size:           4
        .value_kind:     by_value
      - .offset:         52
        .size:           4
        .value_kind:     by_value
      - .offset:         56
        .size:           4
        .value_kind:     by_value
      - .offset:         60
        .size:           4
        .value_kind:     by_value
      - .offset:         64
        .size:           4
        .value_kind:     by_value
      - .offset:         68
        .size:           4
        .value_kind:     by_value
      - .offset:         72
        .size:           4
        .value_kind:     by_value
      - .offset:         76
        .size:           4
        .value_kind:     by_value
      - .offset:         80
        .size:           4
        .value_kind:     by_value
      - .offset:         84
        .size:           4
        .value_kind:     by_value
      - .offset:         88
        .size:           4
        .value_kind:     by_value
      - .offset:         92
        .size:           4
        .value_kind:     by_value
    .group_segment_fixed_size: 0
    .kernarg_segment_align: 8
    .kernarg_segment_size: 96
    .language:       OpenCL C
    .language_version:
      - 2
      - 0
    .max_flat_workgroup_size: 384
    .name:           _ZL9mul_mat_fIfLi64ELi4ELi6ELb0EEvPKT_PKfPKiPfiiiiiiiiiiiiiiii
    .private_segment_fixed_size: 0
    .sgpr_count:     85
    .sgpr_spill_count: 0
    .symbol:         _ZL9mul_mat_fIfLi64ELi4ELi6ELb0EEvPKT_PKfPKiPfiiiiiiiiiiiiiiii.kd
    .uniform_work_group_size: 1
    .uses_dynamic_stack: false
    .vgpr_count:     104
    .vgpr_spill_count: 0
    .wavefront_size: 64
  - .agpr_count:     0
    .args:
      - .actual_access:  read_only
        .address_space:  global
        .offset:         0
        .size:           8
        .value_kind:     global_buffer
      - .actual_access:  read_only
        .address_space:  global
        .offset:         8
        .size:           8
        .value_kind:     global_buffer
      - .actual_access:  read_only
        .address_space:  global
        .offset:         16
        .size:           8
        .value_kind:     global_buffer
      - .actual_access:  read_only
        .address_space:  global
        .offset:         24
        .size:           8
        .value_kind:     global_buffer
      - .actual_access:  read_only
        .address_space:  global
        .offset:         32
        .size:           8
        .value_kind:     global_buffer
      - .actual_access:  write_only
        .address_space:  global
        .offset:         40
        .size:           8
        .value_kind:     global_buffer
      - .offset:         48
        .size:           4
        .value_kind:     by_value
      - .offset:         52
        .size:           4
        .value_kind:     by_value
      - .offset:         56
        .size:           4
        .value_kind:     by_value
      - .offset:         60
        .size:           4
        .value_kind:     by_value
      - .offset:         64
        .size:           4
        .value_kind:     by_value
      - .offset:         68
        .size:           4
        .value_kind:     by_value
      - .offset:         72
        .size:           4
        .value_kind:     by_value
      - .offset:         76
        .size:           4
        .value_kind:     by_value
      - .offset:         80
        .size:           4
        .value_kind:     by_value
      - .offset:         84
        .size:           4
        .value_kind:     by_value
      - .offset:         88
        .size:           4
        .value_kind:     by_value
      - .offset:         92
        .size:           4
        .value_kind:     by_value
      - .offset:         96
        .size:           4
        .value_kind:     by_value
      - .offset:         100
        .size:           4
        .value_kind:     by_value
      - .offset:         104
        .size:           12
        .value_kind:     by_value
      - .offset:         116
        .size:           12
        .value_kind:     by_value
    .group_segment_fixed_size: 0
    .kernarg_segment_align: 8
    .kernarg_segment_size: 128
    .language:       OpenCL C
    .language_version:
      - 2
      - 0
    .max_flat_workgroup_size: 448
    .name:           _ZL13mul_mat_f_idsIfLi64ELi4ELi7EEvPKT_PKfPKiS6_S6_Pfiiiiiiiiiiiiii15HIP_vector_typeIjLj3EES9_
    .private_segment_fixed_size: 0
    .sgpr_count:     100
    .sgpr_spill_count: 9
    .symbol:         _ZL13mul_mat_f_idsIfLi64ELi4ELi7EEvPKT_PKfPKiS6_S6_Pfiiiiiiiiiiiiii15HIP_vector_typeIjLj3EES9_.kd
    .uniform_work_group_size: 1
    .uses_dynamic_stack: false
    .vgpr_count:     101
    .vgpr_spill_count: 0
    .wavefront_size: 64
  - .agpr_count:     0
    .args:
      - .actual_access:  read_only
        .address_space:  global
        .offset:         0
        .size:           8
        .value_kind:     global_buffer
      - .actual_access:  read_only
        .address_space:  global
        .offset:         8
        .size:           8
        .value_kind:     global_buffer
      - .actual_access:  read_only
        .address_space:  global
        .offset:         16
        .size:           8
        .value_kind:     global_buffer
      - .actual_access:  write_only
        .address_space:  global
        .offset:         24
        .size:           8
        .value_kind:     global_buffer
      - .offset:         32
        .size:           4
        .value_kind:     by_value
      - .offset:         36
        .size:           4
        .value_kind:     by_value
      - .offset:         40
        .size:           4
        .value_kind:     by_value
      - .offset:         44
        .size:           4
        .value_kind:     by_value
      - .offset:         48
        .size:           4
        .value_kind:     by_value
      - .offset:         52
        .size:           4
        .value_kind:     by_value
      - .offset:         56
        .size:           4
        .value_kind:     by_value
      - .offset:         60
        .size:           4
        .value_kind:     by_value
      - .offset:         64
        .size:           4
        .value_kind:     by_value
      - .offset:         68
        .size:           4
        .value_kind:     by_value
      - .offset:         72
        .size:           4
        .value_kind:     by_value
      - .offset:         76
        .size:           4
        .value_kind:     by_value
      - .offset:         80
        .size:           4
        .value_kind:     by_value
      - .offset:         84
        .size:           4
        .value_kind:     by_value
      - .offset:         88
        .size:           4
        .value_kind:     by_value
      - .offset:         92
        .size:           4
        .value_kind:     by_value
      - .offset:         96
        .size:           4
        .value_kind:     hidden_block_count_x
      - .offset:         100
        .size:           4
        .value_kind:     hidden_block_count_y
      - .offset:         104
        .size:           4
        .value_kind:     hidden_block_count_z
      - .offset:         108
        .size:           2
        .value_kind:     hidden_group_size_x
      - .offset:         110
        .size:           2
        .value_kind:     hidden_group_size_y
      - .offset:         112
        .size:           2
        .value_kind:     hidden_group_size_z
      - .offset:         114
        .size:           2
        .value_kind:     hidden_remainder_x
      - .offset:         116
        .size:           2
        .value_kind:     hidden_remainder_y
      - .offset:         118
        .size:           2
        .value_kind:     hidden_remainder_z
      - .offset:         136
        .size:           8
        .value_kind:     hidden_global_offset_x
      - .offset:         144
        .size:           8
        .value_kind:     hidden_global_offset_y
      - .offset:         152
        .size:           8
        .value_kind:     hidden_global_offset_z
      - .offset:         160
        .size:           2
        .value_kind:     hidden_grid_dims
      - .offset:         216
        .size:           4
        .value_kind:     hidden_dynamic_lds_size
    .group_segment_fixed_size: 256
    .kernarg_segment_align: 8
    .kernarg_segment_size: 352
    .language:       OpenCL C
    .language_version:
      - 2
      - 0
    .max_flat_workgroup_size: 448
    .name:           _ZL9mul_mat_fIfLi64ELi4ELi7ELb1EEvPKT_PKfPKiPfiiiiiiiiiiiiiiii
    .private_segment_fixed_size: 0
    .sgpr_count:     97
    .sgpr_spill_count: 0
    .symbol:         _ZL9mul_mat_fIfLi64ELi4ELi7ELb1EEvPKT_PKfPKiPfiiiiiiiiiiiiiiii.kd
    .uniform_work_group_size: 1
    .uses_dynamic_stack: false
    .vgpr_count:     101
    .vgpr_spill_count: 0
    .wavefront_size: 64
  - .agpr_count:     0
    .args:
      - .actual_access:  read_only
        .address_space:  global
        .offset:         0
        .size:           8
        .value_kind:     global_buffer
      - .actual_access:  read_only
        .address_space:  global
        .offset:         8
        .size:           8
        .value_kind:     global_buffer
      - .actual_access:  read_only
        .address_space:  global
        .offset:         16
        .size:           8
        .value_kind:     global_buffer
      - .actual_access:  write_only
        .address_space:  global
        .offset:         24
        .size:           8
        .value_kind:     global_buffer
      - .offset:         32
        .size:           4
        .value_kind:     by_value
      - .offset:         36
        .size:           4
        .value_kind:     by_value
      - .offset:         40
        .size:           4
        .value_kind:     by_value
      - .offset:         44
        .size:           4
        .value_kind:     by_value
      - .offset:         48
        .size:           4
        .value_kind:     by_value
      - .offset:         52
        .size:           4
        .value_kind:     by_value
      - .offset:         56
        .size:           4
        .value_kind:     by_value
      - .offset:         60
        .size:           4
        .value_kind:     by_value
      - .offset:         64
        .size:           4
        .value_kind:     by_value
      - .offset:         68
        .size:           4
        .value_kind:     by_value
      - .offset:         72
        .size:           4
        .value_kind:     by_value
      - .offset:         76
        .size:           4
        .value_kind:     by_value
      - .offset:         80
        .size:           4
        .value_kind:     by_value
      - .offset:         84
        .size:           4
        .value_kind:     by_value
      - .offset:         88
        .size:           4
        .value_kind:     by_value
      - .offset:         92
        .size:           4
        .value_kind:     by_value
    .group_segment_fixed_size: 0
    .kernarg_segment_align: 8
    .kernarg_segment_size: 96
    .language:       OpenCL C
    .language_version:
      - 2
      - 0
    .max_flat_workgroup_size: 448
    .name:           _ZL9mul_mat_fIfLi64ELi4ELi7ELb0EEvPKT_PKfPKiPfiiiiiiiiiiiiiiii
    .private_segment_fixed_size: 0
    .sgpr_count:     86
    .sgpr_spill_count: 0
    .symbol:         _ZL9mul_mat_fIfLi64ELi4ELi7ELb0EEvPKT_PKfPKiPfiiiiiiiiiiiiiiii.kd
    .uniform_work_group_size: 1
    .uses_dynamic_stack: false
    .vgpr_count:     104
    .vgpr_spill_count: 0
    .wavefront_size: 64
  - .agpr_count:     0
    .args:
      - .actual_access:  read_only
        .address_space:  global
        .offset:         0
        .size:           8
        .value_kind:     global_buffer
      - .actual_access:  read_only
        .address_space:  global
        .offset:         8
        .size:           8
        .value_kind:     global_buffer
      - .actual_access:  read_only
        .address_space:  global
        .offset:         16
        .size:           8
        .value_kind:     global_buffer
      - .actual_access:  read_only
        .address_space:  global
        .offset:         24
        .size:           8
        .value_kind:     global_buffer
      - .actual_access:  read_only
        .address_space:  global
        .offset:         32
        .size:           8
        .value_kind:     global_buffer
      - .actual_access:  write_only
        .address_space:  global
        .offset:         40
        .size:           8
        .value_kind:     global_buffer
      - .offset:         48
        .size:           4
        .value_kind:     by_value
      - .offset:         52
        .size:           4
        .value_kind:     by_value
      - .offset:         56
        .size:           4
        .value_kind:     by_value
      - .offset:         60
        .size:           4
        .value_kind:     by_value
      - .offset:         64
        .size:           4
        .value_kind:     by_value
      - .offset:         68
        .size:           4
        .value_kind:     by_value
      - .offset:         72
        .size:           4
        .value_kind:     by_value
      - .offset:         76
        .size:           4
        .value_kind:     by_value
      - .offset:         80
        .size:           4
        .value_kind:     by_value
      - .offset:         84
        .size:           4
        .value_kind:     by_value
      - .offset:         88
        .size:           4
        .value_kind:     by_value
      - .offset:         92
        .size:           4
        .value_kind:     by_value
      - .offset:         96
        .size:           4
        .value_kind:     by_value
      - .offset:         100
        .size:           4
        .value_kind:     by_value
      - .offset:         104
        .size:           12
        .value_kind:     by_value
      - .offset:         116
        .size:           12
        .value_kind:     by_value
    .group_segment_fixed_size: 0
    .kernarg_segment_align: 8
    .kernarg_segment_size: 128
    .language:       OpenCL C
    .language_version:
      - 2
      - 0
    .max_flat_workgroup_size: 512
    .name:           _ZL13mul_mat_f_idsIfLi64ELi4ELi8EEvPKT_PKfPKiS6_S6_Pfiiiiiiiiiiiiii15HIP_vector_typeIjLj3EES9_
    .private_segment_fixed_size: 0
    .sgpr_count:     100
    .sgpr_spill_count: 9
    .symbol:         _ZL13mul_mat_f_idsIfLi64ELi4ELi8EEvPKT_PKfPKiS6_S6_Pfiiiiiiiiiiiiii15HIP_vector_typeIjLj3EES9_.kd
    .uniform_work_group_size: 1
    .uses_dynamic_stack: false
    .vgpr_count:     101
    .vgpr_spill_count: 0
    .wavefront_size: 64
  - .agpr_count:     0
    .args:
      - .actual_access:  read_only
        .address_space:  global
        .offset:         0
        .size:           8
        .value_kind:     global_buffer
      - .actual_access:  read_only
        .address_space:  global
        .offset:         8
        .size:           8
        .value_kind:     global_buffer
      - .actual_access:  read_only
        .address_space:  global
        .offset:         16
        .size:           8
        .value_kind:     global_buffer
      - .actual_access:  write_only
        .address_space:  global
        .offset:         24
        .size:           8
        .value_kind:     global_buffer
      - .offset:         32
        .size:           4
        .value_kind:     by_value
      - .offset:         36
        .size:           4
        .value_kind:     by_value
      - .offset:         40
        .size:           4
        .value_kind:     by_value
      - .offset:         44
        .size:           4
        .value_kind:     by_value
      - .offset:         48
        .size:           4
        .value_kind:     by_value
      - .offset:         52
        .size:           4
        .value_kind:     by_value
      - .offset:         56
        .size:           4
        .value_kind:     by_value
      - .offset:         60
        .size:           4
        .value_kind:     by_value
      - .offset:         64
        .size:           4
        .value_kind:     by_value
      - .offset:         68
        .size:           4
        .value_kind:     by_value
      - .offset:         72
        .size:           4
        .value_kind:     by_value
      - .offset:         76
        .size:           4
        .value_kind:     by_value
      - .offset:         80
        .size:           4
        .value_kind:     by_value
      - .offset:         84
        .size:           4
        .value_kind:     by_value
      - .offset:         88
        .size:           4
        .value_kind:     by_value
      - .offset:         92
        .size:           4
        .value_kind:     by_value
      - .offset:         96
        .size:           4
        .value_kind:     hidden_block_count_x
      - .offset:         100
        .size:           4
        .value_kind:     hidden_block_count_y
      - .offset:         104
        .size:           4
        .value_kind:     hidden_block_count_z
      - .offset:         108
        .size:           2
        .value_kind:     hidden_group_size_x
      - .offset:         110
        .size:           2
        .value_kind:     hidden_group_size_y
      - .offset:         112
        .size:           2
        .value_kind:     hidden_group_size_z
      - .offset:         114
        .size:           2
        .value_kind:     hidden_remainder_x
      - .offset:         116
        .size:           2
        .value_kind:     hidden_remainder_y
      - .offset:         118
        .size:           2
        .value_kind:     hidden_remainder_z
      - .offset:         136
        .size:           8
        .value_kind:     hidden_global_offset_x
      - .offset:         144
        .size:           8
        .value_kind:     hidden_global_offset_y
      - .offset:         152
        .size:           8
        .value_kind:     hidden_global_offset_z
      - .offset:         160
        .size:           2
        .value_kind:     hidden_grid_dims
      - .offset:         216
        .size:           4
        .value_kind:     hidden_dynamic_lds_size
    .group_segment_fixed_size: 256
    .kernarg_segment_align: 8
    .kernarg_segment_size: 352
    .language:       OpenCL C
    .language_version:
      - 2
      - 0
    .max_flat_workgroup_size: 512
    .name:           _ZL9mul_mat_fIfLi64ELi4ELi8ELb1EEvPKT_PKfPKiPfiiiiiiiiiiiiiiii
    .private_segment_fixed_size: 0
    .sgpr_count:     97
    .sgpr_spill_count: 0
    .symbol:         _ZL9mul_mat_fIfLi64ELi4ELi8ELb1EEvPKT_PKfPKiPfiiiiiiiiiiiiiiii.kd
    .uniform_work_group_size: 1
    .uses_dynamic_stack: false
    .vgpr_count:     103
    .vgpr_spill_count: 0
    .wavefront_size: 64
  - .agpr_count:     0
    .args:
      - .actual_access:  read_only
        .address_space:  global
        .offset:         0
        .size:           8
        .value_kind:     global_buffer
      - .actual_access:  read_only
        .address_space:  global
        .offset:         8
        .size:           8
        .value_kind:     global_buffer
      - .actual_access:  read_only
        .address_space:  global
        .offset:         16
        .size:           8
        .value_kind:     global_buffer
      - .actual_access:  write_only
        .address_space:  global
        .offset:         24
        .size:           8
        .value_kind:     global_buffer
      - .offset:         32
        .size:           4
        .value_kind:     by_value
      - .offset:         36
        .size:           4
        .value_kind:     by_value
      - .offset:         40
        .size:           4
        .value_kind:     by_value
      - .offset:         44
        .size:           4
        .value_kind:     by_value
      - .offset:         48
        .size:           4
        .value_kind:     by_value
      - .offset:         52
        .size:           4
        .value_kind:     by_value
      - .offset:         56
        .size:           4
        .value_kind:     by_value
      - .offset:         60
        .size:           4
        .value_kind:     by_value
      - .offset:         64
        .size:           4
        .value_kind:     by_value
      - .offset:         68
        .size:           4
        .value_kind:     by_value
      - .offset:         72
        .size:           4
        .value_kind:     by_value
      - .offset:         76
        .size:           4
        .value_kind:     by_value
      - .offset:         80
        .size:           4
        .value_kind:     by_value
      - .offset:         84
        .size:           4
        .value_kind:     by_value
      - .offset:         88
        .size:           4
        .value_kind:     by_value
      - .offset:         92
        .size:           4
        .value_kind:     by_value
    .group_segment_fixed_size: 0
    .kernarg_segment_align: 8
    .kernarg_segment_size: 96
    .language:       OpenCL C
    .language_version:
      - 2
      - 0
    .max_flat_workgroup_size: 512
    .name:           _ZL9mul_mat_fIfLi64ELi4ELi8ELb0EEvPKT_PKfPKiPfiiiiiiiiiiiiiiii
    .private_segment_fixed_size: 0
    .sgpr_count:     85
    .sgpr_spill_count: 0
    .symbol:         _ZL9mul_mat_fIfLi64ELi4ELi8ELb0EEvPKT_PKfPKiPfiiiiiiiiiiiiiiii.kd
    .uniform_work_group_size: 1
    .uses_dynamic_stack: false
    .vgpr_count:     104
    .vgpr_spill_count: 0
    .wavefront_size: 64
  - .agpr_count:     16
    .args:
      - .actual_access:  read_only
        .address_space:  global
        .offset:         0
        .size:           8
        .value_kind:     global_buffer
      - .actual_access:  read_only
        .address_space:  global
        .offset:         8
        .size:           8
        .value_kind:     global_buffer
      - .actual_access:  read_only
        .address_space:  global
        .offset:         16
        .size:           8
        .value_kind:     global_buffer
      - .actual_access:  read_only
        .address_space:  global
        .offset:         24
        .size:           8
        .value_kind:     global_buffer
      - .actual_access:  read_only
        .address_space:  global
        .offset:         32
        .size:           8
        .value_kind:     global_buffer
      - .actual_access:  write_only
        .address_space:  global
        .offset:         40
        .size:           8
        .value_kind:     global_buffer
      - .offset:         48
        .size:           4
        .value_kind:     by_value
      - .offset:         52
        .size:           4
        .value_kind:     by_value
      - .offset:         56
        .size:           4
        .value_kind:     by_value
      - .offset:         60
        .size:           4
        .value_kind:     by_value
      - .offset:         64
        .size:           4
        .value_kind:     by_value
      - .offset:         68
        .size:           4
        .value_kind:     by_value
      - .offset:         72
        .size:           4
        .value_kind:     by_value
      - .offset:         76
        .size:           4
        .value_kind:     by_value
      - .offset:         80
        .size:           4
        .value_kind:     by_value
      - .offset:         84
        .size:           4
        .value_kind:     by_value
      - .offset:         88
        .size:           4
        .value_kind:     by_value
      - .offset:         92
        .size:           4
        .value_kind:     by_value
      - .offset:         96
        .size:           4
        .value_kind:     by_value
      - .offset:         100
        .size:           4
        .value_kind:     by_value
      - .offset:         104
        .size:           12
        .value_kind:     by_value
      - .offset:         116
        .size:           12
        .value_kind:     by_value
    .group_segment_fixed_size: 0
    .kernarg_segment_align: 8
    .kernarg_segment_size: 128
    .language:       OpenCL C
    .language_version:
      - 2
      - 0
    .max_flat_workgroup_size: 64
    .name:           _ZL13mul_mat_f_idsI7__half2Li64ELi4ELi1EEvPKT_PKfPKiS7_S7_Pfiiiiiiiiiiiiii15HIP_vector_typeIjLj3EESA_
    .private_segment_fixed_size: 0
    .sgpr_count:     100
    .sgpr_spill_count: 9
    .symbol:         _ZL13mul_mat_f_idsI7__half2Li64ELi4ELi1EEvPKT_PKfPKiS7_S7_Pfiiiiiiiiiiiiii15HIP_vector_typeIjLj3EESA_.kd
    .uniform_work_group_size: 1
    .uses_dynamic_stack: false
    .vgpr_count:     120
    .vgpr_spill_count: 0
    .wavefront_size: 64
  - .agpr_count:     20
    .args:
      - .actual_access:  read_only
        .address_space:  global
        .offset:         0
        .size:           8
        .value_kind:     global_buffer
      - .actual_access:  read_only
        .address_space:  global
        .offset:         8
        .size:           8
        .value_kind:     global_buffer
      - .actual_access:  read_only
        .address_space:  global
        .offset:         16
        .size:           8
        .value_kind:     global_buffer
      - .actual_access:  write_only
        .address_space:  global
        .offset:         24
        .size:           8
        .value_kind:     global_buffer
      - .offset:         32
        .size:           4
        .value_kind:     by_value
      - .offset:         36
        .size:           4
        .value_kind:     by_value
      - .offset:         40
        .size:           4
        .value_kind:     by_value
      - .offset:         44
        .size:           4
        .value_kind:     by_value
      - .offset:         48
        .size:           4
        .value_kind:     by_value
      - .offset:         52
        .size:           4
        .value_kind:     by_value
      - .offset:         56
        .size:           4
        .value_kind:     by_value
      - .offset:         60
        .size:           4
        .value_kind:     by_value
      - .offset:         64
        .size:           4
        .value_kind:     by_value
      - .offset:         68
        .size:           4
        .value_kind:     by_value
      - .offset:         72
        .size:           4
        .value_kind:     by_value
      - .offset:         76
        .size:           4
        .value_kind:     by_value
      - .offset:         80
        .size:           4
        .value_kind:     by_value
      - .offset:         84
        .size:           4
        .value_kind:     by_value
      - .offset:         88
        .size:           4
        .value_kind:     by_value
      - .offset:         92
        .size:           4
        .value_kind:     by_value
      - .offset:         96
        .size:           4
        .value_kind:     hidden_block_count_x
      - .offset:         100
        .size:           4
        .value_kind:     hidden_block_count_y
      - .offset:         104
        .size:           4
        .value_kind:     hidden_block_count_z
      - .offset:         108
        .size:           2
        .value_kind:     hidden_group_size_x
      - .offset:         110
        .size:           2
        .value_kind:     hidden_group_size_y
      - .offset:         112
        .size:           2
        .value_kind:     hidden_group_size_z
      - .offset:         114
        .size:           2
        .value_kind:     hidden_remainder_x
      - .offset:         116
        .size:           2
        .value_kind:     hidden_remainder_y
      - .offset:         118
        .size:           2
        .value_kind:     hidden_remainder_z
      - .offset:         136
        .size:           8
        .value_kind:     hidden_global_offset_x
      - .offset:         144
        .size:           8
        .value_kind:     hidden_global_offset_y
      - .offset:         152
        .size:           8
        .value_kind:     hidden_global_offset_z
      - .offset:         160
        .size:           2
        .value_kind:     hidden_grid_dims
      - .offset:         216
        .size:           4
        .value_kind:     hidden_dynamic_lds_size
    .group_segment_fixed_size: 256
    .kernarg_segment_align: 8
    .kernarg_segment_size: 352
    .language:       OpenCL C
    .language_version:
      - 2
      - 0
    .max_flat_workgroup_size: 64
    .name:           _ZL9mul_mat_fI7__half2Li64ELi4ELi1ELb1EEvPKT_PKfPKiPfiiiiiiiiiiiiiiii
    .private_segment_fixed_size: 0
    .sgpr_count:     100
    .sgpr_spill_count: 7
    .symbol:         _ZL9mul_mat_fI7__half2Li64ELi4ELi1ELb1EEvPKT_PKfPKiPfiiiiiiiiiiiiiiii.kd
    .uniform_work_group_size: 1
    .uses_dynamic_stack: false
    .vgpr_count:     128
    .vgpr_spill_count: 0
    .wavefront_size: 64
  - .agpr_count:     24
    .args:
      - .actual_access:  read_only
        .address_space:  global
        .offset:         0
        .size:           8
        .value_kind:     global_buffer
      - .actual_access:  read_only
        .address_space:  global
        .offset:         8
        .size:           8
        .value_kind:     global_buffer
      - .actual_access:  read_only
        .address_space:  global
        .offset:         16
        .size:           8
        .value_kind:     global_buffer
      - .actual_access:  write_only
        .address_space:  global
        .offset:         24
        .size:           8
        .value_kind:     global_buffer
      - .offset:         32
        .size:           4
        .value_kind:     by_value
      - .offset:         36
        .size:           4
        .value_kind:     by_value
      - .offset:         40
        .size:           4
        .value_kind:     by_value
      - .offset:         44
        .size:           4
        .value_kind:     by_value
      - .offset:         48
        .size:           4
        .value_kind:     by_value
      - .offset:         52
        .size:           4
        .value_kind:     by_value
      - .offset:         56
        .size:           4
        .value_kind:     by_value
      - .offset:         60
        .size:           4
        .value_kind:     by_value
      - .offset:         64
        .size:           4
        .value_kind:     by_value
      - .offset:         68
        .size:           4
        .value_kind:     by_value
      - .offset:         72
        .size:           4
        .value_kind:     by_value
      - .offset:         76
        .size:           4
        .value_kind:     by_value
      - .offset:         80
        .size:           4
        .value_kind:     by_value
      - .offset:         84
        .size:           4
        .value_kind:     by_value
      - .offset:         88
        .size:           4
        .value_kind:     by_value
      - .offset:         92
        .size:           4
        .value_kind:     by_value
    .group_segment_fixed_size: 0
    .kernarg_segment_align: 8
    .kernarg_segment_size: 96
    .language:       OpenCL C
    .language_version:
      - 2
      - 0
    .max_flat_workgroup_size: 64
    .name:           _ZL9mul_mat_fI7__half2Li64ELi4ELi1ELb0EEvPKT_PKfPKiPfiiiiiiiiiiiiiiii
    .private_segment_fixed_size: 0
    .sgpr_count:     86
    .sgpr_spill_count: 0
    .symbol:         _ZL9mul_mat_fI7__half2Li64ELi4ELi1ELb0EEvPKT_PKfPKiPfiiiiiiiiiiiiiiii.kd
    .uniform_work_group_size: 1
    .uses_dynamic_stack: false
    .vgpr_count:     128
    .vgpr_spill_count: 0
    .wavefront_size: 64
  - .agpr_count:     16
    .args:
      - .actual_access:  read_only
        .address_space:  global
        .offset:         0
        .size:           8
        .value_kind:     global_buffer
      - .actual_access:  read_only
        .address_space:  global
        .offset:         8
        .size:           8
        .value_kind:     global_buffer
      - .actual_access:  read_only
        .address_space:  global
        .offset:         16
        .size:           8
        .value_kind:     global_buffer
      - .actual_access:  read_only
        .address_space:  global
        .offset:         24
        .size:           8
        .value_kind:     global_buffer
      - .actual_access:  read_only
        .address_space:  global
        .offset:         32
        .size:           8
        .value_kind:     global_buffer
      - .actual_access:  write_only
        .address_space:  global
        .offset:         40
        .size:           8
        .value_kind:     global_buffer
      - .offset:         48
        .size:           4
        .value_kind:     by_value
      - .offset:         52
        .size:           4
        .value_kind:     by_value
      - .offset:         56
        .size:           4
        .value_kind:     by_value
      - .offset:         60
        .size:           4
        .value_kind:     by_value
      - .offset:         64
        .size:           4
        .value_kind:     by_value
      - .offset:         68
        .size:           4
        .value_kind:     by_value
      - .offset:         72
        .size:           4
        .value_kind:     by_value
      - .offset:         76
        .size:           4
        .value_kind:     by_value
      - .offset:         80
        .size:           4
        .value_kind:     by_value
      - .offset:         84
        .size:           4
        .value_kind:     by_value
      - .offset:         88
        .size:           4
        .value_kind:     by_value
      - .offset:         92
        .size:           4
        .value_kind:     by_value
      - .offset:         96
        .size:           4
        .value_kind:     by_value
      - .offset:         100
        .size:           4
        .value_kind:     by_value
      - .offset:         104
        .size:           12
        .value_kind:     by_value
      - .offset:         116
        .size:           12
        .value_kind:     by_value
    .group_segment_fixed_size: 0
    .kernarg_segment_align: 8
    .kernarg_segment_size: 128
    .language:       OpenCL C
    .language_version:
      - 2
      - 0
    .max_flat_workgroup_size: 128
    .name:           _ZL13mul_mat_f_idsI7__half2Li64ELi4ELi2EEvPKT_PKfPKiS7_S7_Pfiiiiiiiiiiiiii15HIP_vector_typeIjLj3EESA_
    .private_segment_fixed_size: 0
    .sgpr_count:     100
    .sgpr_spill_count: 9
    .symbol:         _ZL13mul_mat_f_idsI7__half2Li64ELi4ELi2EEvPKT_PKfPKiS7_S7_Pfiiiiiiiiiiiiii15HIP_vector_typeIjLj3EESA_.kd
    .uniform_work_group_size: 1
    .uses_dynamic_stack: false
    .vgpr_count:     120
    .vgpr_spill_count: 0
    .wavefront_size: 64
  - .agpr_count:     20
    .args:
      - .actual_access:  read_only
        .address_space:  global
        .offset:         0
        .size:           8
        .value_kind:     global_buffer
      - .actual_access:  read_only
        .address_space:  global
        .offset:         8
        .size:           8
        .value_kind:     global_buffer
      - .actual_access:  read_only
        .address_space:  global
        .offset:         16
        .size:           8
        .value_kind:     global_buffer
      - .actual_access:  write_only
        .address_space:  global
        .offset:         24
        .size:           8
        .value_kind:     global_buffer
      - .offset:         32
        .size:           4
        .value_kind:     by_value
      - .offset:         36
        .size:           4
        .value_kind:     by_value
      - .offset:         40
        .size:           4
        .value_kind:     by_value
      - .offset:         44
        .size:           4
        .value_kind:     by_value
      - .offset:         48
        .size:           4
        .value_kind:     by_value
      - .offset:         52
        .size:           4
        .value_kind:     by_value
      - .offset:         56
        .size:           4
        .value_kind:     by_value
      - .offset:         60
        .size:           4
        .value_kind:     by_value
      - .offset:         64
        .size:           4
        .value_kind:     by_value
      - .offset:         68
        .size:           4
        .value_kind:     by_value
      - .offset:         72
        .size:           4
        .value_kind:     by_value
      - .offset:         76
        .size:           4
        .value_kind:     by_value
      - .offset:         80
        .size:           4
        .value_kind:     by_value
      - .offset:         84
        .size:           4
        .value_kind:     by_value
      - .offset:         88
        .size:           4
        .value_kind:     by_value
      - .offset:         92
        .size:           4
        .value_kind:     by_value
      - .offset:         96
        .size:           4
        .value_kind:     hidden_block_count_x
      - .offset:         100
        .size:           4
        .value_kind:     hidden_block_count_y
      - .offset:         104
        .size:           4
        .value_kind:     hidden_block_count_z
      - .offset:         108
        .size:           2
        .value_kind:     hidden_group_size_x
      - .offset:         110
        .size:           2
        .value_kind:     hidden_group_size_y
      - .offset:         112
        .size:           2
        .value_kind:     hidden_group_size_z
      - .offset:         114
        .size:           2
        .value_kind:     hidden_remainder_x
      - .offset:         116
        .size:           2
        .value_kind:     hidden_remainder_y
      - .offset:         118
        .size:           2
        .value_kind:     hidden_remainder_z
      - .offset:         136
        .size:           8
        .value_kind:     hidden_global_offset_x
      - .offset:         144
        .size:           8
        .value_kind:     hidden_global_offset_y
      - .offset:         152
        .size:           8
        .value_kind:     hidden_global_offset_z
      - .offset:         160
        .size:           2
        .value_kind:     hidden_grid_dims
      - .offset:         216
        .size:           4
        .value_kind:     hidden_dynamic_lds_size
    .group_segment_fixed_size: 256
    .kernarg_segment_align: 8
    .kernarg_segment_size: 352
    .language:       OpenCL C
    .language_version:
      - 2
      - 0
    .max_flat_workgroup_size: 128
    .name:           _ZL9mul_mat_fI7__half2Li64ELi4ELi2ELb1EEvPKT_PKfPKiPfiiiiiiiiiiiiiiii
    .private_segment_fixed_size: 0
    .sgpr_count:     100
    .sgpr_spill_count: 0
    .symbol:         _ZL9mul_mat_fI7__half2Li64ELi4ELi2ELb1EEvPKT_PKfPKiPfiiiiiiiiiiiiiiii.kd
    .uniform_work_group_size: 1
    .uses_dynamic_stack: false
    .vgpr_count:     124
    .vgpr_spill_count: 0
    .wavefront_size: 64
  - .agpr_count:     24
    .args:
      - .actual_access:  read_only
        .address_space:  global
        .offset:         0
        .size:           8
        .value_kind:     global_buffer
      - .actual_access:  read_only
        .address_space:  global
        .offset:         8
        .size:           8
        .value_kind:     global_buffer
      - .actual_access:  read_only
        .address_space:  global
        .offset:         16
        .size:           8
        .value_kind:     global_buffer
      - .actual_access:  write_only
        .address_space:  global
        .offset:         24
        .size:           8
        .value_kind:     global_buffer
      - .offset:         32
        .size:           4
        .value_kind:     by_value
      - .offset:         36
        .size:           4
        .value_kind:     by_value
      - .offset:         40
        .size:           4
        .value_kind:     by_value
      - .offset:         44
        .size:           4
        .value_kind:     by_value
      - .offset:         48
        .size:           4
        .value_kind:     by_value
      - .offset:         52
        .size:           4
        .value_kind:     by_value
      - .offset:         56
        .size:           4
        .value_kind:     by_value
      - .offset:         60
        .size:           4
        .value_kind:     by_value
      - .offset:         64
        .size:           4
        .value_kind:     by_value
      - .offset:         68
        .size:           4
        .value_kind:     by_value
      - .offset:         72
        .size:           4
        .value_kind:     by_value
      - .offset:         76
        .size:           4
        .value_kind:     by_value
      - .offset:         80
        .size:           4
        .value_kind:     by_value
      - .offset:         84
        .size:           4
        .value_kind:     by_value
      - .offset:         88
        .size:           4
        .value_kind:     by_value
      - .offset:         92
        .size:           4
        .value_kind:     by_value
    .group_segment_fixed_size: 0
    .kernarg_segment_align: 8
    .kernarg_segment_size: 96
    .language:       OpenCL C
    .language_version:
      - 2
      - 0
    .max_flat_workgroup_size: 128
    .name:           _ZL9mul_mat_fI7__half2Li64ELi4ELi2ELb0EEvPKT_PKfPKiPfiiiiiiiiiiiiiiii
    .private_segment_fixed_size: 0
    .sgpr_count:     86
    .sgpr_spill_count: 0
    .symbol:         _ZL9mul_mat_fI7__half2Li64ELi4ELi2ELb0EEvPKT_PKfPKiPfiiiiiiiiiiiiiiii.kd
    .uniform_work_group_size: 1
    .uses_dynamic_stack: false
    .vgpr_count:     128
    .vgpr_spill_count: 0
    .wavefront_size: 64
  - .agpr_count:     16
    .args:
      - .actual_access:  read_only
        .address_space:  global
        .offset:         0
        .size:           8
        .value_kind:     global_buffer
      - .actual_access:  read_only
        .address_space:  global
        .offset:         8
        .size:           8
        .value_kind:     global_buffer
      - .actual_access:  read_only
        .address_space:  global
        .offset:         16
        .size:           8
        .value_kind:     global_buffer
      - .actual_access:  read_only
        .address_space:  global
        .offset:         24
        .size:           8
        .value_kind:     global_buffer
      - .actual_access:  read_only
        .address_space:  global
        .offset:         32
        .size:           8
        .value_kind:     global_buffer
      - .actual_access:  write_only
        .address_space:  global
        .offset:         40
        .size:           8
        .value_kind:     global_buffer
      - .offset:         48
        .size:           4
        .value_kind:     by_value
      - .offset:         52
        .size:           4
        .value_kind:     by_value
      - .offset:         56
        .size:           4
        .value_kind:     by_value
      - .offset:         60
        .size:           4
        .value_kind:     by_value
      - .offset:         64
        .size:           4
        .value_kind:     by_value
      - .offset:         68
        .size:           4
        .value_kind:     by_value
      - .offset:         72
        .size:           4
        .value_kind:     by_value
      - .offset:         76
        .size:           4
        .value_kind:     by_value
      - .offset:         80
        .size:           4
        .value_kind:     by_value
      - .offset:         84
        .size:           4
        .value_kind:     by_value
      - .offset:         88
        .size:           4
        .value_kind:     by_value
      - .offset:         92
        .size:           4
        .value_kind:     by_value
      - .offset:         96
        .size:           4
        .value_kind:     by_value
      - .offset:         100
        .size:           4
        .value_kind:     by_value
      - .offset:         104
        .size:           12
        .value_kind:     by_value
      - .offset:         116
        .size:           12
        .value_kind:     by_value
    .group_segment_fixed_size: 0
    .kernarg_segment_align: 8
    .kernarg_segment_size: 128
    .language:       OpenCL C
    .language_version:
      - 2
      - 0
    .max_flat_workgroup_size: 192
    .name:           _ZL13mul_mat_f_idsI7__half2Li64ELi4ELi3EEvPKT_PKfPKiS7_S7_Pfiiiiiiiiiiiiii15HIP_vector_typeIjLj3EESA_
    .private_segment_fixed_size: 0
    .sgpr_count:     100
    .sgpr_spill_count: 9
    .symbol:         _ZL13mul_mat_f_idsI7__half2Li64ELi4ELi3EEvPKT_PKfPKiS7_S7_Pfiiiiiiiiiiiiii15HIP_vector_typeIjLj3EESA_.kd
    .uniform_work_group_size: 1
    .uses_dynamic_stack: false
    .vgpr_count:     120
    .vgpr_spill_count: 0
    .wavefront_size: 64
  - .agpr_count:     20
    .args:
      - .actual_access:  read_only
        .address_space:  global
        .offset:         0
        .size:           8
        .value_kind:     global_buffer
      - .actual_access:  read_only
        .address_space:  global
        .offset:         8
        .size:           8
        .value_kind:     global_buffer
      - .actual_access:  read_only
        .address_space:  global
        .offset:         16
        .size:           8
        .value_kind:     global_buffer
      - .actual_access:  write_only
        .address_space:  global
        .offset:         24
        .size:           8
        .value_kind:     global_buffer
      - .offset:         32
        .size:           4
        .value_kind:     by_value
      - .offset:         36
        .size:           4
        .value_kind:     by_value
      - .offset:         40
        .size:           4
        .value_kind:     by_value
      - .offset:         44
        .size:           4
        .value_kind:     by_value
      - .offset:         48
        .size:           4
        .value_kind:     by_value
      - .offset:         52
        .size:           4
        .value_kind:     by_value
      - .offset:         56
        .size:           4
        .value_kind:     by_value
      - .offset:         60
        .size:           4
        .value_kind:     by_value
      - .offset:         64
        .size:           4
        .value_kind:     by_value
      - .offset:         68
        .size:           4
        .value_kind:     by_value
      - .offset:         72
        .size:           4
        .value_kind:     by_value
      - .offset:         76
        .size:           4
        .value_kind:     by_value
      - .offset:         80
        .size:           4
        .value_kind:     by_value
      - .offset:         84
        .size:           4
        .value_kind:     by_value
      - .offset:         88
        .size:           4
        .value_kind:     by_value
      - .offset:         92
        .size:           4
        .value_kind:     by_value
      - .offset:         96
        .size:           4
        .value_kind:     hidden_block_count_x
      - .offset:         100
        .size:           4
        .value_kind:     hidden_block_count_y
      - .offset:         104
        .size:           4
        .value_kind:     hidden_block_count_z
      - .offset:         108
        .size:           2
        .value_kind:     hidden_group_size_x
      - .offset:         110
        .size:           2
        .value_kind:     hidden_group_size_y
      - .offset:         112
        .size:           2
        .value_kind:     hidden_group_size_z
      - .offset:         114
        .size:           2
        .value_kind:     hidden_remainder_x
      - .offset:         116
        .size:           2
        .value_kind:     hidden_remainder_y
      - .offset:         118
        .size:           2
        .value_kind:     hidden_remainder_z
      - .offset:         136
        .size:           8
        .value_kind:     hidden_global_offset_x
      - .offset:         144
        .size:           8
        .value_kind:     hidden_global_offset_y
      - .offset:         152
        .size:           8
        .value_kind:     hidden_global_offset_z
      - .offset:         160
        .size:           2
        .value_kind:     hidden_grid_dims
      - .offset:         216
        .size:           4
        .value_kind:     hidden_dynamic_lds_size
    .group_segment_fixed_size: 256
    .kernarg_segment_align: 8
    .kernarg_segment_size: 352
    .language:       OpenCL C
    .language_version:
      - 2
      - 0
    .max_flat_workgroup_size: 192
    .name:           _ZL9mul_mat_fI7__half2Li64ELi4ELi3ELb1EEvPKT_PKfPKiPfiiiiiiiiiiiiiiii
    .private_segment_fixed_size: 0
    .sgpr_count:     100
    .sgpr_spill_count: 0
    .symbol:         _ZL9mul_mat_fI7__half2Li64ELi4ELi3ELb1EEvPKT_PKfPKiPfiiiiiiiiiiiiiiii.kd
    .uniform_work_group_size: 1
    .uses_dynamic_stack: false
    .vgpr_count:     124
    .vgpr_spill_count: 0
    .wavefront_size: 64
  - .agpr_count:     24
    .args:
      - .actual_access:  read_only
        .address_space:  global
        .offset:         0
        .size:           8
        .value_kind:     global_buffer
      - .actual_access:  read_only
        .address_space:  global
        .offset:         8
        .size:           8
        .value_kind:     global_buffer
      - .actual_access:  read_only
        .address_space:  global
        .offset:         16
        .size:           8
        .value_kind:     global_buffer
      - .actual_access:  write_only
        .address_space:  global
        .offset:         24
        .size:           8
        .value_kind:     global_buffer
      - .offset:         32
        .size:           4
        .value_kind:     by_value
      - .offset:         36
        .size:           4
        .value_kind:     by_value
      - .offset:         40
        .size:           4
        .value_kind:     by_value
      - .offset:         44
        .size:           4
        .value_kind:     by_value
      - .offset:         48
        .size:           4
        .value_kind:     by_value
      - .offset:         52
        .size:           4
        .value_kind:     by_value
      - .offset:         56
        .size:           4
        .value_kind:     by_value
      - .offset:         60
        .size:           4
        .value_kind:     by_value
      - .offset:         64
        .size:           4
        .value_kind:     by_value
      - .offset:         68
        .size:           4
        .value_kind:     by_value
      - .offset:         72
        .size:           4
        .value_kind:     by_value
      - .offset:         76
        .size:           4
        .value_kind:     by_value
      - .offset:         80
        .size:           4
        .value_kind:     by_value
      - .offset:         84
        .size:           4
        .value_kind:     by_value
      - .offset:         88
        .size:           4
        .value_kind:     by_value
      - .offset:         92
        .size:           4
        .value_kind:     by_value
    .group_segment_fixed_size: 0
    .kernarg_segment_align: 8
    .kernarg_segment_size: 96
    .language:       OpenCL C
    .language_version:
      - 2
      - 0
    .max_flat_workgroup_size: 192
    .name:           _ZL9mul_mat_fI7__half2Li64ELi4ELi3ELb0EEvPKT_PKfPKiPfiiiiiiiiiiiiiiii
    .private_segment_fixed_size: 0
    .sgpr_count:     86
    .sgpr_spill_count: 0
    .symbol:         _ZL9mul_mat_fI7__half2Li64ELi4ELi3ELb0EEvPKT_PKfPKiPfiiiiiiiiiiiiiiii.kd
    .uniform_work_group_size: 1
    .uses_dynamic_stack: false
    .vgpr_count:     124
    .vgpr_spill_count: 0
    .wavefront_size: 64
  - .agpr_count:     16
    .args:
      - .actual_access:  read_only
        .address_space:  global
        .offset:         0
        .size:           8
        .value_kind:     global_buffer
      - .actual_access:  read_only
        .address_space:  global
        .offset:         8
        .size:           8
        .value_kind:     global_buffer
      - .actual_access:  read_only
        .address_space:  global
        .offset:         16
        .size:           8
        .value_kind:     global_buffer
      - .actual_access:  read_only
        .address_space:  global
        .offset:         24
        .size:           8
        .value_kind:     global_buffer
      - .actual_access:  read_only
        .address_space:  global
        .offset:         32
        .size:           8
        .value_kind:     global_buffer
      - .actual_access:  write_only
        .address_space:  global
        .offset:         40
        .size:           8
        .value_kind:     global_buffer
      - .offset:         48
        .size:           4
        .value_kind:     by_value
      - .offset:         52
        .size:           4
        .value_kind:     by_value
      - .offset:         56
        .size:           4
        .value_kind:     by_value
      - .offset:         60
        .size:           4
        .value_kind:     by_value
      - .offset:         64
        .size:           4
        .value_kind:     by_value
      - .offset:         68
        .size:           4
        .value_kind:     by_value
      - .offset:         72
        .size:           4
        .value_kind:     by_value
      - .offset:         76
        .size:           4
        .value_kind:     by_value
      - .offset:         80
        .size:           4
        .value_kind:     by_value
      - .offset:         84
        .size:           4
        .value_kind:     by_value
      - .offset:         88
        .size:           4
        .value_kind:     by_value
      - .offset:         92
        .size:           4
        .value_kind:     by_value
      - .offset:         96
        .size:           4
        .value_kind:     by_value
      - .offset:         100
        .size:           4
        .value_kind:     by_value
      - .offset:         104
        .size:           12
        .value_kind:     by_value
      - .offset:         116
        .size:           12
        .value_kind:     by_value
    .group_segment_fixed_size: 0
    .kernarg_segment_align: 8
    .kernarg_segment_size: 128
    .language:       OpenCL C
    .language_version:
      - 2
      - 0
    .max_flat_workgroup_size: 256
    .name:           _ZL13mul_mat_f_idsI7__half2Li64ELi4ELi4EEvPKT_PKfPKiS7_S7_Pfiiiiiiiiiiiiii15HIP_vector_typeIjLj3EESA_
    .private_segment_fixed_size: 0
    .sgpr_count:     100
    .sgpr_spill_count: 9
    .symbol:         _ZL13mul_mat_f_idsI7__half2Li64ELi4ELi4EEvPKT_PKfPKiS7_S7_Pfiiiiiiiiiiiiii15HIP_vector_typeIjLj3EESA_.kd
    .uniform_work_group_size: 1
    .uses_dynamic_stack: false
    .vgpr_count:     120
    .vgpr_spill_count: 0
    .wavefront_size: 64
  - .agpr_count:     20
    .args:
      - .actual_access:  read_only
        .address_space:  global
        .offset:         0
        .size:           8
        .value_kind:     global_buffer
      - .actual_access:  read_only
        .address_space:  global
        .offset:         8
        .size:           8
        .value_kind:     global_buffer
      - .actual_access:  read_only
        .address_space:  global
        .offset:         16
        .size:           8
        .value_kind:     global_buffer
      - .actual_access:  write_only
        .address_space:  global
        .offset:         24
        .size:           8
        .value_kind:     global_buffer
      - .offset:         32
        .size:           4
        .value_kind:     by_value
      - .offset:         36
        .size:           4
        .value_kind:     by_value
      - .offset:         40
        .size:           4
        .value_kind:     by_value
      - .offset:         44
        .size:           4
        .value_kind:     by_value
      - .offset:         48
        .size:           4
        .value_kind:     by_value
      - .offset:         52
        .size:           4
        .value_kind:     by_value
      - .offset:         56
        .size:           4
        .value_kind:     by_value
      - .offset:         60
        .size:           4
        .value_kind:     by_value
      - .offset:         64
        .size:           4
        .value_kind:     by_value
      - .offset:         68
        .size:           4
        .value_kind:     by_value
      - .offset:         72
        .size:           4
        .value_kind:     by_value
      - .offset:         76
        .size:           4
        .value_kind:     by_value
      - .offset:         80
        .size:           4
        .value_kind:     by_value
      - .offset:         84
        .size:           4
        .value_kind:     by_value
      - .offset:         88
        .size:           4
        .value_kind:     by_value
      - .offset:         92
        .size:           4
        .value_kind:     by_value
      - .offset:         96
        .size:           4
        .value_kind:     hidden_block_count_x
      - .offset:         100
        .size:           4
        .value_kind:     hidden_block_count_y
      - .offset:         104
        .size:           4
        .value_kind:     hidden_block_count_z
      - .offset:         108
        .size:           2
        .value_kind:     hidden_group_size_x
      - .offset:         110
        .size:           2
        .value_kind:     hidden_group_size_y
      - .offset:         112
        .size:           2
        .value_kind:     hidden_group_size_z
      - .offset:         114
        .size:           2
        .value_kind:     hidden_remainder_x
      - .offset:         116
        .size:           2
        .value_kind:     hidden_remainder_y
      - .offset:         118
        .size:           2
        .value_kind:     hidden_remainder_z
      - .offset:         136
        .size:           8
        .value_kind:     hidden_global_offset_x
      - .offset:         144
        .size:           8
        .value_kind:     hidden_global_offset_y
      - .offset:         152
        .size:           8
        .value_kind:     hidden_global_offset_z
      - .offset:         160
        .size:           2
        .value_kind:     hidden_grid_dims
      - .offset:         216
        .size:           4
        .value_kind:     hidden_dynamic_lds_size
    .group_segment_fixed_size: 256
    .kernarg_segment_align: 8
    .kernarg_segment_size: 352
    .language:       OpenCL C
    .language_version:
      - 2
      - 0
    .max_flat_workgroup_size: 256
    .name:           _ZL9mul_mat_fI7__half2Li64ELi4ELi4ELb1EEvPKT_PKfPKiPfiiiiiiiiiiiiiiii
    .private_segment_fixed_size: 0
    .sgpr_count:     97
    .sgpr_spill_count: 0
    .symbol:         _ZL9mul_mat_fI7__half2Li64ELi4ELi4ELb1EEvPKT_PKfPKiPfiiiiiiiiiiiiiiii.kd
    .uniform_work_group_size: 1
    .uses_dynamic_stack: false
    .vgpr_count:     128
    .vgpr_spill_count: 0
    .wavefront_size: 64
  - .agpr_count:     24
    .args:
      - .actual_access:  read_only
        .address_space:  global
        .offset:         0
        .size:           8
        .value_kind:     global_buffer
      - .actual_access:  read_only
        .address_space:  global
        .offset:         8
        .size:           8
        .value_kind:     global_buffer
      - .actual_access:  read_only
        .address_space:  global
        .offset:         16
        .size:           8
        .value_kind:     global_buffer
      - .actual_access:  write_only
        .address_space:  global
        .offset:         24
        .size:           8
        .value_kind:     global_buffer
      - .offset:         32
        .size:           4
        .value_kind:     by_value
      - .offset:         36
        .size:           4
        .value_kind:     by_value
      - .offset:         40
        .size:           4
        .value_kind:     by_value
      - .offset:         44
        .size:           4
        .value_kind:     by_value
      - .offset:         48
        .size:           4
        .value_kind:     by_value
      - .offset:         52
        .size:           4
        .value_kind:     by_value
      - .offset:         56
        .size:           4
        .value_kind:     by_value
      - .offset:         60
        .size:           4
        .value_kind:     by_value
      - .offset:         64
        .size:           4
        .value_kind:     by_value
      - .offset:         68
        .size:           4
        .value_kind:     by_value
      - .offset:         72
        .size:           4
        .value_kind:     by_value
      - .offset:         76
        .size:           4
        .value_kind:     by_value
      - .offset:         80
        .size:           4
        .value_kind:     by_value
      - .offset:         84
        .size:           4
        .value_kind:     by_value
      - .offset:         88
        .size:           4
        .value_kind:     by_value
      - .offset:         92
        .size:           4
        .value_kind:     by_value
    .group_segment_fixed_size: 0
    .kernarg_segment_align: 8
    .kernarg_segment_size: 96
    .language:       OpenCL C
    .language_version:
      - 2
      - 0
    .max_flat_workgroup_size: 256
    .name:           _ZL9mul_mat_fI7__half2Li64ELi4ELi4ELb0EEvPKT_PKfPKiPfiiiiiiiiiiiiiiii
    .private_segment_fixed_size: 0
    .sgpr_count:     86
    .sgpr_spill_count: 0
    .symbol:         _ZL9mul_mat_fI7__half2Li64ELi4ELi4ELb0EEvPKT_PKfPKiPfiiiiiiiiiiiiiiii.kd
    .uniform_work_group_size: 1
    .uses_dynamic_stack: false
    .vgpr_count:     128
    .vgpr_spill_count: 0
    .wavefront_size: 64
  - .agpr_count:     0
    .args:
      - .actual_access:  read_only
        .address_space:  global
        .offset:         0
        .size:           8
        .value_kind:     global_buffer
      - .actual_access:  read_only
        .address_space:  global
        .offset:         8
        .size:           8
        .value_kind:     global_buffer
      - .actual_access:  read_only
        .address_space:  global
        .offset:         16
        .size:           8
        .value_kind:     global_buffer
      - .actual_access:  read_only
        .address_space:  global
        .offset:         24
        .size:           8
        .value_kind:     global_buffer
      - .actual_access:  read_only
        .address_space:  global
        .offset:         32
        .size:           8
        .value_kind:     global_buffer
      - .actual_access:  write_only
        .address_space:  global
        .offset:         40
        .size:           8
        .value_kind:     global_buffer
      - .offset:         48
        .size:           4
        .value_kind:     by_value
      - .offset:         52
        .size:           4
        .value_kind:     by_value
      - .offset:         56
        .size:           4
        .value_kind:     by_value
      - .offset:         60
        .size:           4
        .value_kind:     by_value
      - .offset:         64
        .size:           4
        .value_kind:     by_value
      - .offset:         68
        .size:           4
        .value_kind:     by_value
      - .offset:         72
        .size:           4
        .value_kind:     by_value
      - .offset:         76
        .size:           4
        .value_kind:     by_value
      - .offset:         80
        .size:           4
        .value_kind:     by_value
      - .offset:         84
        .size:           4
        .value_kind:     by_value
      - .offset:         88
        .size:           4
        .value_kind:     by_value
      - .offset:         92
        .size:           4
        .value_kind:     by_value
      - .offset:         96
        .size:           4
        .value_kind:     by_value
      - .offset:         100
        .size:           4
        .value_kind:     by_value
      - .offset:         104
        .size:           12
        .value_kind:     by_value
      - .offset:         116
        .size:           12
        .value_kind:     by_value
    .group_segment_fixed_size: 0
    .kernarg_segment_align: 8
    .kernarg_segment_size: 128
    .language:       OpenCL C
    .language_version:
      - 2
      - 0
    .max_flat_workgroup_size: 320
    .name:           _ZL13mul_mat_f_idsI7__half2Li64ELi4ELi5EEvPKT_PKfPKiS7_S7_Pfiiiiiiiiiiiiii15HIP_vector_typeIjLj3EESA_
    .private_segment_fixed_size: 0
    .sgpr_count:     100
    .sgpr_spill_count: 9
    .symbol:         _ZL13mul_mat_f_idsI7__half2Li64ELi4ELi5EEvPKT_PKfPKiS7_S7_Pfiiiiiiiiiiiiii15HIP_vector_typeIjLj3EESA_.kd
    .uniform_work_group_size: 1
    .uses_dynamic_stack: false
    .vgpr_count:     102
    .vgpr_spill_count: 0
    .wavefront_size: 64
  - .agpr_count:     0
    .args:
      - .actual_access:  read_only
        .address_space:  global
        .offset:         0
        .size:           8
        .value_kind:     global_buffer
      - .actual_access:  read_only
        .address_space:  global
        .offset:         8
        .size:           8
        .value_kind:     global_buffer
      - .actual_access:  read_only
        .address_space:  global
        .offset:         16
        .size:           8
        .value_kind:     global_buffer
      - .actual_access:  write_only
        .address_space:  global
        .offset:         24
        .size:           8
        .value_kind:     global_buffer
      - .offset:         32
        .size:           4
        .value_kind:     by_value
      - .offset:         36
        .size:           4
        .value_kind:     by_value
      - .offset:         40
        .size:           4
        .value_kind:     by_value
      - .offset:         44
        .size:           4
        .value_kind:     by_value
      - .offset:         48
        .size:           4
        .value_kind:     by_value
      - .offset:         52
        .size:           4
        .value_kind:     by_value
      - .offset:         56
        .size:           4
        .value_kind:     by_value
      - .offset:         60
        .size:           4
        .value_kind:     by_value
      - .offset:         64
        .size:           4
        .value_kind:     by_value
      - .offset:         68
        .size:           4
        .value_kind:     by_value
      - .offset:         72
        .size:           4
        .value_kind:     by_value
      - .offset:         76
        .size:           4
        .value_kind:     by_value
      - .offset:         80
        .size:           4
        .value_kind:     by_value
      - .offset:         84
        .size:           4
        .value_kind:     by_value
      - .offset:         88
        .size:           4
        .value_kind:     by_value
      - .offset:         92
        .size:           4
        .value_kind:     by_value
      - .offset:         96
        .size:           4
        .value_kind:     hidden_block_count_x
      - .offset:         100
        .size:           4
        .value_kind:     hidden_block_count_y
      - .offset:         104
        .size:           4
        .value_kind:     hidden_block_count_z
      - .offset:         108
        .size:           2
        .value_kind:     hidden_group_size_x
      - .offset:         110
        .size:           2
        .value_kind:     hidden_group_size_y
      - .offset:         112
        .size:           2
        .value_kind:     hidden_group_size_z
      - .offset:         114
        .size:           2
        .value_kind:     hidden_remainder_x
      - .offset:         116
        .size:           2
        .value_kind:     hidden_remainder_y
      - .offset:         118
        .size:           2
        .value_kind:     hidden_remainder_z
      - .offset:         136
        .size:           8
        .value_kind:     hidden_global_offset_x
      - .offset:         144
        .size:           8
        .value_kind:     hidden_global_offset_y
      - .offset:         152
        .size:           8
        .value_kind:     hidden_global_offset_z
      - .offset:         160
        .size:           2
        .value_kind:     hidden_grid_dims
      - .offset:         216
        .size:           4
        .value_kind:     hidden_dynamic_lds_size
    .group_segment_fixed_size: 256
    .kernarg_segment_align: 8
    .kernarg_segment_size: 352
    .language:       OpenCL C
    .language_version:
      - 2
      - 0
    .max_flat_workgroup_size: 320
    .name:           _ZL9mul_mat_fI7__half2Li64ELi4ELi5ELb1EEvPKT_PKfPKiPfiiiiiiiiiiiiiiii
    .private_segment_fixed_size: 0
    .sgpr_count:     97
    .sgpr_spill_count: 0
    .symbol:         _ZL9mul_mat_fI7__half2Li64ELi4ELi5ELb1EEvPKT_PKfPKiPfiiiiiiiiiiiiiiii.kd
    .uniform_work_group_size: 1
    .uses_dynamic_stack: false
    .vgpr_count:     102
    .vgpr_spill_count: 0
    .wavefront_size: 64
  - .agpr_count:     0
    .args:
      - .actual_access:  read_only
        .address_space:  global
        .offset:         0
        .size:           8
        .value_kind:     global_buffer
      - .actual_access:  read_only
        .address_space:  global
        .offset:         8
        .size:           8
        .value_kind:     global_buffer
      - .actual_access:  read_only
        .address_space:  global
        .offset:         16
        .size:           8
        .value_kind:     global_buffer
      - .actual_access:  write_only
        .address_space:  global
        .offset:         24
        .size:           8
        .value_kind:     global_buffer
      - .offset:         32
        .size:           4
        .value_kind:     by_value
      - .offset:         36
        .size:           4
        .value_kind:     by_value
      - .offset:         40
        .size:           4
        .value_kind:     by_value
      - .offset:         44
        .size:           4
        .value_kind:     by_value
      - .offset:         48
        .size:           4
        .value_kind:     by_value
      - .offset:         52
        .size:           4
        .value_kind:     by_value
      - .offset:         56
        .size:           4
        .value_kind:     by_value
      - .offset:         60
        .size:           4
        .value_kind:     by_value
      - .offset:         64
        .size:           4
        .value_kind:     by_value
      - .offset:         68
        .size:           4
        .value_kind:     by_value
      - .offset:         72
        .size:           4
        .value_kind:     by_value
      - .offset:         76
        .size:           4
        .value_kind:     by_value
      - .offset:         80
        .size:           4
        .value_kind:     by_value
      - .offset:         84
        .size:           4
        .value_kind:     by_value
      - .offset:         88
        .size:           4
        .value_kind:     by_value
      - .offset:         92
        .size:           4
        .value_kind:     by_value
    .group_segment_fixed_size: 0
    .kernarg_segment_align: 8
    .kernarg_segment_size: 96
    .language:       OpenCL C
    .language_version:
      - 2
      - 0
    .max_flat_workgroup_size: 320
    .name:           _ZL9mul_mat_fI7__half2Li64ELi4ELi5ELb0EEvPKT_PKfPKiPfiiiiiiiiiiiiiiii
    .private_segment_fixed_size: 0
    .sgpr_count:     86
    .sgpr_spill_count: 0
    .symbol:         _ZL9mul_mat_fI7__half2Li64ELi4ELi5ELb0EEvPKT_PKfPKiPfiiiiiiiiiiiiiiii.kd
    .uniform_work_group_size: 1
    .uses_dynamic_stack: false
    .vgpr_count:     102
    .vgpr_spill_count: 0
    .wavefront_size: 64
  - .agpr_count:     0
    .args:
      - .actual_access:  read_only
        .address_space:  global
        .offset:         0
        .size:           8
        .value_kind:     global_buffer
      - .actual_access:  read_only
        .address_space:  global
        .offset:         8
        .size:           8
        .value_kind:     global_buffer
      - .actual_access:  read_only
        .address_space:  global
        .offset:         16
        .size:           8
        .value_kind:     global_buffer
      - .actual_access:  read_only
        .address_space:  global
        .offset:         24
        .size:           8
        .value_kind:     global_buffer
      - .actual_access:  read_only
        .address_space:  global
        .offset:         32
        .size:           8
        .value_kind:     global_buffer
      - .actual_access:  write_only
        .address_space:  global
        .offset:         40
        .size:           8
        .value_kind:     global_buffer
      - .offset:         48
        .size:           4
        .value_kind:     by_value
      - .offset:         52
        .size:           4
        .value_kind:     by_value
      - .offset:         56
        .size:           4
        .value_kind:     by_value
      - .offset:         60
        .size:           4
        .value_kind:     by_value
      - .offset:         64
        .size:           4
        .value_kind:     by_value
      - .offset:         68
        .size:           4
        .value_kind:     by_value
      - .offset:         72
        .size:           4
        .value_kind:     by_value
      - .offset:         76
        .size:           4
        .value_kind:     by_value
      - .offset:         80
        .size:           4
        .value_kind:     by_value
      - .offset:         84
        .size:           4
        .value_kind:     by_value
      - .offset:         88
        .size:           4
        .value_kind:     by_value
      - .offset:         92
        .size:           4
        .value_kind:     by_value
      - .offset:         96
        .size:           4
        .value_kind:     by_value
      - .offset:         100
        .size:           4
        .value_kind:     by_value
      - .offset:         104
        .size:           12
        .value_kind:     by_value
      - .offset:         116
        .size:           12
        .value_kind:     by_value
    .group_segment_fixed_size: 0
    .kernarg_segment_align: 8
    .kernarg_segment_size: 128
    .language:       OpenCL C
    .language_version:
      - 2
      - 0
    .max_flat_workgroup_size: 384
    .name:           _ZL13mul_mat_f_idsI7__half2Li64ELi4ELi6EEvPKT_PKfPKiS7_S7_Pfiiiiiiiiiiiiii15HIP_vector_typeIjLj3EESA_
    .private_segment_fixed_size: 0
    .sgpr_count:     100
    .sgpr_spill_count: 9
    .symbol:         _ZL13mul_mat_f_idsI7__half2Li64ELi4ELi6EEvPKT_PKfPKiS7_S7_Pfiiiiiiiiiiiiii15HIP_vector_typeIjLj3EESA_.kd
    .uniform_work_group_size: 1
    .uses_dynamic_stack: false
    .vgpr_count:     102
    .vgpr_spill_count: 0
    .wavefront_size: 64
  - .agpr_count:     0
    .args:
      - .actual_access:  read_only
        .address_space:  global
        .offset:         0
        .size:           8
        .value_kind:     global_buffer
      - .actual_access:  read_only
        .address_space:  global
        .offset:         8
        .size:           8
        .value_kind:     global_buffer
      - .actual_access:  read_only
        .address_space:  global
        .offset:         16
        .size:           8
        .value_kind:     global_buffer
      - .actual_access:  write_only
        .address_space:  global
        .offset:         24
        .size:           8
        .value_kind:     global_buffer
      - .offset:         32
        .size:           4
        .value_kind:     by_value
      - .offset:         36
        .size:           4
        .value_kind:     by_value
      - .offset:         40
        .size:           4
        .value_kind:     by_value
      - .offset:         44
        .size:           4
        .value_kind:     by_value
      - .offset:         48
        .size:           4
        .value_kind:     by_value
      - .offset:         52
        .size:           4
        .value_kind:     by_value
      - .offset:         56
        .size:           4
        .value_kind:     by_value
      - .offset:         60
        .size:           4
        .value_kind:     by_value
      - .offset:         64
        .size:           4
        .value_kind:     by_value
      - .offset:         68
        .size:           4
        .value_kind:     by_value
      - .offset:         72
        .size:           4
        .value_kind:     by_value
      - .offset:         76
        .size:           4
        .value_kind:     by_value
      - .offset:         80
        .size:           4
        .value_kind:     by_value
      - .offset:         84
        .size:           4
        .value_kind:     by_value
      - .offset:         88
        .size:           4
        .value_kind:     by_value
      - .offset:         92
        .size:           4
        .value_kind:     by_value
      - .offset:         96
        .size:           4
        .value_kind:     hidden_block_count_x
      - .offset:         100
        .size:           4
        .value_kind:     hidden_block_count_y
      - .offset:         104
        .size:           4
        .value_kind:     hidden_block_count_z
      - .offset:         108
        .size:           2
        .value_kind:     hidden_group_size_x
      - .offset:         110
        .size:           2
        .value_kind:     hidden_group_size_y
      - .offset:         112
        .size:           2
        .value_kind:     hidden_group_size_z
      - .offset:         114
        .size:           2
        .value_kind:     hidden_remainder_x
      - .offset:         116
        .size:           2
        .value_kind:     hidden_remainder_y
      - .offset:         118
        .size:           2
        .value_kind:     hidden_remainder_z
      - .offset:         136
        .size:           8
        .value_kind:     hidden_global_offset_x
      - .offset:         144
        .size:           8
        .value_kind:     hidden_global_offset_y
      - .offset:         152
        .size:           8
        .value_kind:     hidden_global_offset_z
      - .offset:         160
        .size:           2
        .value_kind:     hidden_grid_dims
      - .offset:         216
        .size:           4
        .value_kind:     hidden_dynamic_lds_size
    .group_segment_fixed_size: 256
    .kernarg_segment_align: 8
    .kernarg_segment_size: 352
    .language:       OpenCL C
    .language_version:
      - 2
      - 0
    .max_flat_workgroup_size: 384
    .name:           _ZL9mul_mat_fI7__half2Li64ELi4ELi6ELb1EEvPKT_PKfPKiPfiiiiiiiiiiiiiiii
    .private_segment_fixed_size: 0
    .sgpr_count:     97
    .sgpr_spill_count: 0
    .symbol:         _ZL9mul_mat_fI7__half2Li64ELi4ELi6ELb1EEvPKT_PKfPKiPfiiiiiiiiiiiiiiii.kd
    .uniform_work_group_size: 1
    .uses_dynamic_stack: false
    .vgpr_count:     102
    .vgpr_spill_count: 0
    .wavefront_size: 64
  - .agpr_count:     0
    .args:
      - .actual_access:  read_only
        .address_space:  global
        .offset:         0
        .size:           8
        .value_kind:     global_buffer
      - .actual_access:  read_only
        .address_space:  global
        .offset:         8
        .size:           8
        .value_kind:     global_buffer
      - .actual_access:  read_only
        .address_space:  global
        .offset:         16
        .size:           8
        .value_kind:     global_buffer
      - .actual_access:  write_only
        .address_space:  global
        .offset:         24
        .size:           8
        .value_kind:     global_buffer
      - .offset:         32
        .size:           4
        .value_kind:     by_value
      - .offset:         36
        .size:           4
        .value_kind:     by_value
      - .offset:         40
        .size:           4
        .value_kind:     by_value
      - .offset:         44
        .size:           4
        .value_kind:     by_value
      - .offset:         48
        .size:           4
        .value_kind:     by_value
      - .offset:         52
        .size:           4
        .value_kind:     by_value
      - .offset:         56
        .size:           4
        .value_kind:     by_value
      - .offset:         60
        .size:           4
        .value_kind:     by_value
      - .offset:         64
        .size:           4
        .value_kind:     by_value
      - .offset:         68
        .size:           4
        .value_kind:     by_value
      - .offset:         72
        .size:           4
        .value_kind:     by_value
      - .offset:         76
        .size:           4
        .value_kind:     by_value
      - .offset:         80
        .size:           4
        .value_kind:     by_value
      - .offset:         84
        .size:           4
        .value_kind:     by_value
      - .offset:         88
        .size:           4
        .value_kind:     by_value
      - .offset:         92
        .size:           4
        .value_kind:     by_value
    .group_segment_fixed_size: 0
    .kernarg_segment_align: 8
    .kernarg_segment_size: 96
    .language:       OpenCL C
    .language_version:
      - 2
      - 0
    .max_flat_workgroup_size: 384
    .name:           _ZL9mul_mat_fI7__half2Li64ELi4ELi6ELb0EEvPKT_PKfPKiPfiiiiiiiiiiiiiiii
    .private_segment_fixed_size: 0
    .sgpr_count:     86
    .sgpr_spill_count: 0
    .symbol:         _ZL9mul_mat_fI7__half2Li64ELi4ELi6ELb0EEvPKT_PKfPKiPfiiiiiiiiiiiiiiii.kd
    .uniform_work_group_size: 1
    .uses_dynamic_stack: false
    .vgpr_count:     102
    .vgpr_spill_count: 0
    .wavefront_size: 64
  - .agpr_count:     0
    .args:
      - .actual_access:  read_only
        .address_space:  global
        .offset:         0
        .size:           8
        .value_kind:     global_buffer
      - .actual_access:  read_only
        .address_space:  global
        .offset:         8
        .size:           8
        .value_kind:     global_buffer
      - .actual_access:  read_only
        .address_space:  global
        .offset:         16
        .size:           8
        .value_kind:     global_buffer
      - .actual_access:  read_only
        .address_space:  global
        .offset:         24
        .size:           8
        .value_kind:     global_buffer
      - .actual_access:  read_only
        .address_space:  global
        .offset:         32
        .size:           8
        .value_kind:     global_buffer
      - .actual_access:  write_only
        .address_space:  global
        .offset:         40
        .size:           8
        .value_kind:     global_buffer
      - .offset:         48
        .size:           4
        .value_kind:     by_value
      - .offset:         52
        .size:           4
        .value_kind:     by_value
      - .offset:         56
        .size:           4
        .value_kind:     by_value
      - .offset:         60
        .size:           4
        .value_kind:     by_value
      - .offset:         64
        .size:           4
        .value_kind:     by_value
      - .offset:         68
        .size:           4
        .value_kind:     by_value
      - .offset:         72
        .size:           4
        .value_kind:     by_value
      - .offset:         76
        .size:           4
        .value_kind:     by_value
      - .offset:         80
        .size:           4
        .value_kind:     by_value
      - .offset:         84
        .size:           4
        .value_kind:     by_value
      - .offset:         88
        .size:           4
        .value_kind:     by_value
      - .offset:         92
        .size:           4
        .value_kind:     by_value
      - .offset:         96
        .size:           4
        .value_kind:     by_value
      - .offset:         100
        .size:           4
        .value_kind:     by_value
      - .offset:         104
        .size:           12
        .value_kind:     by_value
      - .offset:         116
        .size:           12
        .value_kind:     by_value
    .group_segment_fixed_size: 0
    .kernarg_segment_align: 8
    .kernarg_segment_size: 128
    .language:       OpenCL C
    .language_version:
      - 2
      - 0
    .max_flat_workgroup_size: 448
    .name:           _ZL13mul_mat_f_idsI7__half2Li64ELi4ELi7EEvPKT_PKfPKiS7_S7_Pfiiiiiiiiiiiiii15HIP_vector_typeIjLj3EESA_
    .private_segment_fixed_size: 0
    .sgpr_count:     100
    .sgpr_spill_count: 9
    .symbol:         _ZL13mul_mat_f_idsI7__half2Li64ELi4ELi7EEvPKT_PKfPKiS7_S7_Pfiiiiiiiiiiiiii15HIP_vector_typeIjLj3EESA_.kd
    .uniform_work_group_size: 1
    .uses_dynamic_stack: false
    .vgpr_count:     102
    .vgpr_spill_count: 0
    .wavefront_size: 64
  - .agpr_count:     0
    .args:
      - .actual_access:  read_only
        .address_space:  global
        .offset:         0
        .size:           8
        .value_kind:     global_buffer
      - .actual_access:  read_only
        .address_space:  global
        .offset:         8
        .size:           8
        .value_kind:     global_buffer
      - .actual_access:  read_only
        .address_space:  global
        .offset:         16
        .size:           8
        .value_kind:     global_buffer
      - .actual_access:  write_only
        .address_space:  global
        .offset:         24
        .size:           8
        .value_kind:     global_buffer
      - .offset:         32
        .size:           4
        .value_kind:     by_value
      - .offset:         36
        .size:           4
        .value_kind:     by_value
      - .offset:         40
        .size:           4
        .value_kind:     by_value
      - .offset:         44
        .size:           4
        .value_kind:     by_value
      - .offset:         48
        .size:           4
        .value_kind:     by_value
      - .offset:         52
        .size:           4
        .value_kind:     by_value
      - .offset:         56
        .size:           4
        .value_kind:     by_value
      - .offset:         60
        .size:           4
        .value_kind:     by_value
      - .offset:         64
        .size:           4
        .value_kind:     by_value
      - .offset:         68
        .size:           4
        .value_kind:     by_value
      - .offset:         72
        .size:           4
        .value_kind:     by_value
      - .offset:         76
        .size:           4
        .value_kind:     by_value
      - .offset:         80
        .size:           4
        .value_kind:     by_value
      - .offset:         84
        .size:           4
        .value_kind:     by_value
      - .offset:         88
        .size:           4
        .value_kind:     by_value
      - .offset:         92
        .size:           4
        .value_kind:     by_value
      - .offset:         96
        .size:           4
        .value_kind:     hidden_block_count_x
      - .offset:         100
        .size:           4
        .value_kind:     hidden_block_count_y
      - .offset:         104
        .size:           4
        .value_kind:     hidden_block_count_z
      - .offset:         108
        .size:           2
        .value_kind:     hidden_group_size_x
      - .offset:         110
        .size:           2
        .value_kind:     hidden_group_size_y
      - .offset:         112
        .size:           2
        .value_kind:     hidden_group_size_z
      - .offset:         114
        .size:           2
        .value_kind:     hidden_remainder_x
      - .offset:         116
        .size:           2
        .value_kind:     hidden_remainder_y
      - .offset:         118
        .size:           2
        .value_kind:     hidden_remainder_z
      - .offset:         136
        .size:           8
        .value_kind:     hidden_global_offset_x
      - .offset:         144
        .size:           8
        .value_kind:     hidden_global_offset_y
      - .offset:         152
        .size:           8
        .value_kind:     hidden_global_offset_z
      - .offset:         160
        .size:           2
        .value_kind:     hidden_grid_dims
      - .offset:         216
        .size:           4
        .value_kind:     hidden_dynamic_lds_size
    .group_segment_fixed_size: 256
    .kernarg_segment_align: 8
    .kernarg_segment_size: 352
    .language:       OpenCL C
    .language_version:
      - 2
      - 0
    .max_flat_workgroup_size: 448
    .name:           _ZL9mul_mat_fI7__half2Li64ELi4ELi7ELb1EEvPKT_PKfPKiPfiiiiiiiiiiiiiiii
    .private_segment_fixed_size: 0
    .sgpr_count:     97
    .sgpr_spill_count: 0
    .symbol:         _ZL9mul_mat_fI7__half2Li64ELi4ELi7ELb1EEvPKT_PKfPKiPfiiiiiiiiiiiiiiii.kd
    .uniform_work_group_size: 1
    .uses_dynamic_stack: false
    .vgpr_count:     102
    .vgpr_spill_count: 0
    .wavefront_size: 64
  - .agpr_count:     0
    .args:
      - .actual_access:  read_only
        .address_space:  global
        .offset:         0
        .size:           8
        .value_kind:     global_buffer
      - .actual_access:  read_only
        .address_space:  global
        .offset:         8
        .size:           8
        .value_kind:     global_buffer
      - .actual_access:  read_only
        .address_space:  global
        .offset:         16
        .size:           8
        .value_kind:     global_buffer
      - .actual_access:  write_only
        .address_space:  global
        .offset:         24
        .size:           8
        .value_kind:     global_buffer
      - .offset:         32
        .size:           4
        .value_kind:     by_value
      - .offset:         36
        .size:           4
        .value_kind:     by_value
      - .offset:         40
        .size:           4
        .value_kind:     by_value
      - .offset:         44
        .size:           4
        .value_kind:     by_value
      - .offset:         48
        .size:           4
        .value_kind:     by_value
      - .offset:         52
        .size:           4
        .value_kind:     by_value
      - .offset:         56
        .size:           4
        .value_kind:     by_value
      - .offset:         60
        .size:           4
        .value_kind:     by_value
      - .offset:         64
        .size:           4
        .value_kind:     by_value
      - .offset:         68
        .size:           4
        .value_kind:     by_value
      - .offset:         72
        .size:           4
        .value_kind:     by_value
      - .offset:         76
        .size:           4
        .value_kind:     by_value
      - .offset:         80
        .size:           4
        .value_kind:     by_value
      - .offset:         84
        .size:           4
        .value_kind:     by_value
      - .offset:         88
        .size:           4
        .value_kind:     by_value
      - .offset:         92
        .size:           4
        .value_kind:     by_value
    .group_segment_fixed_size: 0
    .kernarg_segment_align: 8
    .kernarg_segment_size: 96
    .language:       OpenCL C
    .language_version:
      - 2
      - 0
    .max_flat_workgroup_size: 448
    .name:           _ZL9mul_mat_fI7__half2Li64ELi4ELi7ELb0EEvPKT_PKfPKiPfiiiiiiiiiiiiiiii
    .private_segment_fixed_size: 0
    .sgpr_count:     90
    .sgpr_spill_count: 0
    .symbol:         _ZL9mul_mat_fI7__half2Li64ELi4ELi7ELb0EEvPKT_PKfPKiPfiiiiiiiiiiiiiiii.kd
    .uniform_work_group_size: 1
    .uses_dynamic_stack: false
    .vgpr_count:     102
    .vgpr_spill_count: 0
    .wavefront_size: 64
  - .agpr_count:     0
    .args:
      - .actual_access:  read_only
        .address_space:  global
        .offset:         0
        .size:           8
        .value_kind:     global_buffer
      - .actual_access:  read_only
        .address_space:  global
        .offset:         8
        .size:           8
        .value_kind:     global_buffer
      - .actual_access:  read_only
        .address_space:  global
        .offset:         16
        .size:           8
        .value_kind:     global_buffer
      - .actual_access:  read_only
        .address_space:  global
        .offset:         24
        .size:           8
        .value_kind:     global_buffer
      - .actual_access:  read_only
        .address_space:  global
        .offset:         32
        .size:           8
        .value_kind:     global_buffer
      - .actual_access:  write_only
        .address_space:  global
        .offset:         40
        .size:           8
        .value_kind:     global_buffer
      - .offset:         48
        .size:           4
        .value_kind:     by_value
      - .offset:         52
        .size:           4
        .value_kind:     by_value
      - .offset:         56
        .size:           4
        .value_kind:     by_value
      - .offset:         60
        .size:           4
        .value_kind:     by_value
      - .offset:         64
        .size:           4
        .value_kind:     by_value
      - .offset:         68
        .size:           4
        .value_kind:     by_value
      - .offset:         72
        .size:           4
        .value_kind:     by_value
      - .offset:         76
        .size:           4
        .value_kind:     by_value
      - .offset:         80
        .size:           4
        .value_kind:     by_value
      - .offset:         84
        .size:           4
        .value_kind:     by_value
      - .offset:         88
        .size:           4
        .value_kind:     by_value
      - .offset:         92
        .size:           4
        .value_kind:     by_value
      - .offset:         96
        .size:           4
        .value_kind:     by_value
      - .offset:         100
        .size:           4
        .value_kind:     by_value
      - .offset:         104
        .size:           12
        .value_kind:     by_value
      - .offset:         116
        .size:           12
        .value_kind:     by_value
    .group_segment_fixed_size: 0
    .kernarg_segment_align: 8
    .kernarg_segment_size: 128
    .language:       OpenCL C
    .language_version:
      - 2
      - 0
    .max_flat_workgroup_size: 512
    .name:           _ZL13mul_mat_f_idsI7__half2Li64ELi4ELi8EEvPKT_PKfPKiS7_S7_Pfiiiiiiiiiiiiii15HIP_vector_typeIjLj3EESA_
    .private_segment_fixed_size: 0
    .sgpr_count:     100
    .sgpr_spill_count: 9
    .symbol:         _ZL13mul_mat_f_idsI7__half2Li64ELi4ELi8EEvPKT_PKfPKiS7_S7_Pfiiiiiiiiiiiiii15HIP_vector_typeIjLj3EESA_.kd
    .uniform_work_group_size: 1
    .uses_dynamic_stack: false
    .vgpr_count:     102
    .vgpr_spill_count: 0
    .wavefront_size: 64
  - .agpr_count:     0
    .args:
      - .actual_access:  read_only
        .address_space:  global
        .offset:         0
        .size:           8
        .value_kind:     global_buffer
      - .actual_access:  read_only
        .address_space:  global
        .offset:         8
        .size:           8
        .value_kind:     global_buffer
      - .actual_access:  read_only
        .address_space:  global
        .offset:         16
        .size:           8
        .value_kind:     global_buffer
      - .actual_access:  write_only
        .address_space:  global
        .offset:         24
        .size:           8
        .value_kind:     global_buffer
      - .offset:         32
        .size:           4
        .value_kind:     by_value
      - .offset:         36
        .size:           4
        .value_kind:     by_value
      - .offset:         40
        .size:           4
        .value_kind:     by_value
      - .offset:         44
        .size:           4
        .value_kind:     by_value
      - .offset:         48
        .size:           4
        .value_kind:     by_value
      - .offset:         52
        .size:           4
        .value_kind:     by_value
      - .offset:         56
        .size:           4
        .value_kind:     by_value
      - .offset:         60
        .size:           4
        .value_kind:     by_value
      - .offset:         64
        .size:           4
        .value_kind:     by_value
      - .offset:         68
        .size:           4
        .value_kind:     by_value
      - .offset:         72
        .size:           4
        .value_kind:     by_value
      - .offset:         76
        .size:           4
        .value_kind:     by_value
      - .offset:         80
        .size:           4
        .value_kind:     by_value
      - .offset:         84
        .size:           4
        .value_kind:     by_value
      - .offset:         88
        .size:           4
        .value_kind:     by_value
      - .offset:         92
        .size:           4
        .value_kind:     by_value
      - .offset:         96
        .size:           4
        .value_kind:     hidden_block_count_x
      - .offset:         100
        .size:           4
        .value_kind:     hidden_block_count_y
      - .offset:         104
        .size:           4
        .value_kind:     hidden_block_count_z
      - .offset:         108
        .size:           2
        .value_kind:     hidden_group_size_x
      - .offset:         110
        .size:           2
        .value_kind:     hidden_group_size_y
      - .offset:         112
        .size:           2
        .value_kind:     hidden_group_size_z
      - .offset:         114
        .size:           2
        .value_kind:     hidden_remainder_x
      - .offset:         116
        .size:           2
        .value_kind:     hidden_remainder_y
      - .offset:         118
        .size:           2
        .value_kind:     hidden_remainder_z
      - .offset:         136
        .size:           8
        .value_kind:     hidden_global_offset_x
      - .offset:         144
        .size:           8
        .value_kind:     hidden_global_offset_y
      - .offset:         152
        .size:           8
        .value_kind:     hidden_global_offset_z
      - .offset:         160
        .size:           2
        .value_kind:     hidden_grid_dims
      - .offset:         216
        .size:           4
        .value_kind:     hidden_dynamic_lds_size
    .group_segment_fixed_size: 256
    .kernarg_segment_align: 8
    .kernarg_segment_size: 352
    .language:       OpenCL C
    .language_version:
      - 2
      - 0
    .max_flat_workgroup_size: 512
    .name:           _ZL9mul_mat_fI7__half2Li64ELi4ELi8ELb1EEvPKT_PKfPKiPfiiiiiiiiiiiiiiii
    .private_segment_fixed_size: 0
    .sgpr_count:     97
    .sgpr_spill_count: 0
    .symbol:         _ZL9mul_mat_fI7__half2Li64ELi4ELi8ELb1EEvPKT_PKfPKiPfiiiiiiiiiiiiiiii.kd
    .uniform_work_group_size: 1
    .uses_dynamic_stack: false
    .vgpr_count:     104
    .vgpr_spill_count: 0
    .wavefront_size: 64
  - .agpr_count:     0
    .args:
      - .actual_access:  read_only
        .address_space:  global
        .offset:         0
        .size:           8
        .value_kind:     global_buffer
      - .actual_access:  read_only
        .address_space:  global
        .offset:         8
        .size:           8
        .value_kind:     global_buffer
      - .actual_access:  read_only
        .address_space:  global
        .offset:         16
        .size:           8
        .value_kind:     global_buffer
      - .actual_access:  write_only
        .address_space:  global
        .offset:         24
        .size:           8
        .value_kind:     global_buffer
      - .offset:         32
        .size:           4
        .value_kind:     by_value
      - .offset:         36
        .size:           4
        .value_kind:     by_value
      - .offset:         40
        .size:           4
        .value_kind:     by_value
      - .offset:         44
        .size:           4
        .value_kind:     by_value
      - .offset:         48
        .size:           4
        .value_kind:     by_value
      - .offset:         52
        .size:           4
        .value_kind:     by_value
      - .offset:         56
        .size:           4
        .value_kind:     by_value
      - .offset:         60
        .size:           4
        .value_kind:     by_value
      - .offset:         64
        .size:           4
        .value_kind:     by_value
      - .offset:         68
        .size:           4
        .value_kind:     by_value
      - .offset:         72
        .size:           4
        .value_kind:     by_value
      - .offset:         76
        .size:           4
        .value_kind:     by_value
      - .offset:         80
        .size:           4
        .value_kind:     by_value
      - .offset:         84
        .size:           4
        .value_kind:     by_value
      - .offset:         88
        .size:           4
        .value_kind:     by_value
      - .offset:         92
        .size:           4
        .value_kind:     by_value
    .group_segment_fixed_size: 0
    .kernarg_segment_align: 8
    .kernarg_segment_size: 96
    .language:       OpenCL C
    .language_version:
      - 2
      - 0
    .max_flat_workgroup_size: 512
    .name:           _ZL9mul_mat_fI7__half2Li64ELi4ELi8ELb0EEvPKT_PKfPKiPfiiiiiiiiiiiiiiii
    .private_segment_fixed_size: 0
    .sgpr_count:     86
    .sgpr_spill_count: 0
    .symbol:         _ZL9mul_mat_fI7__half2Li64ELi4ELi8ELb0EEvPKT_PKfPKiPfiiiiiiiiiiiiiiii.kd
    .uniform_work_group_size: 1
    .uses_dynamic_stack: false
    .vgpr_count:     102
    .vgpr_spill_count: 0
    .wavefront_size: 64
  - .agpr_count:     16
    .args:
      - .actual_access:  read_only
        .address_space:  global
        .offset:         0
        .size:           8
        .value_kind:     global_buffer
      - .actual_access:  read_only
        .address_space:  global
        .offset:         8
        .size:           8
        .value_kind:     global_buffer
      - .actual_access:  read_only
        .address_space:  global
        .offset:         16
        .size:           8
        .value_kind:     global_buffer
      - .actual_access:  read_only
        .address_space:  global
        .offset:         24
        .size:           8
        .value_kind:     global_buffer
      - .actual_access:  read_only
        .address_space:  global
        .offset:         32
        .size:           8
        .value_kind:     global_buffer
      - .actual_access:  write_only
        .address_space:  global
        .offset:         40
        .size:           8
        .value_kind:     global_buffer
      - .offset:         48
        .size:           4
        .value_kind:     by_value
      - .offset:         52
        .size:           4
        .value_kind:     by_value
      - .offset:         56
        .size:           4
        .value_kind:     by_value
      - .offset:         60
        .size:           4
        .value_kind:     by_value
      - .offset:         64
        .size:           4
        .value_kind:     by_value
      - .offset:         68
        .size:           4
        .value_kind:     by_value
      - .offset:         72
        .size:           4
        .value_kind:     by_value
      - .offset:         76
        .size:           4
        .value_kind:     by_value
      - .offset:         80
        .size:           4
        .value_kind:     by_value
      - .offset:         84
        .size:           4
        .value_kind:     by_value
      - .offset:         88
        .size:           4
        .value_kind:     by_value
      - .offset:         92
        .size:           4
        .value_kind:     by_value
      - .offset:         96
        .size:           4
        .value_kind:     by_value
      - .offset:         100
        .size:           4
        .value_kind:     by_value
      - .offset:         104
        .size:           12
        .value_kind:     by_value
      - .offset:         116
        .size:           12
        .value_kind:     by_value
    .group_segment_fixed_size: 0
    .kernarg_segment_align: 8
    .kernarg_segment_size: 128
    .language:       OpenCL C
    .language_version:
      - 2
      - 0
    .max_flat_workgroup_size: 64
    .name:           _ZL13mul_mat_f_idsI15__hip_bfloat162Li64ELi4ELi1EEvPKT_PKfPKiS7_S7_Pfiiiiiiiiiiiiii15HIP_vector_typeIjLj3EESA_
    .private_segment_fixed_size: 0
    .sgpr_count:     100
    .sgpr_spill_count: 13
    .symbol:         _ZL13mul_mat_f_idsI15__hip_bfloat162Li64ELi4ELi1EEvPKT_PKfPKiS7_S7_Pfiiiiiiiiiiiiii15HIP_vector_typeIjLj3EESA_.kd
    .uniform_work_group_size: 1
    .uses_dynamic_stack: false
    .vgpr_count:     104
    .vgpr_spill_count: 0
    .wavefront_size: 64
  - .agpr_count:     20
    .args:
      - .actual_access:  read_only
        .address_space:  global
        .offset:         0
        .size:           8
        .value_kind:     global_buffer
      - .actual_access:  read_only
        .address_space:  global
        .offset:         8
        .size:           8
        .value_kind:     global_buffer
      - .actual_access:  read_only
        .address_space:  global
        .offset:         16
        .size:           8
        .value_kind:     global_buffer
      - .actual_access:  write_only
        .address_space:  global
        .offset:         24
        .size:           8
        .value_kind:     global_buffer
      - .offset:         32
        .size:           4
        .value_kind:     by_value
      - .offset:         36
        .size:           4
        .value_kind:     by_value
      - .offset:         40
        .size:           4
        .value_kind:     by_value
      - .offset:         44
        .size:           4
        .value_kind:     by_value
      - .offset:         48
        .size:           4
        .value_kind:     by_value
      - .offset:         52
        .size:           4
        .value_kind:     by_value
      - .offset:         56
        .size:           4
        .value_kind:     by_value
      - .offset:         60
        .size:           4
        .value_kind:     by_value
      - .offset:         64
        .size:           4
        .value_kind:     by_value
      - .offset:         68
        .size:           4
        .value_kind:     by_value
      - .offset:         72
        .size:           4
        .value_kind:     by_value
      - .offset:         76
        .size:           4
        .value_kind:     by_value
      - .offset:         80
        .size:           4
        .value_kind:     by_value
      - .offset:         84
        .size:           4
        .value_kind:     by_value
      - .offset:         88
        .size:           4
        .value_kind:     by_value
      - .offset:         92
        .size:           4
        .value_kind:     by_value
      - .offset:         96
        .size:           4
        .value_kind:     hidden_block_count_x
      - .offset:         100
        .size:           4
        .value_kind:     hidden_block_count_y
      - .offset:         104
        .size:           4
        .value_kind:     hidden_block_count_z
      - .offset:         108
        .size:           2
        .value_kind:     hidden_group_size_x
      - .offset:         110
        .size:           2
        .value_kind:     hidden_group_size_y
      - .offset:         112
        .size:           2
        .value_kind:     hidden_group_size_z
      - .offset:         114
        .size:           2
        .value_kind:     hidden_remainder_x
      - .offset:         116
        .size:           2
        .value_kind:     hidden_remainder_y
      - .offset:         118
        .size:           2
        .value_kind:     hidden_remainder_z
      - .offset:         136
        .size:           8
        .value_kind:     hidden_global_offset_x
      - .offset:         144
        .size:           8
        .value_kind:     hidden_global_offset_y
      - .offset:         152
        .size:           8
        .value_kind:     hidden_global_offset_z
      - .offset:         160
        .size:           2
        .value_kind:     hidden_grid_dims
      - .offset:         216
        .size:           4
        .value_kind:     hidden_dynamic_lds_size
    .group_segment_fixed_size: 256
    .kernarg_segment_align: 8
    .kernarg_segment_size: 352
    .language:       OpenCL C
    .language_version:
      - 2
      - 0
    .max_flat_workgroup_size: 64
    .name:           _ZL9mul_mat_fI15__hip_bfloat162Li64ELi4ELi1ELb1EEvPKT_PKfPKiPfiiiiiiiiiiiiiiii
    .private_segment_fixed_size: 0
    .sgpr_count:     100
    .sgpr_spill_count: 12
    .symbol:         _ZL9mul_mat_fI15__hip_bfloat162Li64ELi4ELi1ELb1EEvPKT_PKfPKiPfiiiiiiiiiiiiiiii.kd
    .uniform_work_group_size: 1
    .uses_dynamic_stack: false
    .vgpr_count:     128
    .vgpr_spill_count: 0
    .wavefront_size: 64
  - .agpr_count:     24
    .args:
      - .actual_access:  read_only
        .address_space:  global
        .offset:         0
        .size:           8
        .value_kind:     global_buffer
      - .actual_access:  read_only
        .address_space:  global
        .offset:         8
        .size:           8
        .value_kind:     global_buffer
      - .actual_access:  read_only
        .address_space:  global
        .offset:         16
        .size:           8
        .value_kind:     global_buffer
      - .actual_access:  write_only
        .address_space:  global
        .offset:         24
        .size:           8
        .value_kind:     global_buffer
      - .offset:         32
        .size:           4
        .value_kind:     by_value
      - .offset:         36
        .size:           4
        .value_kind:     by_value
      - .offset:         40
        .size:           4
        .value_kind:     by_value
      - .offset:         44
        .size:           4
        .value_kind:     by_value
      - .offset:         48
        .size:           4
        .value_kind:     by_value
      - .offset:         52
        .size:           4
        .value_kind:     by_value
      - .offset:         56
        .size:           4
        .value_kind:     by_value
      - .offset:         60
        .size:           4
        .value_kind:     by_value
      - .offset:         64
        .size:           4
        .value_kind:     by_value
      - .offset:         68
        .size:           4
        .value_kind:     by_value
      - .offset:         72
        .size:           4
        .value_kind:     by_value
      - .offset:         76
        .size:           4
        .value_kind:     by_value
      - .offset:         80
        .size:           4
        .value_kind:     by_value
      - .offset:         84
        .size:           4
        .value_kind:     by_value
      - .offset:         88
        .size:           4
        .value_kind:     by_value
      - .offset:         92
        .size:           4
        .value_kind:     by_value
    .group_segment_fixed_size: 0
    .kernarg_segment_align: 8
    .kernarg_segment_size: 96
    .language:       OpenCL C
    .language_version:
      - 2
      - 0
    .max_flat_workgroup_size: 64
    .name:           _ZL9mul_mat_fI15__hip_bfloat162Li64ELi4ELi1ELb0EEvPKT_PKfPKiPfiiiiiiiiiiiiiiii
    .private_segment_fixed_size: 0
    .sgpr_count:     93
    .sgpr_spill_count: 0
    .symbol:         _ZL9mul_mat_fI15__hip_bfloat162Li64ELi4ELi1ELb0EEvPKT_PKfPKiPfiiiiiiiiiiiiiiii.kd
    .uniform_work_group_size: 1
    .uses_dynamic_stack: false
    .vgpr_count:     128
    .vgpr_spill_count: 0
    .wavefront_size: 64
  - .agpr_count:     16
    .args:
      - .actual_access:  read_only
        .address_space:  global
        .offset:         0
        .size:           8
        .value_kind:     global_buffer
      - .actual_access:  read_only
        .address_space:  global
        .offset:         8
        .size:           8
        .value_kind:     global_buffer
      - .actual_access:  read_only
        .address_space:  global
        .offset:         16
        .size:           8
        .value_kind:     global_buffer
      - .actual_access:  read_only
        .address_space:  global
        .offset:         24
        .size:           8
        .value_kind:     global_buffer
      - .actual_access:  read_only
        .address_space:  global
        .offset:         32
        .size:           8
        .value_kind:     global_buffer
      - .actual_access:  write_only
        .address_space:  global
        .offset:         40
        .size:           8
        .value_kind:     global_buffer
      - .offset:         48
        .size:           4
        .value_kind:     by_value
      - .offset:         52
        .size:           4
        .value_kind:     by_value
      - .offset:         56
        .size:           4
        .value_kind:     by_value
      - .offset:         60
        .size:           4
        .value_kind:     by_value
      - .offset:         64
        .size:           4
        .value_kind:     by_value
      - .offset:         68
        .size:           4
        .value_kind:     by_value
      - .offset:         72
        .size:           4
        .value_kind:     by_value
      - .offset:         76
        .size:           4
        .value_kind:     by_value
      - .offset:         80
        .size:           4
        .value_kind:     by_value
      - .offset:         84
        .size:           4
        .value_kind:     by_value
      - .offset:         88
        .size:           4
        .value_kind:     by_value
      - .offset:         92
        .size:           4
        .value_kind:     by_value
      - .offset:         96
        .size:           4
        .value_kind:     by_value
      - .offset:         100
        .size:           4
        .value_kind:     by_value
      - .offset:         104
        .size:           12
        .value_kind:     by_value
      - .offset:         116
        .size:           12
        .value_kind:     by_value
    .group_segment_fixed_size: 0
    .kernarg_segment_align: 8
    .kernarg_segment_size: 128
    .language:       OpenCL C
    .language_version:
      - 2
      - 0
    .max_flat_workgroup_size: 128
    .name:           _ZL13mul_mat_f_idsI15__hip_bfloat162Li64ELi4ELi2EEvPKT_PKfPKiS7_S7_Pfiiiiiiiiiiiiii15HIP_vector_typeIjLj3EESA_
    .private_segment_fixed_size: 0
    .sgpr_count:     100
    .sgpr_spill_count: 13
    .symbol:         _ZL13mul_mat_f_idsI15__hip_bfloat162Li64ELi4ELi2EEvPKT_PKfPKiS7_S7_Pfiiiiiiiiiiiiii15HIP_vector_typeIjLj3EESA_.kd
    .uniform_work_group_size: 1
    .uses_dynamic_stack: false
    .vgpr_count:     104
    .vgpr_spill_count: 0
    .wavefront_size: 64
  - .agpr_count:     20
    .args:
      - .actual_access:  read_only
        .address_space:  global
        .offset:         0
        .size:           8
        .value_kind:     global_buffer
      - .actual_access:  read_only
        .address_space:  global
        .offset:         8
        .size:           8
        .value_kind:     global_buffer
      - .actual_access:  read_only
        .address_space:  global
        .offset:         16
        .size:           8
        .value_kind:     global_buffer
      - .actual_access:  write_only
        .address_space:  global
        .offset:         24
        .size:           8
        .value_kind:     global_buffer
      - .offset:         32
        .size:           4
        .value_kind:     by_value
      - .offset:         36
        .size:           4
        .value_kind:     by_value
      - .offset:         40
        .size:           4
        .value_kind:     by_value
      - .offset:         44
        .size:           4
        .value_kind:     by_value
      - .offset:         48
        .size:           4
        .value_kind:     by_value
      - .offset:         52
        .size:           4
        .value_kind:     by_value
      - .offset:         56
        .size:           4
        .value_kind:     by_value
      - .offset:         60
        .size:           4
        .value_kind:     by_value
      - .offset:         64
        .size:           4
        .value_kind:     by_value
      - .offset:         68
        .size:           4
        .value_kind:     by_value
      - .offset:         72
        .size:           4
        .value_kind:     by_value
      - .offset:         76
        .size:           4
        .value_kind:     by_value
      - .offset:         80
        .size:           4
        .value_kind:     by_value
      - .offset:         84
        .size:           4
        .value_kind:     by_value
      - .offset:         88
        .size:           4
        .value_kind:     by_value
      - .offset:         92
        .size:           4
        .value_kind:     by_value
      - .offset:         96
        .size:           4
        .value_kind:     hidden_block_count_x
      - .offset:         100
        .size:           4
        .value_kind:     hidden_block_count_y
      - .offset:         104
        .size:           4
        .value_kind:     hidden_block_count_z
      - .offset:         108
        .size:           2
        .value_kind:     hidden_group_size_x
      - .offset:         110
        .size:           2
        .value_kind:     hidden_group_size_y
      - .offset:         112
        .size:           2
        .value_kind:     hidden_group_size_z
      - .offset:         114
        .size:           2
        .value_kind:     hidden_remainder_x
      - .offset:         116
        .size:           2
        .value_kind:     hidden_remainder_y
      - .offset:         118
        .size:           2
        .value_kind:     hidden_remainder_z
      - .offset:         136
        .size:           8
        .value_kind:     hidden_global_offset_x
      - .offset:         144
        .size:           8
        .value_kind:     hidden_global_offset_y
      - .offset:         152
        .size:           8
        .value_kind:     hidden_global_offset_z
      - .offset:         160
        .size:           2
        .value_kind:     hidden_grid_dims
      - .offset:         216
        .size:           4
        .value_kind:     hidden_dynamic_lds_size
    .group_segment_fixed_size: 256
    .kernarg_segment_align: 8
    .kernarg_segment_size: 352
    .language:       OpenCL C
    .language_version:
      - 2
      - 0
    .max_flat_workgroup_size: 128
    .name:           _ZL9mul_mat_fI15__hip_bfloat162Li64ELi4ELi2ELb1EEvPKT_PKfPKiPfiiiiiiiiiiiiiiii
    .private_segment_fixed_size: 0
    .sgpr_count:     100
    .sgpr_spill_count: 8
    .symbol:         _ZL9mul_mat_fI15__hip_bfloat162Li64ELi4ELi2ELb1EEvPKT_PKfPKiPfiiiiiiiiiiiiiiii.kd
    .uniform_work_group_size: 1
    .uses_dynamic_stack: false
    .vgpr_count:     124
    .vgpr_spill_count: 0
    .wavefront_size: 64
  - .agpr_count:     24
    .args:
      - .actual_access:  read_only
        .address_space:  global
        .offset:         0
        .size:           8
        .value_kind:     global_buffer
      - .actual_access:  read_only
        .address_space:  global
        .offset:         8
        .size:           8
        .value_kind:     global_buffer
      - .actual_access:  read_only
        .address_space:  global
        .offset:         16
        .size:           8
        .value_kind:     global_buffer
      - .actual_access:  write_only
        .address_space:  global
        .offset:         24
        .size:           8
        .value_kind:     global_buffer
      - .offset:         32
        .size:           4
        .value_kind:     by_value
      - .offset:         36
        .size:           4
        .value_kind:     by_value
      - .offset:         40
        .size:           4
        .value_kind:     by_value
      - .offset:         44
        .size:           4
        .value_kind:     by_value
      - .offset:         48
        .size:           4
        .value_kind:     by_value
      - .offset:         52
        .size:           4
        .value_kind:     by_value
      - .offset:         56
        .size:           4
        .value_kind:     by_value
      - .offset:         60
        .size:           4
        .value_kind:     by_value
      - .offset:         64
        .size:           4
        .value_kind:     by_value
      - .offset:         68
        .size:           4
        .value_kind:     by_value
      - .offset:         72
        .size:           4
        .value_kind:     by_value
      - .offset:         76
        .size:           4
        .value_kind:     by_value
      - .offset:         80
        .size:           4
        .value_kind:     by_value
      - .offset:         84
        .size:           4
        .value_kind:     by_value
      - .offset:         88
        .size:           4
        .value_kind:     by_value
      - .offset:         92
        .size:           4
        .value_kind:     by_value
    .group_segment_fixed_size: 0
    .kernarg_segment_align: 8
    .kernarg_segment_size: 96
    .language:       OpenCL C
    .language_version:
      - 2
      - 0
    .max_flat_workgroup_size: 128
    .name:           _ZL9mul_mat_fI15__hip_bfloat162Li64ELi4ELi2ELb0EEvPKT_PKfPKiPfiiiiiiiiiiiiiiii
    .private_segment_fixed_size: 0
    .sgpr_count:     93
    .sgpr_spill_count: 0
    .symbol:         _ZL9mul_mat_fI15__hip_bfloat162Li64ELi4ELi2ELb0EEvPKT_PKfPKiPfiiiiiiiiiiiiiiii.kd
    .uniform_work_group_size: 1
    .uses_dynamic_stack: false
    .vgpr_count:     128
    .vgpr_spill_count: 0
    .wavefront_size: 64
  - .agpr_count:     16
    .args:
      - .actual_access:  read_only
        .address_space:  global
        .offset:         0
        .size:           8
        .value_kind:     global_buffer
      - .actual_access:  read_only
        .address_space:  global
        .offset:         8
        .size:           8
        .value_kind:     global_buffer
      - .actual_access:  read_only
        .address_space:  global
        .offset:         16
        .size:           8
        .value_kind:     global_buffer
      - .actual_access:  read_only
        .address_space:  global
        .offset:         24
        .size:           8
        .value_kind:     global_buffer
      - .actual_access:  read_only
        .address_space:  global
        .offset:         32
        .size:           8
        .value_kind:     global_buffer
      - .actual_access:  write_only
        .address_space:  global
        .offset:         40
        .size:           8
        .value_kind:     global_buffer
      - .offset:         48
        .size:           4
        .value_kind:     by_value
      - .offset:         52
        .size:           4
        .value_kind:     by_value
      - .offset:         56
        .size:           4
        .value_kind:     by_value
      - .offset:         60
        .size:           4
        .value_kind:     by_value
      - .offset:         64
        .size:           4
        .value_kind:     by_value
      - .offset:         68
        .size:           4
        .value_kind:     by_value
      - .offset:         72
        .size:           4
        .value_kind:     by_value
      - .offset:         76
        .size:           4
        .value_kind:     by_value
      - .offset:         80
        .size:           4
        .value_kind:     by_value
      - .offset:         84
        .size:           4
        .value_kind:     by_value
      - .offset:         88
        .size:           4
        .value_kind:     by_value
      - .offset:         92
        .size:           4
        .value_kind:     by_value
      - .offset:         96
        .size:           4
        .value_kind:     by_value
      - .offset:         100
        .size:           4
        .value_kind:     by_value
      - .offset:         104
        .size:           12
        .value_kind:     by_value
      - .offset:         116
        .size:           12
        .value_kind:     by_value
    .group_segment_fixed_size: 0
    .kernarg_segment_align: 8
    .kernarg_segment_size: 128
    .language:       OpenCL C
    .language_version:
      - 2
      - 0
    .max_flat_workgroup_size: 192
    .name:           _ZL13mul_mat_f_idsI15__hip_bfloat162Li64ELi4ELi3EEvPKT_PKfPKiS7_S7_Pfiiiiiiiiiiiiii15HIP_vector_typeIjLj3EESA_
    .private_segment_fixed_size: 0
    .sgpr_count:     100
    .sgpr_spill_count: 14
    .symbol:         _ZL13mul_mat_f_idsI15__hip_bfloat162Li64ELi4ELi3EEvPKT_PKfPKiS7_S7_Pfiiiiiiiiiiiiii15HIP_vector_typeIjLj3EESA_.kd
    .uniform_work_group_size: 1
    .uses_dynamic_stack: false
    .vgpr_count:     104
    .vgpr_spill_count: 0
    .wavefront_size: 64
  - .agpr_count:     20
    .args:
      - .actual_access:  read_only
        .address_space:  global
        .offset:         0
        .size:           8
        .value_kind:     global_buffer
      - .actual_access:  read_only
        .address_space:  global
        .offset:         8
        .size:           8
        .value_kind:     global_buffer
      - .actual_access:  read_only
        .address_space:  global
        .offset:         16
        .size:           8
        .value_kind:     global_buffer
      - .actual_access:  write_only
        .address_space:  global
        .offset:         24
        .size:           8
        .value_kind:     global_buffer
      - .offset:         32
        .size:           4
        .value_kind:     by_value
      - .offset:         36
        .size:           4
        .value_kind:     by_value
      - .offset:         40
        .size:           4
        .value_kind:     by_value
      - .offset:         44
        .size:           4
        .value_kind:     by_value
      - .offset:         48
        .size:           4
        .value_kind:     by_value
      - .offset:         52
        .size:           4
        .value_kind:     by_value
      - .offset:         56
        .size:           4
        .value_kind:     by_value
      - .offset:         60
        .size:           4
        .value_kind:     by_value
      - .offset:         64
        .size:           4
        .value_kind:     by_value
      - .offset:         68
        .size:           4
        .value_kind:     by_value
      - .offset:         72
        .size:           4
        .value_kind:     by_value
      - .offset:         76
        .size:           4
        .value_kind:     by_value
      - .offset:         80
        .size:           4
        .value_kind:     by_value
      - .offset:         84
        .size:           4
        .value_kind:     by_value
      - .offset:         88
        .size:           4
        .value_kind:     by_value
      - .offset:         92
        .size:           4
        .value_kind:     by_value
      - .offset:         96
        .size:           4
        .value_kind:     hidden_block_count_x
      - .offset:         100
        .size:           4
        .value_kind:     hidden_block_count_y
      - .offset:         104
        .size:           4
        .value_kind:     hidden_block_count_z
      - .offset:         108
        .size:           2
        .value_kind:     hidden_group_size_x
      - .offset:         110
        .size:           2
        .value_kind:     hidden_group_size_y
      - .offset:         112
        .size:           2
        .value_kind:     hidden_group_size_z
      - .offset:         114
        .size:           2
        .value_kind:     hidden_remainder_x
      - .offset:         116
        .size:           2
        .value_kind:     hidden_remainder_y
      - .offset:         118
        .size:           2
        .value_kind:     hidden_remainder_z
      - .offset:         136
        .size:           8
        .value_kind:     hidden_global_offset_x
      - .offset:         144
        .size:           8
        .value_kind:     hidden_global_offset_y
      - .offset:         152
        .size:           8
        .value_kind:     hidden_global_offset_z
      - .offset:         160
        .size:           2
        .value_kind:     hidden_grid_dims
      - .offset:         216
        .size:           4
        .value_kind:     hidden_dynamic_lds_size
    .group_segment_fixed_size: 256
    .kernarg_segment_align: 8
    .kernarg_segment_size: 352
    .language:       OpenCL C
    .language_version:
      - 2
      - 0
    .max_flat_workgroup_size: 192
    .name:           _ZL9mul_mat_fI15__hip_bfloat162Li64ELi4ELi3ELb1EEvPKT_PKfPKiPfiiiiiiiiiiiiiiii
    .private_segment_fixed_size: 0
    .sgpr_count:     100
    .sgpr_spill_count: 8
    .symbol:         _ZL9mul_mat_fI15__hip_bfloat162Li64ELi4ELi3ELb1EEvPKT_PKfPKiPfiiiiiiiiiiiiiiii.kd
    .uniform_work_group_size: 1
    .uses_dynamic_stack: false
    .vgpr_count:     124
    .vgpr_spill_count: 0
    .wavefront_size: 64
  - .agpr_count:     24
    .args:
      - .actual_access:  read_only
        .address_space:  global
        .offset:         0
        .size:           8
        .value_kind:     global_buffer
      - .actual_access:  read_only
        .address_space:  global
        .offset:         8
        .size:           8
        .value_kind:     global_buffer
      - .actual_access:  read_only
        .address_space:  global
        .offset:         16
        .size:           8
        .value_kind:     global_buffer
      - .actual_access:  write_only
        .address_space:  global
        .offset:         24
        .size:           8
        .value_kind:     global_buffer
      - .offset:         32
        .size:           4
        .value_kind:     by_value
      - .offset:         36
        .size:           4
        .value_kind:     by_value
      - .offset:         40
        .size:           4
        .value_kind:     by_value
      - .offset:         44
        .size:           4
        .value_kind:     by_value
      - .offset:         48
        .size:           4
        .value_kind:     by_value
      - .offset:         52
        .size:           4
        .value_kind:     by_value
      - .offset:         56
        .size:           4
        .value_kind:     by_value
      - .offset:         60
        .size:           4
        .value_kind:     by_value
      - .offset:         64
        .size:           4
        .value_kind:     by_value
      - .offset:         68
        .size:           4
        .value_kind:     by_value
      - .offset:         72
        .size:           4
        .value_kind:     by_value
      - .offset:         76
        .size:           4
        .value_kind:     by_value
      - .offset:         80
        .size:           4
        .value_kind:     by_value
      - .offset:         84
        .size:           4
        .value_kind:     by_value
      - .offset:         88
        .size:           4
        .value_kind:     by_value
      - .offset:         92
        .size:           4
        .value_kind:     by_value
    .group_segment_fixed_size: 0
    .kernarg_segment_align: 8
    .kernarg_segment_size: 96
    .language:       OpenCL C
    .language_version:
      - 2
      - 0
    .max_flat_workgroup_size: 192
    .name:           _ZL9mul_mat_fI15__hip_bfloat162Li64ELi4ELi3ELb0EEvPKT_PKfPKiPfiiiiiiiiiiiiiiii
    .private_segment_fixed_size: 0
    .sgpr_count:     93
    .sgpr_spill_count: 0
    .symbol:         _ZL9mul_mat_fI15__hip_bfloat162Li64ELi4ELi3ELb0EEvPKT_PKfPKiPfiiiiiiiiiiiiiiii.kd
    .uniform_work_group_size: 1
    .uses_dynamic_stack: false
    .vgpr_count:     128
    .vgpr_spill_count: 0
    .wavefront_size: 64
  - .agpr_count:     16
    .args:
      - .actual_access:  read_only
        .address_space:  global
        .offset:         0
        .size:           8
        .value_kind:     global_buffer
      - .actual_access:  read_only
        .address_space:  global
        .offset:         8
        .size:           8
        .value_kind:     global_buffer
      - .actual_access:  read_only
        .address_space:  global
        .offset:         16
        .size:           8
        .value_kind:     global_buffer
      - .actual_access:  read_only
        .address_space:  global
        .offset:         24
        .size:           8
        .value_kind:     global_buffer
      - .actual_access:  read_only
        .address_space:  global
        .offset:         32
        .size:           8
        .value_kind:     global_buffer
      - .actual_access:  write_only
        .address_space:  global
        .offset:         40
        .size:           8
        .value_kind:     global_buffer
      - .offset:         48
        .size:           4
        .value_kind:     by_value
      - .offset:         52
        .size:           4
        .value_kind:     by_value
      - .offset:         56
        .size:           4
        .value_kind:     by_value
      - .offset:         60
        .size:           4
        .value_kind:     by_value
      - .offset:         64
        .size:           4
        .value_kind:     by_value
      - .offset:         68
        .size:           4
        .value_kind:     by_value
      - .offset:         72
        .size:           4
        .value_kind:     by_value
      - .offset:         76
        .size:           4
        .value_kind:     by_value
      - .offset:         80
        .size:           4
        .value_kind:     by_value
      - .offset:         84
        .size:           4
        .value_kind:     by_value
      - .offset:         88
        .size:           4
        .value_kind:     by_value
      - .offset:         92
        .size:           4
        .value_kind:     by_value
      - .offset:         96
        .size:           4
        .value_kind:     by_value
      - .offset:         100
        .size:           4
        .value_kind:     by_value
      - .offset:         104
        .size:           12
        .value_kind:     by_value
      - .offset:         116
        .size:           12
        .value_kind:     by_value
    .group_segment_fixed_size: 0
    .kernarg_segment_align: 8
    .kernarg_segment_size: 128
    .language:       OpenCL C
    .language_version:
      - 2
      - 0
    .max_flat_workgroup_size: 256
    .name:           _ZL13mul_mat_f_idsI15__hip_bfloat162Li64ELi4ELi4EEvPKT_PKfPKiS7_S7_Pfiiiiiiiiiiiiii15HIP_vector_typeIjLj3EESA_
    .private_segment_fixed_size: 0
    .sgpr_count:     100
    .sgpr_spill_count: 14
    .symbol:         _ZL13mul_mat_f_idsI15__hip_bfloat162Li64ELi4ELi4EEvPKT_PKfPKiS7_S7_Pfiiiiiiiiiiiiii15HIP_vector_typeIjLj3EESA_.kd
    .uniform_work_group_size: 1
    .uses_dynamic_stack: false
    .vgpr_count:     104
    .vgpr_spill_count: 0
    .wavefront_size: 64
  - .agpr_count:     20
    .args:
      - .actual_access:  read_only
        .address_space:  global
        .offset:         0
        .size:           8
        .value_kind:     global_buffer
      - .actual_access:  read_only
        .address_space:  global
        .offset:         8
        .size:           8
        .value_kind:     global_buffer
      - .actual_access:  read_only
        .address_space:  global
        .offset:         16
        .size:           8
        .value_kind:     global_buffer
      - .actual_access:  write_only
        .address_space:  global
        .offset:         24
        .size:           8
        .value_kind:     global_buffer
      - .offset:         32
        .size:           4
        .value_kind:     by_value
      - .offset:         36
        .size:           4
        .value_kind:     by_value
      - .offset:         40
        .size:           4
        .value_kind:     by_value
      - .offset:         44
        .size:           4
        .value_kind:     by_value
      - .offset:         48
        .size:           4
        .value_kind:     by_value
      - .offset:         52
        .size:           4
        .value_kind:     by_value
      - .offset:         56
        .size:           4
        .value_kind:     by_value
      - .offset:         60
        .size:           4
        .value_kind:     by_value
      - .offset:         64
        .size:           4
        .value_kind:     by_value
      - .offset:         68
        .size:           4
        .value_kind:     by_value
      - .offset:         72
        .size:           4
        .value_kind:     by_value
      - .offset:         76
        .size:           4
        .value_kind:     by_value
      - .offset:         80
        .size:           4
        .value_kind:     by_value
      - .offset:         84
        .size:           4
        .value_kind:     by_value
      - .offset:         88
        .size:           4
        .value_kind:     by_value
      - .offset:         92
        .size:           4
        .value_kind:     by_value
      - .offset:         96
        .size:           4
        .value_kind:     hidden_block_count_x
      - .offset:         100
        .size:           4
        .value_kind:     hidden_block_count_y
      - .offset:         104
        .size:           4
        .value_kind:     hidden_block_count_z
      - .offset:         108
        .size:           2
        .value_kind:     hidden_group_size_x
      - .offset:         110
        .size:           2
        .value_kind:     hidden_group_size_y
      - .offset:         112
        .size:           2
        .value_kind:     hidden_group_size_z
      - .offset:         114
        .size:           2
        .value_kind:     hidden_remainder_x
      - .offset:         116
        .size:           2
        .value_kind:     hidden_remainder_y
      - .offset:         118
        .size:           2
        .value_kind:     hidden_remainder_z
      - .offset:         136
        .size:           8
        .value_kind:     hidden_global_offset_x
      - .offset:         144
        .size:           8
        .value_kind:     hidden_global_offset_y
      - .offset:         152
        .size:           8
        .value_kind:     hidden_global_offset_z
      - .offset:         160
        .size:           2
        .value_kind:     hidden_grid_dims
      - .offset:         216
        .size:           4
        .value_kind:     hidden_dynamic_lds_size
    .group_segment_fixed_size: 256
    .kernarg_segment_align: 8
    .kernarg_segment_size: 352
    .language:       OpenCL C
    .language_version:
      - 2
      - 0
    .max_flat_workgroup_size: 256
    .name:           _ZL9mul_mat_fI15__hip_bfloat162Li64ELi4ELi4ELb1EEvPKT_PKfPKiPfiiiiiiiiiiiiiiii
    .private_segment_fixed_size: 0
    .sgpr_count:     100
    .sgpr_spill_count: 2
    .symbol:         _ZL9mul_mat_fI15__hip_bfloat162Li64ELi4ELi4ELb1EEvPKT_PKfPKiPfiiiiiiiiiiiiiiii.kd
    .uniform_work_group_size: 1
    .uses_dynamic_stack: false
    .vgpr_count:     128
    .vgpr_spill_count: 0
    .wavefront_size: 64
  - .agpr_count:     24
    .args:
      - .actual_access:  read_only
        .address_space:  global
        .offset:         0
        .size:           8
        .value_kind:     global_buffer
      - .actual_access:  read_only
        .address_space:  global
        .offset:         8
        .size:           8
        .value_kind:     global_buffer
      - .actual_access:  read_only
        .address_space:  global
        .offset:         16
        .size:           8
        .value_kind:     global_buffer
      - .actual_access:  write_only
        .address_space:  global
        .offset:         24
        .size:           8
        .value_kind:     global_buffer
      - .offset:         32
        .size:           4
        .value_kind:     by_value
      - .offset:         36
        .size:           4
        .value_kind:     by_value
      - .offset:         40
        .size:           4
        .value_kind:     by_value
      - .offset:         44
        .size:           4
        .value_kind:     by_value
      - .offset:         48
        .size:           4
        .value_kind:     by_value
      - .offset:         52
        .size:           4
        .value_kind:     by_value
      - .offset:         56
        .size:           4
        .value_kind:     by_value
      - .offset:         60
        .size:           4
        .value_kind:     by_value
      - .offset:         64
        .size:           4
        .value_kind:     by_value
      - .offset:         68
        .size:           4
        .value_kind:     by_value
      - .offset:         72
        .size:           4
        .value_kind:     by_value
      - .offset:         76
        .size:           4
        .value_kind:     by_value
      - .offset:         80
        .size:           4
        .value_kind:     by_value
      - .offset:         84
        .size:           4
        .value_kind:     by_value
      - .offset:         88
        .size:           4
        .value_kind:     by_value
      - .offset:         92
        .size:           4
        .value_kind:     by_value
    .group_segment_fixed_size: 0
    .kernarg_segment_align: 8
    .kernarg_segment_size: 96
    .language:       OpenCL C
    .language_version:
      - 2
      - 0
    .max_flat_workgroup_size: 256
    .name:           _ZL9mul_mat_fI15__hip_bfloat162Li64ELi4ELi4ELb0EEvPKT_PKfPKiPfiiiiiiiiiiiiiiii
    .private_segment_fixed_size: 0
    .sgpr_count:     93
    .sgpr_spill_count: 0
    .symbol:         _ZL9mul_mat_fI15__hip_bfloat162Li64ELi4ELi4ELb0EEvPKT_PKfPKiPfiiiiiiiiiiiiiiii.kd
    .uniform_work_group_size: 1
    .uses_dynamic_stack: false
    .vgpr_count:     128
    .vgpr_spill_count: 0
    .wavefront_size: 64
  - .agpr_count:     0
    .args:
      - .actual_access:  read_only
        .address_space:  global
        .offset:         0
        .size:           8
        .value_kind:     global_buffer
      - .actual_access:  read_only
        .address_space:  global
        .offset:         8
        .size:           8
        .value_kind:     global_buffer
      - .actual_access:  read_only
        .address_space:  global
        .offset:         16
        .size:           8
        .value_kind:     global_buffer
      - .actual_access:  read_only
        .address_space:  global
        .offset:         24
        .size:           8
        .value_kind:     global_buffer
      - .actual_access:  read_only
        .address_space:  global
        .offset:         32
        .size:           8
        .value_kind:     global_buffer
      - .actual_access:  write_only
        .address_space:  global
        .offset:         40
        .size:           8
        .value_kind:     global_buffer
      - .offset:         48
        .size:           4
        .value_kind:     by_value
      - .offset:         52
        .size:           4
        .value_kind:     by_value
      - .offset:         56
        .size:           4
        .value_kind:     by_value
      - .offset:         60
        .size:           4
        .value_kind:     by_value
      - .offset:         64
        .size:           4
        .value_kind:     by_value
      - .offset:         68
        .size:           4
        .value_kind:     by_value
      - .offset:         72
        .size:           4
        .value_kind:     by_value
      - .offset:         76
        .size:           4
        .value_kind:     by_value
      - .offset:         80
        .size:           4
        .value_kind:     by_value
      - .offset:         84
        .size:           4
        .value_kind:     by_value
      - .offset:         88
        .size:           4
        .value_kind:     by_value
      - .offset:         92
        .size:           4
        .value_kind:     by_value
      - .offset:         96
        .size:           4
        .value_kind:     by_value
      - .offset:         100
        .size:           4
        .value_kind:     by_value
      - .offset:         104
        .size:           12
        .value_kind:     by_value
      - .offset:         116
        .size:           12
        .value_kind:     by_value
    .group_segment_fixed_size: 0
    .kernarg_segment_align: 8
    .kernarg_segment_size: 128
    .language:       OpenCL C
    .language_version:
      - 2
      - 0
    .max_flat_workgroup_size: 320
    .name:           _ZL13mul_mat_f_idsI15__hip_bfloat162Li64ELi4ELi5EEvPKT_PKfPKiS7_S7_Pfiiiiiiiiiiiiii15HIP_vector_typeIjLj3EESA_
    .private_segment_fixed_size: 0
    .sgpr_count:     100
    .sgpr_spill_count: 14
    .symbol:         _ZL13mul_mat_f_idsI15__hip_bfloat162Li64ELi4ELi5EEvPKT_PKfPKiS7_S7_Pfiiiiiiiiiiiiii15HIP_vector_typeIjLj3EESA_.kd
    .uniform_work_group_size: 1
    .uses_dynamic_stack: false
    .vgpr_count:     102
    .vgpr_spill_count: 0
    .wavefront_size: 64
  - .agpr_count:     0
    .args:
      - .actual_access:  read_only
        .address_space:  global
        .offset:         0
        .size:           8
        .value_kind:     global_buffer
      - .actual_access:  read_only
        .address_space:  global
        .offset:         8
        .size:           8
        .value_kind:     global_buffer
      - .actual_access:  read_only
        .address_space:  global
        .offset:         16
        .size:           8
        .value_kind:     global_buffer
      - .actual_access:  write_only
        .address_space:  global
        .offset:         24
        .size:           8
        .value_kind:     global_buffer
      - .offset:         32
        .size:           4
        .value_kind:     by_value
      - .offset:         36
        .size:           4
        .value_kind:     by_value
      - .offset:         40
        .size:           4
        .value_kind:     by_value
      - .offset:         44
        .size:           4
        .value_kind:     by_value
      - .offset:         48
        .size:           4
        .value_kind:     by_value
      - .offset:         52
        .size:           4
        .value_kind:     by_value
      - .offset:         56
        .size:           4
        .value_kind:     by_value
      - .offset:         60
        .size:           4
        .value_kind:     by_value
      - .offset:         64
        .size:           4
        .value_kind:     by_value
      - .offset:         68
        .size:           4
        .value_kind:     by_value
      - .offset:         72
        .size:           4
        .value_kind:     by_value
      - .offset:         76
        .size:           4
        .value_kind:     by_value
      - .offset:         80
        .size:           4
        .value_kind:     by_value
      - .offset:         84
        .size:           4
        .value_kind:     by_value
      - .offset:         88
        .size:           4
        .value_kind:     by_value
      - .offset:         92
        .size:           4
        .value_kind:     by_value
      - .offset:         96
        .size:           4
        .value_kind:     hidden_block_count_x
      - .offset:         100
        .size:           4
        .value_kind:     hidden_block_count_y
      - .offset:         104
        .size:           4
        .value_kind:     hidden_block_count_z
      - .offset:         108
        .size:           2
        .value_kind:     hidden_group_size_x
      - .offset:         110
        .size:           2
        .value_kind:     hidden_group_size_y
      - .offset:         112
        .size:           2
        .value_kind:     hidden_group_size_z
      - .offset:         114
        .size:           2
        .value_kind:     hidden_remainder_x
      - .offset:         116
        .size:           2
        .value_kind:     hidden_remainder_y
      - .offset:         118
        .size:           2
        .value_kind:     hidden_remainder_z
      - .offset:         136
        .size:           8
        .value_kind:     hidden_global_offset_x
      - .offset:         144
        .size:           8
        .value_kind:     hidden_global_offset_y
      - .offset:         152
        .size:           8
        .value_kind:     hidden_global_offset_z
      - .offset:         160
        .size:           2
        .value_kind:     hidden_grid_dims
      - .offset:         216
        .size:           4
        .value_kind:     hidden_dynamic_lds_size
    .group_segment_fixed_size: 256
    .kernarg_segment_align: 8
    .kernarg_segment_size: 352
    .language:       OpenCL C
    .language_version:
      - 2
      - 0
    .max_flat_workgroup_size: 320
    .name:           _ZL9mul_mat_fI15__hip_bfloat162Li64ELi4ELi5ELb1EEvPKT_PKfPKiPfiiiiiiiiiiiiiiii
    .private_segment_fixed_size: 0
    .sgpr_count:     100
    .sgpr_spill_count: 2
    .symbol:         _ZL9mul_mat_fI15__hip_bfloat162Li64ELi4ELi5ELb1EEvPKT_PKfPKiPfiiiiiiiiiiiiiiii.kd
    .uniform_work_group_size: 1
    .uses_dynamic_stack: false
    .vgpr_count:     103
    .vgpr_spill_count: 0
    .wavefront_size: 64
  - .agpr_count:     0
    .args:
      - .actual_access:  read_only
        .address_space:  global
        .offset:         0
        .size:           8
        .value_kind:     global_buffer
      - .actual_access:  read_only
        .address_space:  global
        .offset:         8
        .size:           8
        .value_kind:     global_buffer
      - .actual_access:  read_only
        .address_space:  global
        .offset:         16
        .size:           8
        .value_kind:     global_buffer
      - .actual_access:  write_only
        .address_space:  global
        .offset:         24
        .size:           8
        .value_kind:     global_buffer
      - .offset:         32
        .size:           4
        .value_kind:     by_value
      - .offset:         36
        .size:           4
        .value_kind:     by_value
      - .offset:         40
        .size:           4
        .value_kind:     by_value
      - .offset:         44
        .size:           4
        .value_kind:     by_value
      - .offset:         48
        .size:           4
        .value_kind:     by_value
      - .offset:         52
        .size:           4
        .value_kind:     by_value
      - .offset:         56
        .size:           4
        .value_kind:     by_value
      - .offset:         60
        .size:           4
        .value_kind:     by_value
      - .offset:         64
        .size:           4
        .value_kind:     by_value
      - .offset:         68
        .size:           4
        .value_kind:     by_value
      - .offset:         72
        .size:           4
        .value_kind:     by_value
      - .offset:         76
        .size:           4
        .value_kind:     by_value
      - .offset:         80
        .size:           4
        .value_kind:     by_value
      - .offset:         84
        .size:           4
        .value_kind:     by_value
      - .offset:         88
        .size:           4
        .value_kind:     by_value
      - .offset:         92
        .size:           4
        .value_kind:     by_value
    .group_segment_fixed_size: 0
    .kernarg_segment_align: 8
    .kernarg_segment_size: 96
    .language:       OpenCL C
    .language_version:
      - 2
      - 0
    .max_flat_workgroup_size: 320
    .name:           _ZL9mul_mat_fI15__hip_bfloat162Li64ELi4ELi5ELb0EEvPKT_PKfPKiPfiiiiiiiiiiiiiiii
    .private_segment_fixed_size: 0
    .sgpr_count:     93
    .sgpr_spill_count: 0
    .symbol:         _ZL9mul_mat_fI15__hip_bfloat162Li64ELi4ELi5ELb0EEvPKT_PKfPKiPfiiiiiiiiiiiiiiii.kd
    .uniform_work_group_size: 1
    .uses_dynamic_stack: false
    .vgpr_count:     105
    .vgpr_spill_count: 0
    .wavefront_size: 64
  - .agpr_count:     0
    .args:
      - .actual_access:  read_only
        .address_space:  global
        .offset:         0
        .size:           8
        .value_kind:     global_buffer
      - .actual_access:  read_only
        .address_space:  global
        .offset:         8
        .size:           8
        .value_kind:     global_buffer
      - .actual_access:  read_only
        .address_space:  global
        .offset:         16
        .size:           8
        .value_kind:     global_buffer
      - .actual_access:  read_only
        .address_space:  global
        .offset:         24
        .size:           8
        .value_kind:     global_buffer
      - .actual_access:  read_only
        .address_space:  global
        .offset:         32
        .size:           8
        .value_kind:     global_buffer
      - .actual_access:  write_only
        .address_space:  global
        .offset:         40
        .size:           8
        .value_kind:     global_buffer
      - .offset:         48
        .size:           4
        .value_kind:     by_value
      - .offset:         52
        .size:           4
        .value_kind:     by_value
      - .offset:         56
        .size:           4
        .value_kind:     by_value
      - .offset:         60
        .size:           4
        .value_kind:     by_value
      - .offset:         64
        .size:           4
        .value_kind:     by_value
      - .offset:         68
        .size:           4
        .value_kind:     by_value
      - .offset:         72
        .size:           4
        .value_kind:     by_value
      - .offset:         76
        .size:           4
        .value_kind:     by_value
      - .offset:         80
        .size:           4
        .value_kind:     by_value
      - .offset:         84
        .size:           4
        .value_kind:     by_value
      - .offset:         88
        .size:           4
        .value_kind:     by_value
      - .offset:         92
        .size:           4
        .value_kind:     by_value
      - .offset:         96
        .size:           4
        .value_kind:     by_value
      - .offset:         100
        .size:           4
        .value_kind:     by_value
      - .offset:         104
        .size:           12
        .value_kind:     by_value
      - .offset:         116
        .size:           12
        .value_kind:     by_value
    .group_segment_fixed_size: 0
    .kernarg_segment_align: 8
    .kernarg_segment_size: 128
    .language:       OpenCL C
    .language_version:
      - 2
      - 0
    .max_flat_workgroup_size: 384
    .name:           _ZL13mul_mat_f_idsI15__hip_bfloat162Li64ELi4ELi6EEvPKT_PKfPKiS7_S7_Pfiiiiiiiiiiiiii15HIP_vector_typeIjLj3EESA_
    .private_segment_fixed_size: 0
    .sgpr_count:     100
    .sgpr_spill_count: 14
    .symbol:         _ZL13mul_mat_f_idsI15__hip_bfloat162Li64ELi4ELi6EEvPKT_PKfPKiS7_S7_Pfiiiiiiiiiiiiii15HIP_vector_typeIjLj3EESA_.kd
    .uniform_work_group_size: 1
    .uses_dynamic_stack: false
    .vgpr_count:     102
    .vgpr_spill_count: 0
    .wavefront_size: 64
  - .agpr_count:     0
    .args:
      - .actual_access:  read_only
        .address_space:  global
        .offset:         0
        .size:           8
        .value_kind:     global_buffer
      - .actual_access:  read_only
        .address_space:  global
        .offset:         8
        .size:           8
        .value_kind:     global_buffer
      - .actual_access:  read_only
        .address_space:  global
        .offset:         16
        .size:           8
        .value_kind:     global_buffer
      - .actual_access:  write_only
        .address_space:  global
        .offset:         24
        .size:           8
        .value_kind:     global_buffer
      - .offset:         32
        .size:           4
        .value_kind:     by_value
      - .offset:         36
        .size:           4
        .value_kind:     by_value
      - .offset:         40
        .size:           4
        .value_kind:     by_value
      - .offset:         44
        .size:           4
        .value_kind:     by_value
      - .offset:         48
        .size:           4
        .value_kind:     by_value
      - .offset:         52
        .size:           4
        .value_kind:     by_value
      - .offset:         56
        .size:           4
        .value_kind:     by_value
      - .offset:         60
        .size:           4
        .value_kind:     by_value
      - .offset:         64
        .size:           4
        .value_kind:     by_value
      - .offset:         68
        .size:           4
        .value_kind:     by_value
      - .offset:         72
        .size:           4
        .value_kind:     by_value
      - .offset:         76
        .size:           4
        .value_kind:     by_value
      - .offset:         80
        .size:           4
        .value_kind:     by_value
      - .offset:         84
        .size:           4
        .value_kind:     by_value
      - .offset:         88
        .size:           4
        .value_kind:     by_value
      - .offset:         92
        .size:           4
        .value_kind:     by_value
      - .offset:         96
        .size:           4
        .value_kind:     hidden_block_count_x
      - .offset:         100
        .size:           4
        .value_kind:     hidden_block_count_y
      - .offset:         104
        .size:           4
        .value_kind:     hidden_block_count_z
      - .offset:         108
        .size:           2
        .value_kind:     hidden_group_size_x
      - .offset:         110
        .size:           2
        .value_kind:     hidden_group_size_y
      - .offset:         112
        .size:           2
        .value_kind:     hidden_group_size_z
      - .offset:         114
        .size:           2
        .value_kind:     hidden_remainder_x
      - .offset:         116
        .size:           2
        .value_kind:     hidden_remainder_y
      - .offset:         118
        .size:           2
        .value_kind:     hidden_remainder_z
      - .offset:         136
        .size:           8
        .value_kind:     hidden_global_offset_x
      - .offset:         144
        .size:           8
        .value_kind:     hidden_global_offset_y
      - .offset:         152
        .size:           8
        .value_kind:     hidden_global_offset_z
      - .offset:         160
        .size:           2
        .value_kind:     hidden_grid_dims
      - .offset:         216
        .size:           4
        .value_kind:     hidden_dynamic_lds_size
    .group_segment_fixed_size: 256
    .kernarg_segment_align: 8
    .kernarg_segment_size: 352
    .language:       OpenCL C
    .language_version:
      - 2
      - 0
    .max_flat_workgroup_size: 384
    .name:           _ZL9mul_mat_fI15__hip_bfloat162Li64ELi4ELi6ELb1EEvPKT_PKfPKiPfiiiiiiiiiiiiiiii
    .private_segment_fixed_size: 0
    .sgpr_count:     100
    .sgpr_spill_count: 2
    .symbol:         _ZL9mul_mat_fI15__hip_bfloat162Li64ELi4ELi6ELb1EEvPKT_PKfPKiPfiiiiiiiiiiiiiiii.kd
    .uniform_work_group_size: 1
    .uses_dynamic_stack: false
    .vgpr_count:     103
    .vgpr_spill_count: 0
    .wavefront_size: 64
  - .agpr_count:     0
    .args:
      - .actual_access:  read_only
        .address_space:  global
        .offset:         0
        .size:           8
        .value_kind:     global_buffer
      - .actual_access:  read_only
        .address_space:  global
        .offset:         8
        .size:           8
        .value_kind:     global_buffer
      - .actual_access:  read_only
        .address_space:  global
        .offset:         16
        .size:           8
        .value_kind:     global_buffer
      - .actual_access:  write_only
        .address_space:  global
        .offset:         24
        .size:           8
        .value_kind:     global_buffer
      - .offset:         32
        .size:           4
        .value_kind:     by_value
      - .offset:         36
        .size:           4
        .value_kind:     by_value
      - .offset:         40
        .size:           4
        .value_kind:     by_value
      - .offset:         44
        .size:           4
        .value_kind:     by_value
      - .offset:         48
        .size:           4
        .value_kind:     by_value
      - .offset:         52
        .size:           4
        .value_kind:     by_value
      - .offset:         56
        .size:           4
        .value_kind:     by_value
      - .offset:         60
        .size:           4
        .value_kind:     by_value
      - .offset:         64
        .size:           4
        .value_kind:     by_value
      - .offset:         68
        .size:           4
        .value_kind:     by_value
      - .offset:         72
        .size:           4
        .value_kind:     by_value
      - .offset:         76
        .size:           4
        .value_kind:     by_value
      - .offset:         80
        .size:           4
        .value_kind:     by_value
      - .offset:         84
        .size:           4
        .value_kind:     by_value
      - .offset:         88
        .size:           4
        .value_kind:     by_value
      - .offset:         92
        .size:           4
        .value_kind:     by_value
    .group_segment_fixed_size: 0
    .kernarg_segment_align: 8
    .kernarg_segment_size: 96
    .language:       OpenCL C
    .language_version:
      - 2
      - 0
    .max_flat_workgroup_size: 384
    .name:           _ZL9mul_mat_fI15__hip_bfloat162Li64ELi4ELi6ELb0EEvPKT_PKfPKiPfiiiiiiiiiiiiiiii
    .private_segment_fixed_size: 0
    .sgpr_count:     93
    .sgpr_spill_count: 0
    .symbol:         _ZL9mul_mat_fI15__hip_bfloat162Li64ELi4ELi6ELb0EEvPKT_PKfPKiPfiiiiiiiiiiiiiiii.kd
    .uniform_work_group_size: 1
    .uses_dynamic_stack: false
    .vgpr_count:     105
    .vgpr_spill_count: 0
    .wavefront_size: 64
  - .agpr_count:     0
    .args:
      - .actual_access:  read_only
        .address_space:  global
        .offset:         0
        .size:           8
        .value_kind:     global_buffer
      - .actual_access:  read_only
        .address_space:  global
        .offset:         8
        .size:           8
        .value_kind:     global_buffer
      - .actual_access:  read_only
        .address_space:  global
        .offset:         16
        .size:           8
        .value_kind:     global_buffer
      - .actual_access:  read_only
        .address_space:  global
        .offset:         24
        .size:           8
        .value_kind:     global_buffer
      - .actual_access:  read_only
        .address_space:  global
        .offset:         32
        .size:           8
        .value_kind:     global_buffer
      - .actual_access:  write_only
        .address_space:  global
        .offset:         40
        .size:           8
        .value_kind:     global_buffer
      - .offset:         48
        .size:           4
        .value_kind:     by_value
      - .offset:         52
        .size:           4
        .value_kind:     by_value
      - .offset:         56
        .size:           4
        .value_kind:     by_value
      - .offset:         60
        .size:           4
        .value_kind:     by_value
      - .offset:         64
        .size:           4
        .value_kind:     by_value
      - .offset:         68
        .size:           4
        .value_kind:     by_value
      - .offset:         72
        .size:           4
        .value_kind:     by_value
      - .offset:         76
        .size:           4
        .value_kind:     by_value
      - .offset:         80
        .size:           4
        .value_kind:     by_value
      - .offset:         84
        .size:           4
        .value_kind:     by_value
      - .offset:         88
        .size:           4
        .value_kind:     by_value
      - .offset:         92
        .size:           4
        .value_kind:     by_value
      - .offset:         96
        .size:           4
        .value_kind:     by_value
      - .offset:         100
        .size:           4
        .value_kind:     by_value
      - .offset:         104
        .size:           12
        .value_kind:     by_value
      - .offset:         116
        .size:           12
        .value_kind:     by_value
    .group_segment_fixed_size: 0
    .kernarg_segment_align: 8
    .kernarg_segment_size: 128
    .language:       OpenCL C
    .language_version:
      - 2
      - 0
    .max_flat_workgroup_size: 448
    .name:           _ZL13mul_mat_f_idsI15__hip_bfloat162Li64ELi4ELi7EEvPKT_PKfPKiS7_S7_Pfiiiiiiiiiiiiii15HIP_vector_typeIjLj3EESA_
    .private_segment_fixed_size: 0
    .sgpr_count:     100
    .sgpr_spill_count: 14
    .symbol:         _ZL13mul_mat_f_idsI15__hip_bfloat162Li64ELi4ELi7EEvPKT_PKfPKiS7_S7_Pfiiiiiiiiiiiiii15HIP_vector_typeIjLj3EESA_.kd
    .uniform_work_group_size: 1
    .uses_dynamic_stack: false
    .vgpr_count:     102
    .vgpr_spill_count: 0
    .wavefront_size: 64
  - .agpr_count:     0
    .args:
      - .actual_access:  read_only
        .address_space:  global
        .offset:         0
        .size:           8
        .value_kind:     global_buffer
      - .actual_access:  read_only
        .address_space:  global
        .offset:         8
        .size:           8
        .value_kind:     global_buffer
      - .actual_access:  read_only
        .address_space:  global
        .offset:         16
        .size:           8
        .value_kind:     global_buffer
      - .actual_access:  write_only
        .address_space:  global
        .offset:         24
        .size:           8
        .value_kind:     global_buffer
      - .offset:         32
        .size:           4
        .value_kind:     by_value
      - .offset:         36
        .size:           4
        .value_kind:     by_value
      - .offset:         40
        .size:           4
        .value_kind:     by_value
      - .offset:         44
        .size:           4
        .value_kind:     by_value
      - .offset:         48
        .size:           4
        .value_kind:     by_value
      - .offset:         52
        .size:           4
        .value_kind:     by_value
      - .offset:         56
        .size:           4
        .value_kind:     by_value
      - .offset:         60
        .size:           4
        .value_kind:     by_value
      - .offset:         64
        .size:           4
        .value_kind:     by_value
      - .offset:         68
        .size:           4
        .value_kind:     by_value
      - .offset:         72
        .size:           4
        .value_kind:     by_value
      - .offset:         76
        .size:           4
        .value_kind:     by_value
      - .offset:         80
        .size:           4
        .value_kind:     by_value
      - .offset:         84
        .size:           4
        .value_kind:     by_value
      - .offset:         88
        .size:           4
        .value_kind:     by_value
      - .offset:         92
        .size:           4
        .value_kind:     by_value
      - .offset:         96
        .size:           4
        .value_kind:     hidden_block_count_x
      - .offset:         100
        .size:           4
        .value_kind:     hidden_block_count_y
      - .offset:         104
        .size:           4
        .value_kind:     hidden_block_count_z
      - .offset:         108
        .size:           2
        .value_kind:     hidden_group_size_x
      - .offset:         110
        .size:           2
        .value_kind:     hidden_group_size_y
      - .offset:         112
        .size:           2
        .value_kind:     hidden_group_size_z
      - .offset:         114
        .size:           2
        .value_kind:     hidden_remainder_x
      - .offset:         116
        .size:           2
        .value_kind:     hidden_remainder_y
      - .offset:         118
        .size:           2
        .value_kind:     hidden_remainder_z
      - .offset:         136
        .size:           8
        .value_kind:     hidden_global_offset_x
      - .offset:         144
        .size:           8
        .value_kind:     hidden_global_offset_y
      - .offset:         152
        .size:           8
        .value_kind:     hidden_global_offset_z
      - .offset:         160
        .size:           2
        .value_kind:     hidden_grid_dims
      - .offset:         216
        .size:           4
        .value_kind:     hidden_dynamic_lds_size
    .group_segment_fixed_size: 256
    .kernarg_segment_align: 8
    .kernarg_segment_size: 352
    .language:       OpenCL C
    .language_version:
      - 2
      - 0
    .max_flat_workgroup_size: 448
    .name:           _ZL9mul_mat_fI15__hip_bfloat162Li64ELi4ELi7ELb1EEvPKT_PKfPKiPfiiiiiiiiiiiiiiii
    .private_segment_fixed_size: 0
    .sgpr_count:     100
    .sgpr_spill_count: 2
    .symbol:         _ZL9mul_mat_fI15__hip_bfloat162Li64ELi4ELi7ELb1EEvPKT_PKfPKiPfiiiiiiiiiiiiiiii.kd
    .uniform_work_group_size: 1
    .uses_dynamic_stack: false
    .vgpr_count:     103
    .vgpr_spill_count: 0
    .wavefront_size: 64
  - .agpr_count:     0
    .args:
      - .actual_access:  read_only
        .address_space:  global
        .offset:         0
        .size:           8
        .value_kind:     global_buffer
      - .actual_access:  read_only
        .address_space:  global
        .offset:         8
        .size:           8
        .value_kind:     global_buffer
      - .actual_access:  read_only
        .address_space:  global
        .offset:         16
        .size:           8
        .value_kind:     global_buffer
      - .actual_access:  write_only
        .address_space:  global
        .offset:         24
        .size:           8
        .value_kind:     global_buffer
      - .offset:         32
        .size:           4
        .value_kind:     by_value
      - .offset:         36
        .size:           4
        .value_kind:     by_value
      - .offset:         40
        .size:           4
        .value_kind:     by_value
      - .offset:         44
        .size:           4
        .value_kind:     by_value
      - .offset:         48
        .size:           4
        .value_kind:     by_value
      - .offset:         52
        .size:           4
        .value_kind:     by_value
      - .offset:         56
        .size:           4
        .value_kind:     by_value
      - .offset:         60
        .size:           4
        .value_kind:     by_value
      - .offset:         64
        .size:           4
        .value_kind:     by_value
      - .offset:         68
        .size:           4
        .value_kind:     by_value
      - .offset:         72
        .size:           4
        .value_kind:     by_value
      - .offset:         76
        .size:           4
        .value_kind:     by_value
      - .offset:         80
        .size:           4
        .value_kind:     by_value
      - .offset:         84
        .size:           4
        .value_kind:     by_value
      - .offset:         88
        .size:           4
        .value_kind:     by_value
      - .offset:         92
        .size:           4
        .value_kind:     by_value
    .group_segment_fixed_size: 0
    .kernarg_segment_align: 8
    .kernarg_segment_size: 96
    .language:       OpenCL C
    .language_version:
      - 2
      - 0
    .max_flat_workgroup_size: 448
    .name:           _ZL9mul_mat_fI15__hip_bfloat162Li64ELi4ELi7ELb0EEvPKT_PKfPKiPfiiiiiiiiiiiiiiii
    .private_segment_fixed_size: 0
    .sgpr_count:     93
    .sgpr_spill_count: 0
    .symbol:         _ZL9mul_mat_fI15__hip_bfloat162Li64ELi4ELi7ELb0EEvPKT_PKfPKiPfiiiiiiiiiiiiiiii.kd
    .uniform_work_group_size: 1
    .uses_dynamic_stack: false
    .vgpr_count:     105
    .vgpr_spill_count: 0
    .wavefront_size: 64
  - .agpr_count:     0
    .args:
      - .actual_access:  read_only
        .address_space:  global
        .offset:         0
        .size:           8
        .value_kind:     global_buffer
      - .actual_access:  read_only
        .address_space:  global
        .offset:         8
        .size:           8
        .value_kind:     global_buffer
      - .actual_access:  read_only
        .address_space:  global
        .offset:         16
        .size:           8
        .value_kind:     global_buffer
      - .actual_access:  read_only
        .address_space:  global
        .offset:         24
        .size:           8
        .value_kind:     global_buffer
      - .actual_access:  read_only
        .address_space:  global
        .offset:         32
        .size:           8
        .value_kind:     global_buffer
      - .actual_access:  write_only
        .address_space:  global
        .offset:         40
        .size:           8
        .value_kind:     global_buffer
      - .offset:         48
        .size:           4
        .value_kind:     by_value
      - .offset:         52
        .size:           4
        .value_kind:     by_value
      - .offset:         56
        .size:           4
        .value_kind:     by_value
      - .offset:         60
        .size:           4
        .value_kind:     by_value
      - .offset:         64
        .size:           4
        .value_kind:     by_value
      - .offset:         68
        .size:           4
        .value_kind:     by_value
      - .offset:         72
        .size:           4
        .value_kind:     by_value
      - .offset:         76
        .size:           4
        .value_kind:     by_value
      - .offset:         80
        .size:           4
        .value_kind:     by_value
      - .offset:         84
        .size:           4
        .value_kind:     by_value
      - .offset:         88
        .size:           4
        .value_kind:     by_value
      - .offset:         92
        .size:           4
        .value_kind:     by_value
      - .offset:         96
        .size:           4
        .value_kind:     by_value
      - .offset:         100
        .size:           4
        .value_kind:     by_value
      - .offset:         104
        .size:           12
        .value_kind:     by_value
      - .offset:         116
        .size:           12
        .value_kind:     by_value
    .group_segment_fixed_size: 0
    .kernarg_segment_align: 8
    .kernarg_segment_size: 128
    .language:       OpenCL C
    .language_version:
      - 2
      - 0
    .max_flat_workgroup_size: 512
    .name:           _ZL13mul_mat_f_idsI15__hip_bfloat162Li64ELi4ELi8EEvPKT_PKfPKiS7_S7_Pfiiiiiiiiiiiiii15HIP_vector_typeIjLj3EESA_
    .private_segment_fixed_size: 0
    .sgpr_count:     100
    .sgpr_spill_count: 14
    .symbol:         _ZL13mul_mat_f_idsI15__hip_bfloat162Li64ELi4ELi8EEvPKT_PKfPKiS7_S7_Pfiiiiiiiiiiiiii15HIP_vector_typeIjLj3EESA_.kd
    .uniform_work_group_size: 1
    .uses_dynamic_stack: false
    .vgpr_count:     102
    .vgpr_spill_count: 0
    .wavefront_size: 64
  - .agpr_count:     0
    .args:
      - .actual_access:  read_only
        .address_space:  global
        .offset:         0
        .size:           8
        .value_kind:     global_buffer
      - .actual_access:  read_only
        .address_space:  global
        .offset:         8
        .size:           8
        .value_kind:     global_buffer
      - .actual_access:  read_only
        .address_space:  global
        .offset:         16
        .size:           8
        .value_kind:     global_buffer
      - .actual_access:  write_only
        .address_space:  global
        .offset:         24
        .size:           8
        .value_kind:     global_buffer
      - .offset:         32
        .size:           4
        .value_kind:     by_value
      - .offset:         36
        .size:           4
        .value_kind:     by_value
      - .offset:         40
        .size:           4
        .value_kind:     by_value
      - .offset:         44
        .size:           4
        .value_kind:     by_value
      - .offset:         48
        .size:           4
        .value_kind:     by_value
      - .offset:         52
        .size:           4
        .value_kind:     by_value
      - .offset:         56
        .size:           4
        .value_kind:     by_value
      - .offset:         60
        .size:           4
        .value_kind:     by_value
      - .offset:         64
        .size:           4
        .value_kind:     by_value
      - .offset:         68
        .size:           4
        .value_kind:     by_value
      - .offset:         72
        .size:           4
        .value_kind:     by_value
      - .offset:         76
        .size:           4
        .value_kind:     by_value
      - .offset:         80
        .size:           4
        .value_kind:     by_value
      - .offset:         84
        .size:           4
        .value_kind:     by_value
      - .offset:         88
        .size:           4
        .value_kind:     by_value
      - .offset:         92
        .size:           4
        .value_kind:     by_value
      - .offset:         96
        .size:           4
        .value_kind:     hidden_block_count_x
      - .offset:         100
        .size:           4
        .value_kind:     hidden_block_count_y
      - .offset:         104
        .size:           4
        .value_kind:     hidden_block_count_z
      - .offset:         108
        .size:           2
        .value_kind:     hidden_group_size_x
      - .offset:         110
        .size:           2
        .value_kind:     hidden_group_size_y
      - .offset:         112
        .size:           2
        .value_kind:     hidden_group_size_z
      - .offset:         114
        .size:           2
        .value_kind:     hidden_remainder_x
      - .offset:         116
        .size:           2
        .value_kind:     hidden_remainder_y
      - .offset:         118
        .size:           2
        .value_kind:     hidden_remainder_z
      - .offset:         136
        .size:           8
        .value_kind:     hidden_global_offset_x
      - .offset:         144
        .size:           8
        .value_kind:     hidden_global_offset_y
      - .offset:         152
        .size:           8
        .value_kind:     hidden_global_offset_z
      - .offset:         160
        .size:           2
        .value_kind:     hidden_grid_dims
      - .offset:         216
        .size:           4
        .value_kind:     hidden_dynamic_lds_size
    .group_segment_fixed_size: 256
    .kernarg_segment_align: 8
    .kernarg_segment_size: 352
    .language:       OpenCL C
    .language_version:
      - 2
      - 0
    .max_flat_workgroup_size: 512
    .name:           _ZL9mul_mat_fI15__hip_bfloat162Li64ELi4ELi8ELb1EEvPKT_PKfPKiPfiiiiiiiiiiiiiiii
    .private_segment_fixed_size: 0
    .sgpr_count:     100
    .sgpr_spill_count: 2
    .symbol:         _ZL9mul_mat_fI15__hip_bfloat162Li64ELi4ELi8ELb1EEvPKT_PKfPKiPfiiiiiiiiiiiiiiii.kd
    .uniform_work_group_size: 1
    .uses_dynamic_stack: false
    .vgpr_count:     105
    .vgpr_spill_count: 0
    .wavefront_size: 64
  - .agpr_count:     0
    .args:
      - .actual_access:  read_only
        .address_space:  global
        .offset:         0
        .size:           8
        .value_kind:     global_buffer
      - .actual_access:  read_only
        .address_space:  global
        .offset:         8
        .size:           8
        .value_kind:     global_buffer
      - .actual_access:  read_only
        .address_space:  global
        .offset:         16
        .size:           8
        .value_kind:     global_buffer
      - .actual_access:  write_only
        .address_space:  global
        .offset:         24
        .size:           8
        .value_kind:     global_buffer
      - .offset:         32
        .size:           4
        .value_kind:     by_value
      - .offset:         36
        .size:           4
        .value_kind:     by_value
      - .offset:         40
        .size:           4
        .value_kind:     by_value
      - .offset:         44
        .size:           4
        .value_kind:     by_value
      - .offset:         48
        .size:           4
        .value_kind:     by_value
      - .offset:         52
        .size:           4
        .value_kind:     by_value
      - .offset:         56
        .size:           4
        .value_kind:     by_value
      - .offset:         60
        .size:           4
        .value_kind:     by_value
      - .offset:         64
        .size:           4
        .value_kind:     by_value
      - .offset:         68
        .size:           4
        .value_kind:     by_value
      - .offset:         72
        .size:           4
        .value_kind:     by_value
      - .offset:         76
        .size:           4
        .value_kind:     by_value
      - .offset:         80
        .size:           4
        .value_kind:     by_value
      - .offset:         84
        .size:           4
        .value_kind:     by_value
      - .offset:         88
        .size:           4
        .value_kind:     by_value
      - .offset:         92
        .size:           4
        .value_kind:     by_value
    .group_segment_fixed_size: 0
    .kernarg_segment_align: 8
    .kernarg_segment_size: 96
    .language:       OpenCL C
    .language_version:
      - 2
      - 0
    .max_flat_workgroup_size: 512
    .name:           _ZL9mul_mat_fI15__hip_bfloat162Li64ELi4ELi8ELb0EEvPKT_PKfPKiPfiiiiiiiiiiiiiiii
    .private_segment_fixed_size: 0
    .sgpr_count:     93
    .sgpr_spill_count: 0
    .symbol:         _ZL9mul_mat_fI15__hip_bfloat162Li64ELi4ELi8ELb0EEvPKT_PKfPKiPfiiiiiiiiiiiiiiii.kd
    .uniform_work_group_size: 1
    .uses_dynamic_stack: false
    .vgpr_count:     105
    .vgpr_spill_count: 0
    .wavefront_size: 64
amdhsa.target:   amdgcn-amd-amdhsa--gfx90a
amdhsa.version:
  - 1
  - 2
...

	.end_amdgpu_metadata
